;; amdgpu-corpus repo=ROCm/rocSOLVER kind=compiled arch=gfx906 opt=O3
	.amdgcn_target "amdgcn-amd-amdhsa--gfx906"
	.amdhsa_code_object_version 6
	.section	.text._ZN9rocsolver6v33100L18trti2_kernel_smallILi1EdPdEEv13rocblas_fill_17rocblas_diagonal_T1_iil,"axG",@progbits,_ZN9rocsolver6v33100L18trti2_kernel_smallILi1EdPdEEv13rocblas_fill_17rocblas_diagonal_T1_iil,comdat
	.globl	_ZN9rocsolver6v33100L18trti2_kernel_smallILi1EdPdEEv13rocblas_fill_17rocblas_diagonal_T1_iil ; -- Begin function _ZN9rocsolver6v33100L18trti2_kernel_smallILi1EdPdEEv13rocblas_fill_17rocblas_diagonal_T1_iil
	.p2align	8
	.type	_ZN9rocsolver6v33100L18trti2_kernel_smallILi1EdPdEEv13rocblas_fill_17rocblas_diagonal_T1_iil,@function
_ZN9rocsolver6v33100L18trti2_kernel_smallILi1EdPdEEv13rocblas_fill_17rocblas_diagonal_T1_iil: ; @_ZN9rocsolver6v33100L18trti2_kernel_smallILi1EdPdEEv13rocblas_fill_17rocblas_diagonal_T1_iil
; %bb.0:
	v_cmp_eq_u32_e32 vcc, 0, v0
	s_and_saveexec_b64 s[0:1], vcc
	s_cbranch_execz .LBB0_2
; %bb.1:
	s_load_dword s0, s[4:5], 0x10
	s_load_dwordx2 s[2:3], s[4:5], 0x18
	s_load_dwordx2 s[8:9], s[4:5], 0x8
	s_ashr_i32 s7, s6, 31
	s_load_dword s4, s[4:5], 0x4
	s_waitcnt lgkmcnt(0)
	s_ashr_i32 s1, s0, 31
	s_mul_hi_u32 s10, s2, s6
	s_mul_i32 s7, s2, s7
	s_add_i32 s7, s10, s7
	s_mul_i32 s3, s3, s6
	s_add_i32 s3, s7, s3
	s_mul_i32 s2, s2, s6
	s_lshl_b64 s[2:3], s[2:3], 3
	s_add_u32 s2, s8, s2
	s_addc_u32 s3, s9, s3
	s_lshl_b64 s[0:1], s[0:1], 3
	s_add_u32 s0, s2, s0
	s_addc_u32 s1, s3, s1
	s_load_dwordx2 s[2:3], s[0:1], 0x0
	s_cmpk_eq_i32 s4, 0x84
	s_waitcnt lgkmcnt(0)
	v_div_scale_f64 v[0:1], s[6:7], s[2:3], s[2:3], 1.0
	v_rcp_f64_e32 v[2:3], v[0:1]
	v_fma_f64 v[4:5], -v[0:1], v[2:3], 1.0
	v_fma_f64 v[2:3], v[2:3], v[4:5], v[2:3]
	v_div_scale_f64 v[4:5], vcc, 1.0, s[2:3], 1.0
	v_fma_f64 v[6:7], -v[0:1], v[2:3], 1.0
	v_fma_f64 v[2:3], v[2:3], v[6:7], v[2:3]
	v_mul_f64 v[6:7], v[4:5], v[2:3]
	v_fma_f64 v[0:1], -v[0:1], v[6:7], v[4:5]
	v_mov_b32_e32 v4, s2
	v_div_fmas_f64 v[0:1], v[0:1], v[2:3], v[6:7]
	v_mov_b32_e32 v3, s3
	s_cselect_b64 vcc, -1, 0
	v_mov_b32_e32 v2, 0
	v_div_fixup_f64 v[0:1], v[0:1], s[2:3], 1.0
	v_cndmask_b32_e32 v1, v1, v3, vcc
	v_cndmask_b32_e32 v0, v0, v4, vcc
	global_store_dwordx2 v2, v[0:1], s[0:1]
.LBB0_2:
	s_endpgm
	.section	.rodata,"a",@progbits
	.p2align	6, 0x0
	.amdhsa_kernel _ZN9rocsolver6v33100L18trti2_kernel_smallILi1EdPdEEv13rocblas_fill_17rocblas_diagonal_T1_iil
		.amdhsa_group_segment_fixed_size 0
		.amdhsa_private_segment_fixed_size 0
		.amdhsa_kernarg_size 32
		.amdhsa_user_sgpr_count 6
		.amdhsa_user_sgpr_private_segment_buffer 1
		.amdhsa_user_sgpr_dispatch_ptr 0
		.amdhsa_user_sgpr_queue_ptr 0
		.amdhsa_user_sgpr_kernarg_segment_ptr 1
		.amdhsa_user_sgpr_dispatch_id 0
		.amdhsa_user_sgpr_flat_scratch_init 0
		.amdhsa_user_sgpr_private_segment_size 0
		.amdhsa_uses_dynamic_stack 0
		.amdhsa_system_sgpr_private_segment_wavefront_offset 0
		.amdhsa_system_sgpr_workgroup_id_x 1
		.amdhsa_system_sgpr_workgroup_id_y 0
		.amdhsa_system_sgpr_workgroup_id_z 0
		.amdhsa_system_sgpr_workgroup_info 0
		.amdhsa_system_vgpr_workitem_id 0
		.amdhsa_next_free_vgpr 8
		.amdhsa_next_free_sgpr 11
		.amdhsa_reserve_vcc 1
		.amdhsa_reserve_flat_scratch 0
		.amdhsa_float_round_mode_32 0
		.amdhsa_float_round_mode_16_64 0
		.amdhsa_float_denorm_mode_32 3
		.amdhsa_float_denorm_mode_16_64 3
		.amdhsa_dx10_clamp 1
		.amdhsa_ieee_mode 1
		.amdhsa_fp16_overflow 0
		.amdhsa_exception_fp_ieee_invalid_op 0
		.amdhsa_exception_fp_denorm_src 0
		.amdhsa_exception_fp_ieee_div_zero 0
		.amdhsa_exception_fp_ieee_overflow 0
		.amdhsa_exception_fp_ieee_underflow 0
		.amdhsa_exception_fp_ieee_inexact 0
		.amdhsa_exception_int_div_zero 0
	.end_amdhsa_kernel
	.section	.text._ZN9rocsolver6v33100L18trti2_kernel_smallILi1EdPdEEv13rocblas_fill_17rocblas_diagonal_T1_iil,"axG",@progbits,_ZN9rocsolver6v33100L18trti2_kernel_smallILi1EdPdEEv13rocblas_fill_17rocblas_diagonal_T1_iil,comdat
.Lfunc_end0:
	.size	_ZN9rocsolver6v33100L18trti2_kernel_smallILi1EdPdEEv13rocblas_fill_17rocblas_diagonal_T1_iil, .Lfunc_end0-_ZN9rocsolver6v33100L18trti2_kernel_smallILi1EdPdEEv13rocblas_fill_17rocblas_diagonal_T1_iil
                                        ; -- End function
	.set _ZN9rocsolver6v33100L18trti2_kernel_smallILi1EdPdEEv13rocblas_fill_17rocblas_diagonal_T1_iil.num_vgpr, 8
	.set _ZN9rocsolver6v33100L18trti2_kernel_smallILi1EdPdEEv13rocblas_fill_17rocblas_diagonal_T1_iil.num_agpr, 0
	.set _ZN9rocsolver6v33100L18trti2_kernel_smallILi1EdPdEEv13rocblas_fill_17rocblas_diagonal_T1_iil.numbered_sgpr, 11
	.set _ZN9rocsolver6v33100L18trti2_kernel_smallILi1EdPdEEv13rocblas_fill_17rocblas_diagonal_T1_iil.num_named_barrier, 0
	.set _ZN9rocsolver6v33100L18trti2_kernel_smallILi1EdPdEEv13rocblas_fill_17rocblas_diagonal_T1_iil.private_seg_size, 0
	.set _ZN9rocsolver6v33100L18trti2_kernel_smallILi1EdPdEEv13rocblas_fill_17rocblas_diagonal_T1_iil.uses_vcc, 1
	.set _ZN9rocsolver6v33100L18trti2_kernel_smallILi1EdPdEEv13rocblas_fill_17rocblas_diagonal_T1_iil.uses_flat_scratch, 0
	.set _ZN9rocsolver6v33100L18trti2_kernel_smallILi1EdPdEEv13rocblas_fill_17rocblas_diagonal_T1_iil.has_dyn_sized_stack, 0
	.set _ZN9rocsolver6v33100L18trti2_kernel_smallILi1EdPdEEv13rocblas_fill_17rocblas_diagonal_T1_iil.has_recursion, 0
	.set _ZN9rocsolver6v33100L18trti2_kernel_smallILi1EdPdEEv13rocblas_fill_17rocblas_diagonal_T1_iil.has_indirect_call, 0
	.section	.AMDGPU.csdata,"",@progbits
; Kernel info:
; codeLenInByte = 240
; TotalNumSgprs: 15
; NumVgprs: 8
; ScratchSize: 0
; MemoryBound: 0
; FloatMode: 240
; IeeeMode: 1
; LDSByteSize: 0 bytes/workgroup (compile time only)
; SGPRBlocks: 1
; VGPRBlocks: 1
; NumSGPRsForWavesPerEU: 15
; NumVGPRsForWavesPerEU: 8
; Occupancy: 10
; WaveLimiterHint : 0
; COMPUTE_PGM_RSRC2:SCRATCH_EN: 0
; COMPUTE_PGM_RSRC2:USER_SGPR: 6
; COMPUTE_PGM_RSRC2:TRAP_HANDLER: 0
; COMPUTE_PGM_RSRC2:TGID_X_EN: 1
; COMPUTE_PGM_RSRC2:TGID_Y_EN: 0
; COMPUTE_PGM_RSRC2:TGID_Z_EN: 0
; COMPUTE_PGM_RSRC2:TIDIG_COMP_CNT: 0
	.section	.text._ZN9rocsolver6v33100L18trti2_kernel_smallILi2EdPdEEv13rocblas_fill_17rocblas_diagonal_T1_iil,"axG",@progbits,_ZN9rocsolver6v33100L18trti2_kernel_smallILi2EdPdEEv13rocblas_fill_17rocblas_diagonal_T1_iil,comdat
	.globl	_ZN9rocsolver6v33100L18trti2_kernel_smallILi2EdPdEEv13rocblas_fill_17rocblas_diagonal_T1_iil ; -- Begin function _ZN9rocsolver6v33100L18trti2_kernel_smallILi2EdPdEEv13rocblas_fill_17rocblas_diagonal_T1_iil
	.p2align	8
	.type	_ZN9rocsolver6v33100L18trti2_kernel_smallILi2EdPdEEv13rocblas_fill_17rocblas_diagonal_T1_iil,@function
_ZN9rocsolver6v33100L18trti2_kernel_smallILi2EdPdEEv13rocblas_fill_17rocblas_diagonal_T1_iil: ; @_ZN9rocsolver6v33100L18trti2_kernel_smallILi2EdPdEEv13rocblas_fill_17rocblas_diagonal_T1_iil
; %bb.0:
	v_cmp_gt_u32_e32 vcc, 2, v0
	s_and_saveexec_b64 s[0:1], vcc
	s_cbranch_execz .LBB1_20
; %bb.1:
	s_load_dwordx8 s[8:15], s[4:5], 0x0
	s_ashr_i32 s2, s6, 31
	v_lshlrev_b32_e32 v7, 3, v0
	v_mov_b32_e32 v5, 0
	v_mov_b32_e32 v6, 0xbff00000
	s_waitcnt lgkmcnt(0)
	s_mul_hi_u32 s3, s14, s6
	s_mul_i32 s2, s14, s2
	s_add_i32 s2, s3, s2
	s_mul_i32 s3, s15, s6
	s_add_i32 s3, s2, s3
	s_mul_i32 s2, s14, s6
	s_ashr_i32 s1, s12, 31
	s_lshl_b64 s[2:3], s[2:3], 3
	s_mov_b32 s0, s12
	s_add_u32 s2, s10, s2
	s_addc_u32 s3, s11, s3
	s_lshl_b64 s[0:1], s[0:1], 3
	s_add_u32 s0, s2, s0
	s_addc_u32 s1, s3, s1
	v_mov_b32_e32 v1, s1
	v_add_co_u32_e32 v9, vcc, s0, v7
	s_ashr_i32 s3, s13, 31
	s_mov_b32 s2, s13
	v_addc_co_u32_e32 v10, vcc, 0, v1, vcc
	s_lshl_b64 s[2:3], s[2:3], 3
	v_mov_b32_e32 v1, s3
	v_add_co_u32_e32 v11, vcc, s2, v9
	v_addc_co_u32_e32 v12, vcc, v10, v1, vcc
	global_load_dwordx2 v[1:2], v7, s[0:1]
	global_load_dwordx2 v[3:4], v[11:12], off
	s_cmpk_lg_i32 s9, 0x84
	s_cselect_b64 s[2:3], -1, 0
	s_cmpk_eq_i32 s9, 0x84
	s_cbranch_scc1 .LBB1_3
; %bb.2:
	v_cmp_eq_u32_e64 s[0:1], 1, v0
	s_waitcnt vmcnt(0)
	v_cndmask_b32_e64 v6, v2, v4, s[0:1]
	v_cndmask_b32_e64 v5, v1, v3, s[0:1]
	v_div_scale_f64 v[13:14], s[4:5], v[5:6], v[5:6], 1.0
	v_rcp_f64_e32 v[15:16], v[13:14]
	v_fma_f64 v[17:18], -v[13:14], v[15:16], 1.0
	v_fma_f64 v[15:16], v[15:16], v[17:18], v[15:16]
	v_div_scale_f64 v[17:18], vcc, 1.0, v[5:6], 1.0
	v_fma_f64 v[19:20], -v[13:14], v[15:16], 1.0
	v_fma_f64 v[15:16], v[15:16], v[19:20], v[15:16]
	v_mul_f64 v[19:20], v[17:18], v[15:16]
	v_fma_f64 v[13:14], -v[13:14], v[19:20], v[17:18]
	v_div_fmas_f64 v[13:14], v[13:14], v[15:16], v[19:20]
	v_cmp_eq_u32_e32 vcc, 0, v0
	v_div_fixup_f64 v[5:6], v[13:14], v[5:6], 1.0
	v_cndmask_b32_e64 v4, v4, v6, s[0:1]
	v_cndmask_b32_e64 v3, v3, v5, s[0:1]
	v_cndmask_b32_e32 v2, v2, v6, vcc
	v_cndmask_b32_e32 v1, v1, v5, vcc
	v_xor_b32_e32 v6, 0x80000000, v6
.LBB1_3:
	s_cmpk_eq_i32 s8, 0x79
	v_add_u32_e32 v13, 16, v7
	ds_write_b64 v7, v[5:6]
	s_cbranch_scc1 .LBB1_7
; %bb.4:
	s_waitcnt vmcnt(0)
	v_mov_b32_e32 v8, v4
	v_cmp_eq_u32_e32 vcc, 1, v0
	v_mov_b32_e32 v7, v3
	v_mov_b32_e32 v6, v2
	;; [unrolled: 1-line block ×3, first 2 shown]
	ds_write_b64 v13, v[1:2]
	s_waitcnt lgkmcnt(0)
	; wave barrier
	s_and_saveexec_b64 s[0:1], vcc
	s_cbranch_execz .LBB1_11
; %bb.5:
	s_and_b64 vcc, exec, s[2:3]
	s_cbranch_vccz .LBB1_8
; %bb.6:
	ds_read_b64 v[5:6], v13
	v_cmp_eq_u32_e32 vcc, 1, v0
	v_cndmask_b32_e32 v8, v2, v4, vcc
	v_cndmask_b32_e32 v7, v1, v3, vcc
	s_waitcnt lgkmcnt(0)
	v_mul_f64 v[5:6], v[7:8], v[5:6]
	s_cbranch_execz .LBB1_9
	s_branch .LBB1_10
.LBB1_7:
                                        ; implicit-def: $vgpr5_vgpr6_vgpr7_vgpr8
	s_branch .LBB1_12
.LBB1_8:
                                        ; implicit-def: $vgpr5_vgpr6
.LBB1_9:
	ds_read_b64 v[5:6], v13
.LBB1_10:
	v_mov_b32_e32 v7, 0
	ds_read_b64 v[7:8], v7
	s_waitcnt lgkmcnt(0)
	v_mul_f64 v[14:15], v[5:6], v[7:8]
	v_mov_b32_e32 v8, v4
	v_mov_b32_e32 v6, v2
	;; [unrolled: 1-line block ×6, first 2 shown]
.LBB1_11:
	s_or_b64 exec, exec, s[0:1]
	s_cbranch_execnz .LBB1_19
.LBB1_12:
	v_cmp_eq_u32_e32 vcc, 0, v0
	s_waitcnt vmcnt(0)
	ds_write_b64 v13, v[3:4]
	s_waitcnt lgkmcnt(0)
	; wave barrier
	s_and_saveexec_b64 s[0:1], vcc
	s_cbranch_execz .LBB1_18
; %bb.13:
	s_and_b64 vcc, exec, s[2:3]
	s_cbranch_vccz .LBB1_15
; %bb.14:
	ds_read_b64 v[5:6], v13
	v_cmp_eq_u32_e32 vcc, 1, v0
	v_cndmask_b32_e32 v4, v2, v4, vcc
	v_cndmask_b32_e32 v3, v1, v3, vcc
	s_waitcnt lgkmcnt(0)
	v_mul_f64 v[3:4], v[3:4], v[5:6]
	s_cbranch_execz .LBB1_16
	s_branch .LBB1_17
.LBB1_15:
                                        ; implicit-def: $vgpr3_vgpr4
.LBB1_16:
	ds_read_b64 v[3:4], v13
.LBB1_17:
	v_mov_b32_e32 v0, 0
	ds_read_b64 v[5:6], v0 offset:8
	s_waitcnt lgkmcnt(0)
	v_mul_f64 v[3:4], v[3:4], v[5:6]
.LBB1_18:
	s_or_b64 exec, exec, s[0:1]
	v_mov_b32_e32 v8, v4
	v_mov_b32_e32 v7, v3
	;; [unrolled: 1-line block ×4, first 2 shown]
.LBB1_19:
	global_store_dwordx2 v[9:10], v[5:6], off
	global_store_dwordx2 v[11:12], v[7:8], off
.LBB1_20:
	s_endpgm
	.section	.rodata,"a",@progbits
	.p2align	6, 0x0
	.amdhsa_kernel _ZN9rocsolver6v33100L18trti2_kernel_smallILi2EdPdEEv13rocblas_fill_17rocblas_diagonal_T1_iil
		.amdhsa_group_segment_fixed_size 32
		.amdhsa_private_segment_fixed_size 0
		.amdhsa_kernarg_size 32
		.amdhsa_user_sgpr_count 6
		.amdhsa_user_sgpr_private_segment_buffer 1
		.amdhsa_user_sgpr_dispatch_ptr 0
		.amdhsa_user_sgpr_queue_ptr 0
		.amdhsa_user_sgpr_kernarg_segment_ptr 1
		.amdhsa_user_sgpr_dispatch_id 0
		.amdhsa_user_sgpr_flat_scratch_init 0
		.amdhsa_user_sgpr_private_segment_size 0
		.amdhsa_uses_dynamic_stack 0
		.amdhsa_system_sgpr_private_segment_wavefront_offset 0
		.amdhsa_system_sgpr_workgroup_id_x 1
		.amdhsa_system_sgpr_workgroup_id_y 0
		.amdhsa_system_sgpr_workgroup_id_z 0
		.amdhsa_system_sgpr_workgroup_info 0
		.amdhsa_system_vgpr_workitem_id 0
		.amdhsa_next_free_vgpr 21
		.amdhsa_next_free_sgpr 16
		.amdhsa_reserve_vcc 1
		.amdhsa_reserve_flat_scratch 0
		.amdhsa_float_round_mode_32 0
		.amdhsa_float_round_mode_16_64 0
		.amdhsa_float_denorm_mode_32 3
		.amdhsa_float_denorm_mode_16_64 3
		.amdhsa_dx10_clamp 1
		.amdhsa_ieee_mode 1
		.amdhsa_fp16_overflow 0
		.amdhsa_exception_fp_ieee_invalid_op 0
		.amdhsa_exception_fp_denorm_src 0
		.amdhsa_exception_fp_ieee_div_zero 0
		.amdhsa_exception_fp_ieee_overflow 0
		.amdhsa_exception_fp_ieee_underflow 0
		.amdhsa_exception_fp_ieee_inexact 0
		.amdhsa_exception_int_div_zero 0
	.end_amdhsa_kernel
	.section	.text._ZN9rocsolver6v33100L18trti2_kernel_smallILi2EdPdEEv13rocblas_fill_17rocblas_diagonal_T1_iil,"axG",@progbits,_ZN9rocsolver6v33100L18trti2_kernel_smallILi2EdPdEEv13rocblas_fill_17rocblas_diagonal_T1_iil,comdat
.Lfunc_end1:
	.size	_ZN9rocsolver6v33100L18trti2_kernel_smallILi2EdPdEEv13rocblas_fill_17rocblas_diagonal_T1_iil, .Lfunc_end1-_ZN9rocsolver6v33100L18trti2_kernel_smallILi2EdPdEEv13rocblas_fill_17rocblas_diagonal_T1_iil
                                        ; -- End function
	.set _ZN9rocsolver6v33100L18trti2_kernel_smallILi2EdPdEEv13rocblas_fill_17rocblas_diagonal_T1_iil.num_vgpr, 21
	.set _ZN9rocsolver6v33100L18trti2_kernel_smallILi2EdPdEEv13rocblas_fill_17rocblas_diagonal_T1_iil.num_agpr, 0
	.set _ZN9rocsolver6v33100L18trti2_kernel_smallILi2EdPdEEv13rocblas_fill_17rocblas_diagonal_T1_iil.numbered_sgpr, 16
	.set _ZN9rocsolver6v33100L18trti2_kernel_smallILi2EdPdEEv13rocblas_fill_17rocblas_diagonal_T1_iil.num_named_barrier, 0
	.set _ZN9rocsolver6v33100L18trti2_kernel_smallILi2EdPdEEv13rocblas_fill_17rocblas_diagonal_T1_iil.private_seg_size, 0
	.set _ZN9rocsolver6v33100L18trti2_kernel_smallILi2EdPdEEv13rocblas_fill_17rocblas_diagonal_T1_iil.uses_vcc, 1
	.set _ZN9rocsolver6v33100L18trti2_kernel_smallILi2EdPdEEv13rocblas_fill_17rocblas_diagonal_T1_iil.uses_flat_scratch, 0
	.set _ZN9rocsolver6v33100L18trti2_kernel_smallILi2EdPdEEv13rocblas_fill_17rocblas_diagonal_T1_iil.has_dyn_sized_stack, 0
	.set _ZN9rocsolver6v33100L18trti2_kernel_smallILi2EdPdEEv13rocblas_fill_17rocblas_diagonal_T1_iil.has_recursion, 0
	.set _ZN9rocsolver6v33100L18trti2_kernel_smallILi2EdPdEEv13rocblas_fill_17rocblas_diagonal_T1_iil.has_indirect_call, 0
	.section	.AMDGPU.csdata,"",@progbits
; Kernel info:
; codeLenInByte = 644
; TotalNumSgprs: 20
; NumVgprs: 21
; ScratchSize: 0
; MemoryBound: 0
; FloatMode: 240
; IeeeMode: 1
; LDSByteSize: 32 bytes/workgroup (compile time only)
; SGPRBlocks: 2
; VGPRBlocks: 5
; NumSGPRsForWavesPerEU: 20
; NumVGPRsForWavesPerEU: 21
; Occupancy: 10
; WaveLimiterHint : 0
; COMPUTE_PGM_RSRC2:SCRATCH_EN: 0
; COMPUTE_PGM_RSRC2:USER_SGPR: 6
; COMPUTE_PGM_RSRC2:TRAP_HANDLER: 0
; COMPUTE_PGM_RSRC2:TGID_X_EN: 1
; COMPUTE_PGM_RSRC2:TGID_Y_EN: 0
; COMPUTE_PGM_RSRC2:TGID_Z_EN: 0
; COMPUTE_PGM_RSRC2:TIDIG_COMP_CNT: 0
	.section	.text._ZN9rocsolver6v33100L18trti2_kernel_smallILi3EdPdEEv13rocblas_fill_17rocblas_diagonal_T1_iil,"axG",@progbits,_ZN9rocsolver6v33100L18trti2_kernel_smallILi3EdPdEEv13rocblas_fill_17rocblas_diagonal_T1_iil,comdat
	.globl	_ZN9rocsolver6v33100L18trti2_kernel_smallILi3EdPdEEv13rocblas_fill_17rocblas_diagonal_T1_iil ; -- Begin function _ZN9rocsolver6v33100L18trti2_kernel_smallILi3EdPdEEv13rocblas_fill_17rocblas_diagonal_T1_iil
	.p2align	8
	.type	_ZN9rocsolver6v33100L18trti2_kernel_smallILi3EdPdEEv13rocblas_fill_17rocblas_diagonal_T1_iil,@function
_ZN9rocsolver6v33100L18trti2_kernel_smallILi3EdPdEEv13rocblas_fill_17rocblas_diagonal_T1_iil: ; @_ZN9rocsolver6v33100L18trti2_kernel_smallILi3EdPdEEv13rocblas_fill_17rocblas_diagonal_T1_iil
; %bb.0:
	v_cmp_gt_u32_e32 vcc, 3, v0
	s_and_saveexec_b64 s[0:1], vcc
	s_cbranch_execz .LBB2_32
; %bb.1:
	s_load_dwordx8 s[8:15], s[4:5], 0x0
	s_ashr_i32 s2, s6, 31
	v_lshlrev_b32_e32 v9, 3, v0
	v_mov_b32_e32 v7, 0
	v_mov_b32_e32 v8, 0xbff00000
	s_waitcnt lgkmcnt(0)
	s_mul_hi_u32 s3, s14, s6
	s_mul_i32 s2, s14, s2
	s_add_i32 s2, s3, s2
	s_mul_i32 s3, s15, s6
	s_add_i32 s3, s2, s3
	s_mul_i32 s2, s14, s6
	s_ashr_i32 s1, s12, 31
	s_lshl_b64 s[2:3], s[2:3], 3
	s_mov_b32 s0, s12
	s_add_u32 s2, s10, s2
	s_addc_u32 s3, s11, s3
	s_lshl_b64 s[0:1], s[0:1], 3
	s_add_u32 s0, s2, s0
	s_addc_u32 s1, s3, s1
	v_mov_b32_e32 v1, s1
	v_add_co_u32_e32 v13, vcc, s0, v9
	s_ashr_i32 s3, s13, 31
	s_mov_b32 s2, s13
	v_addc_co_u32_e32 v14, vcc, 0, v1, vcc
	s_lshl_b64 s[2:3], s[2:3], 3
	v_mov_b32_e32 v1, s3
	v_add_co_u32_e32 v15, vcc, s2, v13
	s_add_i32 s2, s13, s13
	v_addc_co_u32_e32 v16, vcc, v14, v1, vcc
	v_add_u32_e32 v1, s2, v0
	v_ashrrev_i32_e32 v2, 31, v1
	v_lshlrev_b64 v[1:2], 3, v[1:2]
	v_mov_b32_e32 v3, s1
	v_add_co_u32_e32 v17, vcc, s0, v1
	v_addc_co_u32_e32 v18, vcc, v3, v2, vcc
	global_load_dwordx2 v[1:2], v9, s[0:1]
	global_load_dwordx2 v[3:4], v[15:16], off
	global_load_dwordx2 v[5:6], v[17:18], off
	s_cmpk_lg_i32 s9, 0x84
	s_cselect_b64 s[4:5], -1, 0
	s_cmpk_eq_i32 s9, 0x84
	s_cbranch_scc1 .LBB2_3
; %bb.2:
	v_cmp_eq_u32_e64 s[0:1], 1, v0
	s_waitcnt vmcnt(1)
	v_cndmask_b32_e64 v7, v2, v4, s[0:1]
	v_cmp_eq_u32_e64 s[2:3], 2, v0
	s_waitcnt vmcnt(0)
	v_cndmask_b32_e64 v8, v7, v6, s[2:3]
	v_cndmask_b32_e64 v7, v1, v3, s[0:1]
	;; [unrolled: 1-line block ×3, first 2 shown]
	v_div_scale_f64 v[10:11], s[6:7], v[7:8], v[7:8], 1.0
	v_rcp_f64_e32 v[19:20], v[10:11]
	v_fma_f64 v[21:22], -v[10:11], v[19:20], 1.0
	v_fma_f64 v[19:20], v[19:20], v[21:22], v[19:20]
	v_div_scale_f64 v[21:22], vcc, 1.0, v[7:8], 1.0
	v_fma_f64 v[23:24], -v[10:11], v[19:20], 1.0
	v_fma_f64 v[19:20], v[19:20], v[23:24], v[19:20]
	v_mul_f64 v[23:24], v[21:22], v[19:20]
	v_fma_f64 v[10:11], -v[10:11], v[23:24], v[21:22]
	v_div_fmas_f64 v[10:11], v[10:11], v[19:20], v[23:24]
	v_cmp_eq_u32_e32 vcc, 0, v0
	v_div_fixup_f64 v[7:8], v[10:11], v[7:8], 1.0
	v_cndmask_b32_e64 v6, v6, v8, s[2:3]
	v_cndmask_b32_e64 v5, v5, v7, s[2:3]
	;; [unrolled: 1-line block ×4, first 2 shown]
	v_cndmask_b32_e32 v2, v2, v8, vcc
	v_cndmask_b32_e32 v1, v1, v7, vcc
	v_xor_b32_e32 v8, 0x80000000, v8
.LBB2_3:
	s_cmpk_eq_i32 s8, 0x79
	v_add_u32_e32 v19, 32, v9
	s_waitcnt vmcnt(1)
	ds_write2_b64 v9, v[7:8], v[3:4] offset1:4
	s_waitcnt lgkmcnt(0)
	s_cbranch_scc1 .LBB2_7
; %bb.4:
	s_waitcnt vmcnt(0)
	v_mov_b32_e32 v12, v6
	v_cmp_eq_u32_e64 s[0:1], 2, v0
	v_mov_b32_e32 v11, v5
	v_mov_b32_e32 v10, v4
	v_mov_b32_e32 v9, v3
	v_mov_b32_e32 v8, v2
	v_mov_b32_e32 v7, v1
	; wave barrier
	s_and_saveexec_b64 s[6:7], s[0:1]
	s_cbranch_execz .LBB2_11
; %bb.5:
	s_and_b64 vcc, exec, s[4:5]
	s_cbranch_vccz .LBB2_8
; %bb.6:
	ds_read_b64 v[7:8], v19
	v_cmp_eq_u32_e32 vcc, 1, v0
	v_cndmask_b32_e32 v9, v2, v4, vcc
	v_cmp_eq_u32_e64 s[2:3], 2, v0
	v_cndmask_b32_e64 v10, v9, v6, s[2:3]
	v_cndmask_b32_e32 v9, v1, v3, vcc
	v_cndmask_b32_e64 v9, v9, v5, s[2:3]
	s_waitcnt lgkmcnt(0)
	v_mul_f64 v[7:8], v[9:10], v[7:8]
	s_cbranch_execz .LBB2_9
	s_branch .LBB2_10
.LBB2_7:
                                        ; implicit-def: $vgpr7_vgpr8_vgpr9_vgpr10_vgpr11_vgpr12
	s_cbranch_execnz .LBB2_18
	s_branch .LBB2_31
.LBB2_8:
                                        ; implicit-def: $vgpr7_vgpr8
.LBB2_9:
	ds_read_b64 v[7:8], v19
.LBB2_10:
	v_mov_b32_e32 v9, 0
	ds_read_b64 v[9:10], v9 offset:8
	s_waitcnt lgkmcnt(0)
	v_mul_f64 v[20:21], v[7:8], v[9:10]
	v_mov_b32_e32 v12, v6
	v_mov_b32_e32 v10, v4
	;; [unrolled: 1-line block ×8, first 2 shown]
.LBB2_11:
	s_or_b64 exec, exec, s[6:7]
	v_cmp_ne_u32_e32 vcc, 0, v0
	ds_write_b64 v19, v[7:8]
	s_waitcnt lgkmcnt(0)
	; wave barrier
	s_and_saveexec_b64 s[6:7], vcc
	s_cbranch_execz .LBB2_17
; %bb.12:
	s_andn2_b64 vcc, exec, s[4:5]
	s_cbranch_vccnz .LBB2_14
; %bb.13:
	ds_read_b64 v[20:21], v19
	v_cmp_eq_u32_e32 vcc, 1, v0
	v_cndmask_b32_e32 v8, v8, v10, vcc
	v_cmp_eq_u32_e64 s[2:3], 2, v0
	v_cndmask_b32_e32 v7, v7, v9, vcc
	v_cndmask_b32_e64 v8, v8, v12, s[2:3]
	v_cndmask_b32_e64 v7, v7, v11, s[2:3]
	s_waitcnt lgkmcnt(0)
	v_mul_f64 v[7:8], v[7:8], v[20:21]
	s_cbranch_execz .LBB2_15
	s_branch .LBB2_16
.LBB2_14:
                                        ; implicit-def: $vgpr7_vgpr8
.LBB2_15:
	ds_read_b64 v[7:8], v19
.LBB2_16:
	v_mov_b32_e32 v20, 0
	ds_read2_b64 v[20:23], v20 offset1:5
	s_waitcnt lgkmcnt(0)
	v_fma_f64 v[22:23], v[9:10], v[22:23], v[7:8]
	v_cndmask_b32_e64 v8, v8, v23, s[0:1]
	v_cndmask_b32_e64 v7, v7, v22, s[0:1]
	v_mul_f64 v[7:8], v[7:8], v[20:21]
.LBB2_17:
	s_or_b64 exec, exec, s[6:7]
	s_branch .LBB2_31
.LBB2_18:
	v_cmp_eq_u32_e64 s[0:1], 0, v0
	; wave barrier
	s_and_saveexec_b64 s[6:7], s[0:1]
	s_cbranch_execz .LBB2_24
; %bb.19:
	s_and_b64 vcc, exec, s[4:5]
	s_cbranch_vccz .LBB2_21
; %bb.20:
	ds_read_b64 v[7:8], v19
	v_cmp_eq_u32_e32 vcc, 1, v0
	v_cndmask_b32_e32 v4, v2, v4, vcc
	v_cmp_eq_u32_e64 s[2:3], 2, v0
	v_cndmask_b32_e32 v3, v1, v3, vcc
	s_waitcnt vmcnt(0)
	v_cndmask_b32_e64 v4, v4, v6, s[2:3]
	v_cndmask_b32_e64 v3, v3, v5, s[2:3]
	s_waitcnt lgkmcnt(0)
	v_mul_f64 v[3:4], v[3:4], v[7:8]
	s_cbranch_execz .LBB2_22
	s_branch .LBB2_23
.LBB2_21:
                                        ; implicit-def: $vgpr3_vgpr4
.LBB2_22:
	ds_read_b64 v[3:4], v19
.LBB2_23:
	v_mov_b32_e32 v7, 0
	ds_read_b64 v[7:8], v7 offset:8
	s_waitcnt lgkmcnt(0)
	v_mul_f64 v[3:4], v[3:4], v[7:8]
.LBB2_24:
	s_or_b64 exec, exec, s[6:7]
	v_cmp_ne_u32_e32 vcc, 2, v0
	s_waitcnt vmcnt(0)
	ds_write_b64 v19, v[5:6]
	s_waitcnt lgkmcnt(0)
	; wave barrier
	s_and_saveexec_b64 s[6:7], vcc
	s_cbranch_execz .LBB2_30
; %bb.25:
	s_andn2_b64 vcc, exec, s[4:5]
	s_cbranch_vccnz .LBB2_27
; %bb.26:
	ds_read_b64 v[7:8], v19
	v_cmp_eq_u32_e32 vcc, 1, v0
	v_cndmask_b32_e32 v9, v2, v4, vcc
	v_cmp_eq_u32_e64 s[2:3], 2, v0
	v_cndmask_b32_e32 v0, v1, v3, vcc
	v_cndmask_b32_e64 v6, v9, v6, s[2:3]
	v_cndmask_b32_e64 v5, v0, v5, s[2:3]
	s_waitcnt lgkmcnt(0)
	v_mul_f64 v[5:6], v[5:6], v[7:8]
	s_cbranch_execz .LBB2_28
	s_branch .LBB2_29
.LBB2_27:
                                        ; implicit-def: $vgpr5_vgpr6
.LBB2_28:
	ds_read_b64 v[5:6], v19
.LBB2_29:
	v_mov_b32_e32 v0, 0
	ds_read2_b64 v[7:10], v0 offset0:2 offset1:5
	s_waitcnt lgkmcnt(0)
	v_fma_f64 v[9:10], v[3:4], v[9:10], v[5:6]
	v_cndmask_b32_e64 v6, v6, v10, s[0:1]
	v_cndmask_b32_e64 v5, v5, v9, s[0:1]
	v_mul_f64 v[5:6], v[5:6], v[7:8]
.LBB2_30:
	s_or_b64 exec, exec, s[6:7]
	v_mov_b32_e32 v12, v6
	v_mov_b32_e32 v11, v5
	;; [unrolled: 1-line block ×6, first 2 shown]
.LBB2_31:
	global_store_dwordx2 v[13:14], v[7:8], off
	global_store_dwordx2 v[15:16], v[9:10], off
	;; [unrolled: 1-line block ×3, first 2 shown]
.LBB2_32:
	s_endpgm
	.section	.rodata,"a",@progbits
	.p2align	6, 0x0
	.amdhsa_kernel _ZN9rocsolver6v33100L18trti2_kernel_smallILi3EdPdEEv13rocblas_fill_17rocblas_diagonal_T1_iil
		.amdhsa_group_segment_fixed_size 56
		.amdhsa_private_segment_fixed_size 0
		.amdhsa_kernarg_size 32
		.amdhsa_user_sgpr_count 6
		.amdhsa_user_sgpr_private_segment_buffer 1
		.amdhsa_user_sgpr_dispatch_ptr 0
		.amdhsa_user_sgpr_queue_ptr 0
		.amdhsa_user_sgpr_kernarg_segment_ptr 1
		.amdhsa_user_sgpr_dispatch_id 0
		.amdhsa_user_sgpr_flat_scratch_init 0
		.amdhsa_user_sgpr_private_segment_size 0
		.amdhsa_uses_dynamic_stack 0
		.amdhsa_system_sgpr_private_segment_wavefront_offset 0
		.amdhsa_system_sgpr_workgroup_id_x 1
		.amdhsa_system_sgpr_workgroup_id_y 0
		.amdhsa_system_sgpr_workgroup_id_z 0
		.amdhsa_system_sgpr_workgroup_info 0
		.amdhsa_system_vgpr_workitem_id 0
		.amdhsa_next_free_vgpr 25
		.amdhsa_next_free_sgpr 16
		.amdhsa_reserve_vcc 1
		.amdhsa_reserve_flat_scratch 0
		.amdhsa_float_round_mode_32 0
		.amdhsa_float_round_mode_16_64 0
		.amdhsa_float_denorm_mode_32 3
		.amdhsa_float_denorm_mode_16_64 3
		.amdhsa_dx10_clamp 1
		.amdhsa_ieee_mode 1
		.amdhsa_fp16_overflow 0
		.amdhsa_exception_fp_ieee_invalid_op 0
		.amdhsa_exception_fp_denorm_src 0
		.amdhsa_exception_fp_ieee_div_zero 0
		.amdhsa_exception_fp_ieee_overflow 0
		.amdhsa_exception_fp_ieee_underflow 0
		.amdhsa_exception_fp_ieee_inexact 0
		.amdhsa_exception_int_div_zero 0
	.end_amdhsa_kernel
	.section	.text._ZN9rocsolver6v33100L18trti2_kernel_smallILi3EdPdEEv13rocblas_fill_17rocblas_diagonal_T1_iil,"axG",@progbits,_ZN9rocsolver6v33100L18trti2_kernel_smallILi3EdPdEEv13rocblas_fill_17rocblas_diagonal_T1_iil,comdat
.Lfunc_end2:
	.size	_ZN9rocsolver6v33100L18trti2_kernel_smallILi3EdPdEEv13rocblas_fill_17rocblas_diagonal_T1_iil, .Lfunc_end2-_ZN9rocsolver6v33100L18trti2_kernel_smallILi3EdPdEEv13rocblas_fill_17rocblas_diagonal_T1_iil
                                        ; -- End function
	.set _ZN9rocsolver6v33100L18trti2_kernel_smallILi3EdPdEEv13rocblas_fill_17rocblas_diagonal_T1_iil.num_vgpr, 25
	.set _ZN9rocsolver6v33100L18trti2_kernel_smallILi3EdPdEEv13rocblas_fill_17rocblas_diagonal_T1_iil.num_agpr, 0
	.set _ZN9rocsolver6v33100L18trti2_kernel_smallILi3EdPdEEv13rocblas_fill_17rocblas_diagonal_T1_iil.numbered_sgpr, 16
	.set _ZN9rocsolver6v33100L18trti2_kernel_smallILi3EdPdEEv13rocblas_fill_17rocblas_diagonal_T1_iil.num_named_barrier, 0
	.set _ZN9rocsolver6v33100L18trti2_kernel_smallILi3EdPdEEv13rocblas_fill_17rocblas_diagonal_T1_iil.private_seg_size, 0
	.set _ZN9rocsolver6v33100L18trti2_kernel_smallILi3EdPdEEv13rocblas_fill_17rocblas_diagonal_T1_iil.uses_vcc, 1
	.set _ZN9rocsolver6v33100L18trti2_kernel_smallILi3EdPdEEv13rocblas_fill_17rocblas_diagonal_T1_iil.uses_flat_scratch, 0
	.set _ZN9rocsolver6v33100L18trti2_kernel_smallILi3EdPdEEv13rocblas_fill_17rocblas_diagonal_T1_iil.has_dyn_sized_stack, 0
	.set _ZN9rocsolver6v33100L18trti2_kernel_smallILi3EdPdEEv13rocblas_fill_17rocblas_diagonal_T1_iil.has_recursion, 0
	.set _ZN9rocsolver6v33100L18trti2_kernel_smallILi3EdPdEEv13rocblas_fill_17rocblas_diagonal_T1_iil.has_indirect_call, 0
	.section	.AMDGPU.csdata,"",@progbits
; Kernel info:
; codeLenInByte = 1120
; TotalNumSgprs: 20
; NumVgprs: 25
; ScratchSize: 0
; MemoryBound: 0
; FloatMode: 240
; IeeeMode: 1
; LDSByteSize: 56 bytes/workgroup (compile time only)
; SGPRBlocks: 2
; VGPRBlocks: 6
; NumSGPRsForWavesPerEU: 20
; NumVGPRsForWavesPerEU: 25
; Occupancy: 9
; WaveLimiterHint : 0
; COMPUTE_PGM_RSRC2:SCRATCH_EN: 0
; COMPUTE_PGM_RSRC2:USER_SGPR: 6
; COMPUTE_PGM_RSRC2:TRAP_HANDLER: 0
; COMPUTE_PGM_RSRC2:TGID_X_EN: 1
; COMPUTE_PGM_RSRC2:TGID_Y_EN: 0
; COMPUTE_PGM_RSRC2:TGID_Z_EN: 0
; COMPUTE_PGM_RSRC2:TIDIG_COMP_CNT: 0
	.section	.text._ZN9rocsolver6v33100L18trti2_kernel_smallILi4EdPdEEv13rocblas_fill_17rocblas_diagonal_T1_iil,"axG",@progbits,_ZN9rocsolver6v33100L18trti2_kernel_smallILi4EdPdEEv13rocblas_fill_17rocblas_diagonal_T1_iil,comdat
	.globl	_ZN9rocsolver6v33100L18trti2_kernel_smallILi4EdPdEEv13rocblas_fill_17rocblas_diagonal_T1_iil ; -- Begin function _ZN9rocsolver6v33100L18trti2_kernel_smallILi4EdPdEEv13rocblas_fill_17rocblas_diagonal_T1_iil
	.p2align	8
	.type	_ZN9rocsolver6v33100L18trti2_kernel_smallILi4EdPdEEv13rocblas_fill_17rocblas_diagonal_T1_iil,@function
_ZN9rocsolver6v33100L18trti2_kernel_smallILi4EdPdEEv13rocblas_fill_17rocblas_diagonal_T1_iil: ; @_ZN9rocsolver6v33100L18trti2_kernel_smallILi4EdPdEEv13rocblas_fill_17rocblas_diagonal_T1_iil
; %bb.0:
	v_cmp_gt_u32_e32 vcc, 4, v0
	s_and_saveexec_b64 s[0:1], vcc
	s_cbranch_execz .LBB3_56
; %bb.1:
	s_load_dwordx8 s[8:15], s[4:5], 0x0
	s_ashr_i32 s2, s6, 31
	v_lshlrev_b32_e32 v11, 3, v0
	v_mov_b32_e32 v9, 0
	v_mov_b32_e32 v10, 0xbff00000
	s_waitcnt lgkmcnt(0)
	s_mul_hi_u32 s3, s14, s6
	s_mul_i32 s2, s14, s2
	s_add_i32 s2, s3, s2
	s_mul_i32 s3, s15, s6
	s_add_i32 s3, s2, s3
	s_mul_i32 s2, s14, s6
	s_ashr_i32 s1, s12, 31
	s_lshl_b64 s[2:3], s[2:3], 3
	s_mov_b32 s0, s12
	s_add_u32 s2, s10, s2
	s_addc_u32 s3, s11, s3
	s_lshl_b64 s[0:1], s[0:1], 3
	s_add_u32 s0, s2, s0
	s_addc_u32 s1, s3, s1
	v_mov_b32_e32 v1, s1
	v_add_co_u32_e32 v17, vcc, s0, v11
	s_ashr_i32 s3, s13, 31
	s_mov_b32 s2, s13
	v_addc_co_u32_e32 v18, vcc, 0, v1, vcc
	s_lshl_b64 s[2:3], s[2:3], 3
	v_mov_b32_e32 v1, s3
	v_add_co_u32_e32 v19, vcc, s2, v17
	s_add_i32 s2, s13, s13
	v_addc_co_u32_e32 v20, vcc, v18, v1, vcc
	v_add_u32_e32 v1, s2, v0
	v_ashrrev_i32_e32 v2, 31, v1
	v_lshlrev_b64 v[2:3], 3, v[1:2]
	v_add_u32_e32 v1, s13, v1
	v_add_co_u32_e32 v21, vcc, s0, v2
	v_ashrrev_i32_e32 v2, 31, v1
	v_mov_b32_e32 v4, s1
	v_lshlrev_b64 v[1:2], 3, v[1:2]
	v_addc_co_u32_e32 v22, vcc, v4, v3, vcc
	v_mov_b32_e32 v3, s1
	v_add_co_u32_e32 v23, vcc, s0, v1
	v_addc_co_u32_e32 v24, vcc, v3, v2, vcc
	global_load_dwordx2 v[1:2], v11, s[0:1]
	global_load_dwordx2 v[3:4], v[19:20], off
	global_load_dwordx2 v[5:6], v[21:22], off
	global_load_dwordx2 v[7:8], v[23:24], off
	s_cmpk_lg_i32 s9, 0x84
	s_cselect_b64 s[10:11], -1, 0
	s_cmpk_eq_i32 s9, 0x84
	s_cbranch_scc1 .LBB3_3
; %bb.2:
	v_cmp_eq_u32_e64 s[0:1], 1, v0
	s_waitcnt vmcnt(2)
	v_cndmask_b32_e64 v9, v2, v4, s[0:1]
	v_cmp_eq_u32_e64 s[2:3], 2, v0
	s_waitcnt vmcnt(1)
	v_cndmask_b32_e64 v9, v9, v6, s[2:3]
	;; [unrolled: 3-line block ×3, first 2 shown]
	v_cndmask_b32_e64 v9, v1, v3, s[0:1]
	v_cndmask_b32_e64 v9, v9, v5, s[2:3]
	;; [unrolled: 1-line block ×3, first 2 shown]
	v_div_scale_f64 v[12:13], s[6:7], v[9:10], v[9:10], 1.0
	v_rcp_f64_e32 v[14:15], v[12:13]
	v_fma_f64 v[25:26], -v[12:13], v[14:15], 1.0
	v_fma_f64 v[14:15], v[14:15], v[25:26], v[14:15]
	v_div_scale_f64 v[25:26], vcc, 1.0, v[9:10], 1.0
	v_fma_f64 v[27:28], -v[12:13], v[14:15], 1.0
	v_fma_f64 v[14:15], v[14:15], v[27:28], v[14:15]
	v_mul_f64 v[27:28], v[25:26], v[14:15]
	v_fma_f64 v[12:13], -v[12:13], v[27:28], v[25:26]
	v_div_fmas_f64 v[12:13], v[12:13], v[14:15], v[27:28]
	v_cmp_eq_u32_e32 vcc, 0, v0
	v_div_fixup_f64 v[9:10], v[12:13], v[9:10], 1.0
	v_cndmask_b32_e64 v8, v8, v10, s[4:5]
	v_cndmask_b32_e64 v7, v7, v9, s[4:5]
	;; [unrolled: 1-line block ×6, first 2 shown]
	v_cndmask_b32_e32 v2, v2, v10, vcc
	v_cndmask_b32_e32 v1, v1, v9, vcc
	v_xor_b32_e32 v10, 0x80000000, v10
.LBB3_3:
	s_cmpk_eq_i32 s8, 0x79
	v_add_u32_e32 v27, 32, v11
	ds_write_b64 v11, v[9:10]
	s_cbranch_scc1 .LBB3_7
; %bb.4:
	s_waitcnt vmcnt(0)
	v_mov_b32_e32 v16, v8
	v_cmp_eq_u32_e64 s[2:3], 3, v0
	v_mov_b32_e32 v15, v7
	v_mov_b32_e32 v14, v6
	;; [unrolled: 1-line block ×7, first 2 shown]
	ds_write_b64 v27, v[5:6]
	s_waitcnt lgkmcnt(0)
	; wave barrier
	s_and_saveexec_b64 s[6:7], s[2:3]
	s_cbranch_execz .LBB3_11
; %bb.5:
	s_and_b64 vcc, exec, s[10:11]
	s_cbranch_vccz .LBB3_8
; %bb.6:
	v_cmp_eq_u32_e32 vcc, 1, v0
	v_cndmask_b32_e32 v9, v2, v4, vcc
	v_cmp_eq_u32_e64 s[0:1], 2, v0
	v_cndmask_b32_e64 v11, v9, v6, s[0:1]
	ds_read_b64 v[9:10], v27
	v_cmp_eq_u32_e64 s[4:5], 3, v0
	v_cndmask_b32_e64 v12, v11, v8, s[4:5]
	v_cndmask_b32_e32 v11, v1, v3, vcc
	v_cndmask_b32_e64 v11, v11, v5, s[0:1]
	v_cndmask_b32_e64 v11, v11, v7, s[4:5]
	s_waitcnt lgkmcnt(0)
	v_mul_f64 v[9:10], v[11:12], v[9:10]
	s_cbranch_execz .LBB3_9
	s_branch .LBB3_10
.LBB3_7:
                                        ; implicit-def: $vgpr9_vgpr10_vgpr11_vgpr12_vgpr13_vgpr14_vgpr15_vgpr16
	s_cbranch_execnz .LBB3_34
	s_branch .LBB3_55
.LBB3_8:
                                        ; implicit-def: $vgpr9_vgpr10
.LBB3_9:
	ds_read_b64 v[9:10], v27
.LBB3_10:
	v_mov_b32_e32 v11, 0
	ds_read_b64 v[11:12], v11 offset:16
	s_waitcnt lgkmcnt(0)
	v_mul_f64 v[25:26], v[9:10], v[11:12]
	v_mov_b32_e32 v16, v8
	v_mov_b32_e32 v14, v6
	;; [unrolled: 1-line block ×10, first 2 shown]
.LBB3_11:
	s_or_b64 exec, exec, s[6:7]
	v_cmp_lt_u32_e64 s[0:1], 1, v0
	ds_write_b64 v27, v[11:12]
	s_waitcnt lgkmcnt(0)
	; wave barrier
	s_and_saveexec_b64 s[8:9], s[0:1]
	s_cbranch_execz .LBB3_17
; %bb.12:
	s_andn2_b64 vcc, exec, s[10:11]
	s_cbranch_vccnz .LBB3_14
; %bb.13:
	ds_read_b64 v[25:26], v27
	v_cmp_eq_u32_e32 vcc, 1, v0
	v_cndmask_b32_e32 v12, v10, v12, vcc
	v_cmp_eq_u32_e64 s[4:5], 2, v0
	v_cndmask_b32_e32 v11, v9, v11, vcc
	v_cndmask_b32_e64 v12, v12, v14, s[4:5]
	v_cmp_eq_u32_e64 s[6:7], 3, v0
	v_cndmask_b32_e64 v11, v11, v13, s[4:5]
	v_cndmask_b32_e64 v12, v12, v16, s[6:7]
	;; [unrolled: 1-line block ×3, first 2 shown]
	s_waitcnt lgkmcnt(0)
	v_mul_f64 v[11:12], v[11:12], v[25:26]
	s_cbranch_execz .LBB3_15
	s_branch .LBB3_16
.LBB3_14:
                                        ; implicit-def: $vgpr11_vgpr12
.LBB3_15:
	ds_read_b64 v[11:12], v27
.LBB3_16:
	v_mov_b32_e32 v25, 0
	ds_read2_b64 v[28:31], v25 offset0:1 offset1:6
	s_waitcnt lgkmcnt(0)
	v_fma_f64 v[25:26], v[13:14], v[30:31], v[11:12]
	v_cndmask_b32_e64 v12, v12, v26, s[2:3]
	v_cndmask_b32_e64 v11, v11, v25, s[2:3]
	v_mul_f64 v[11:12], v[11:12], v[28:29]
.LBB3_17:
	s_or_b64 exec, exec, s[8:9]
	v_cmp_ne_u32_e32 vcc, 0, v0
	ds_write_b64 v27, v[9:10]
	s_waitcnt lgkmcnt(0)
	; wave barrier
	s_and_saveexec_b64 s[6:7], vcc
	s_cbranch_execz .LBB3_33
; %bb.18:
	s_andn2_b64 vcc, exec, s[10:11]
	s_cbranch_vccnz .LBB3_20
; %bb.19:
	v_cmp_eq_u32_e32 vcc, 1, v0
	v_cndmask_b32_e32 v25, v10, v12, vcc
	v_cmp_eq_u32_e64 s[2:3], 2, v0
	v_cndmask_b32_e64 v28, v25, v14, s[2:3]
	ds_read_b64 v[25:26], v27
	v_cmp_eq_u32_e64 s[4:5], 3, v0
	v_cndmask_b32_e64 v29, v28, v16, s[4:5]
	v_cndmask_b32_e32 v28, v9, v11, vcc
	v_cndmask_b32_e64 v28, v28, v13, s[2:3]
	v_cndmask_b32_e64 v28, v28, v15, s[4:5]
	s_waitcnt lgkmcnt(0)
	v_mul_f64 v[25:26], v[28:29], v[25:26]
	s_cbranch_execz .LBB3_21
	s_branch .LBB3_22
.LBB3_20:
                                        ; implicit-def: $vgpr25_vgpr26
.LBB3_21:
	ds_read_b64 v[25:26], v27
.LBB3_22:
	s_and_saveexec_b64 s[4:5], s[0:1]
	s_cbranch_execz .LBB3_32
; %bb.23:
	v_add_u32_e32 v29, -2, v0
	v_add_u32_e32 v28, -1, v0
	v_cmp_lt_u32_e32 vcc, 6, v29
	v_mov_b32_e32 v30, 1
	s_and_saveexec_b64 s[8:9], vcc
	s_cbranch_execz .LBB3_27
; %bb.24:
	v_and_b32_e32 v29, -8, v28
	v_sub_u32_e32 v29, 0, v29
	s_mov_b64 s[12:13], 8
	s_mov_b32 s16, 40
	s_mov_b64 s[14:15], 0
.LBB3_25:                               ; =>This Inner Loop Header: Depth=1
	s_add_i32 s2, s12, -7
	s_cmp_eq_u32 s2, 1
	s_cselect_b64 vcc, -1, 0
	s_cmp_eq_u32 s2, 2
	v_cndmask_b32_e32 v30, v10, v12, vcc
	s_cselect_b64 s[0:1], -1, 0
	s_cmp_eq_u32 s2, 3
	v_cndmask_b32_e64 v30, v30, v14, s[0:1]
	s_cselect_b64 s[2:3], -1, 0
	v_cndmask_b32_e64 v35, v30, v16, s[2:3]
	v_cndmask_b32_e32 v30, v9, v11, vcc
	v_cndmask_b32_e64 v30, v30, v13, s[0:1]
	v_mov_b32_e32 v36, s16
	v_cndmask_b32_e64 v34, v30, v15, s[2:3]
	ds_read2_b64 v[30:33], v36 offset1:1
	s_add_i32 s2, s12, -6
	s_cmp_eq_u32 s2, 1
	s_cselect_b64 vcc, -1, 0
	s_cmp_eq_u32 s2, 2
	s_waitcnt lgkmcnt(0)
	v_fma_f64 v[25:26], v[34:35], v[30:31], v[25:26]
	v_cndmask_b32_e32 v30, v10, v12, vcc
	s_cselect_b64 s[0:1], -1, 0
	s_cmp_eq_u32 s2, 3
	v_cndmask_b32_e64 v30, v30, v14, s[0:1]
	s_cselect_b64 s[2:3], -1, 0
	v_cndmask_b32_e64 v31, v30, v16, s[2:3]
	v_cndmask_b32_e32 v30, v9, v11, vcc
	v_cndmask_b32_e64 v30, v30, v13, s[0:1]
	v_cndmask_b32_e64 v30, v30, v15, s[2:3]
	s_add_i32 s2, s12, -5
	s_cmp_eq_u32 s2, 1
	s_cselect_b64 vcc, -1, 0
	s_cmp_eq_u32 s2, 2
	v_fma_f64 v[25:26], v[30:31], v[32:33], v[25:26]
	v_cndmask_b32_e32 v30, v10, v12, vcc
	s_cselect_b64 s[0:1], -1, 0
	s_cmp_eq_u32 s2, 3
	v_cndmask_b32_e64 v30, v30, v14, s[0:1]
	s_cselect_b64 s[2:3], -1, 0
	v_cndmask_b32_e64 v35, v30, v16, s[2:3]
	v_cndmask_b32_e32 v30, v9, v11, vcc
	v_cndmask_b32_e64 v30, v30, v13, s[0:1]
	v_cndmask_b32_e64 v34, v30, v15, s[2:3]
	ds_read2_b64 v[30:33], v36 offset0:2 offset1:3
	s_add_i32 s2, s12, -4
	s_cmp_eq_u32 s2, 1
	s_cselect_b64 vcc, -1, 0
	s_cmp_eq_u32 s2, 2
	s_waitcnt lgkmcnt(0)
	v_fma_f64 v[25:26], v[34:35], v[30:31], v[25:26]
	v_cndmask_b32_e32 v30, v10, v12, vcc
	s_cselect_b64 s[0:1], -1, 0
	s_cmp_eq_u32 s2, 3
	v_cndmask_b32_e64 v30, v30, v14, s[0:1]
	s_cselect_b64 s[2:3], -1, 0
	v_cndmask_b32_e64 v31, v30, v16, s[2:3]
	v_cndmask_b32_e32 v30, v9, v11, vcc
	v_cndmask_b32_e64 v30, v30, v13, s[0:1]
	v_cndmask_b32_e64 v30, v30, v15, s[2:3]
	s_add_i32 s2, s12, -3
	s_cmp_eq_u32 s2, 1
	s_cselect_b64 vcc, -1, 0
	s_cmp_eq_u32 s2, 2
	v_fma_f64 v[25:26], v[30:31], v[32:33], v[25:26]
	v_cndmask_b32_e32 v30, v10, v12, vcc
	s_cselect_b64 s[0:1], -1, 0
	s_cmp_eq_u32 s2, 3
	v_cndmask_b32_e64 v30, v30, v14, s[0:1]
	s_cselect_b64 s[2:3], -1, 0
	v_cndmask_b32_e64 v35, v30, v16, s[2:3]
	v_cndmask_b32_e32 v30, v9, v11, vcc
	v_cndmask_b32_e64 v30, v30, v13, s[0:1]
	v_cndmask_b32_e64 v34, v30, v15, s[2:3]
	ds_read2_b64 v[30:33], v36 offset0:4 offset1:5
	;; [unrolled: 30-line block ×3, first 2 shown]
	s_cmp_eq_u32 s12, 1
	s_cselect_b64 vcc, -1, 0
	s_cmp_eq_u32 s12, 2
	s_cselect_b64 s[0:1], -1, 0
	s_waitcnt lgkmcnt(0)
	v_fma_f64 v[25:26], v[34:35], v[30:31], v[25:26]
	v_cndmask_b32_e32 v30, v10, v12, vcc
	s_cmp_eq_u32 s12, 3
	v_cndmask_b32_e64 v30, v30, v14, s[0:1]
	s_cselect_b64 s[2:3], -1, 0
	v_cndmask_b32_e64 v31, v30, v16, s[2:3]
	v_cndmask_b32_e32 v30, v9, v11, vcc
	v_cndmask_b32_e64 v30, v30, v13, s[0:1]
	v_cndmask_b32_e64 v30, v30, v15, s[2:3]
	v_fma_f64 v[25:26], v[30:31], v[32:33], v[25:26]
	s_add_u32 s12, s12, 8
	v_add_u32_e32 v30, s12, v29
	s_addc_u32 s13, s13, 0
	s_add_i32 s16, s16, 64
	v_cmp_eq_u32_e32 vcc, 8, v30
	s_add_i32 s0, s12, -7
	s_or_b64 s[14:15], vcc, s[14:15]
	v_mov_b32_e32 v30, s0
	s_andn2_b64 exec, exec, s[14:15]
	s_cbranch_execnz .LBB3_25
; %bb.26:
	s_or_b64 exec, exec, s[14:15]
.LBB3_27:
	s_or_b64 exec, exec, s[8:9]
	v_and_b32_e32 v28, 7, v28
	v_cmp_ne_u32_e32 vcc, 0, v28
	s_and_saveexec_b64 s[2:3], vcc
	s_cbranch_execz .LBB3_31
; %bb.28:
	v_lshl_add_u32 v29, v30, 3, 32
	v_mov_b32_e32 v31, 0
	s_mov_b64 s[8:9], 0
.LBB3_29:                               ; =>This Inner Loop Header: Depth=1
	v_cmp_eq_u32_e32 vcc, 1, v30
	ds_read_b64 v[32:33], v29
	v_cndmask_b32_e32 v34, v10, v12, vcc
	v_cmp_eq_u32_e64 s[0:1], 2, v30
	v_cndmask_b32_e64 v34, v34, v14, s[0:1]
	v_cndmask_b32_e32 v36, v9, v11, vcc
	v_cmp_eq_u32_e32 vcc, 3, v30
	v_cndmask_b32_e32 v35, v34, v16, vcc
	v_cndmask_b32_e64 v34, v36, v13, s[0:1]
	v_cndmask_b32_e32 v34, v34, v15, vcc
	s_waitcnt lgkmcnt(0)
	v_fma_f64 v[25:26], v[34:35], v[32:33], v[25:26]
	v_add_u32_e32 v28, -1, v28
	v_add_co_u32_e32 v30, vcc, 1, v30
	v_cmp_eq_u32_e64 s[0:1], 0, v28
	v_add_u32_e32 v29, 8, v29
	s_or_b64 s[8:9], s[0:1], s[8:9]
	v_addc_co_u32_e32 v31, vcc, 0, v31, vcc
	s_andn2_b64 exec, exec, s[8:9]
	s_cbranch_execnz .LBB3_29
; %bb.30:
	s_or_b64 exec, exec, s[8:9]
.LBB3_31:
	s_or_b64 exec, exec, s[2:3]
.LBB3_32:
	s_or_b64 exec, exec, s[4:5]
	v_mov_b32_e32 v9, 0
	ds_read_b64 v[9:10], v9
	s_waitcnt lgkmcnt(0)
	v_mul_f64 v[9:10], v[25:26], v[9:10]
.LBB3_33:
	s_or_b64 exec, exec, s[6:7]
	s_branch .LBB3_55
.LBB3_34:
	v_cmp_eq_u32_e64 s[0:1], 0, v0
	s_waitcnt vmcnt(2)
	ds_write_b64 v27, v[3:4]
	s_waitcnt lgkmcnt(0)
	; wave barrier
	s_and_saveexec_b64 s[6:7], s[0:1]
	s_cbranch_execz .LBB3_40
; %bb.35:
	s_and_b64 vcc, exec, s[10:11]
	s_cbranch_vccz .LBB3_37
; %bb.36:
	ds_read_b64 v[9:10], v27
	v_cmp_eq_u32_e32 vcc, 1, v0
	v_cndmask_b32_e32 v4, v2, v4, vcc
	v_cmp_eq_u32_e64 s[2:3], 2, v0
	v_cndmask_b32_e32 v3, v1, v3, vcc
	s_waitcnt vmcnt(1)
	v_cndmask_b32_e64 v4, v4, v6, s[2:3]
	v_cmp_eq_u32_e64 s[4:5], 3, v0
	v_cndmask_b32_e64 v3, v3, v5, s[2:3]
	s_waitcnt vmcnt(0)
	v_cndmask_b32_e64 v4, v4, v8, s[4:5]
	v_cndmask_b32_e64 v3, v3, v7, s[4:5]
	s_waitcnt lgkmcnt(0)
	v_mul_f64 v[3:4], v[3:4], v[9:10]
	s_cbranch_execz .LBB3_38
	s_branch .LBB3_39
.LBB3_37:
                                        ; implicit-def: $vgpr3_vgpr4
.LBB3_38:
	ds_read_b64 v[3:4], v27
.LBB3_39:
	v_mov_b32_e32 v9, 0
	ds_read_b64 v[9:10], v9 offset:8
	s_waitcnt lgkmcnt(0)
	v_mul_f64 v[3:4], v[3:4], v[9:10]
.LBB3_40:
	s_or_b64 exec, exec, s[6:7]
	v_cndmask_b32_e64 v9, 0, 1, s[10:11]
	v_cmp_gt_u32_e64 s[2:3], 2, v0
	v_cmp_ne_u32_e64 s[4:5], 1, v9
	s_waitcnt vmcnt(1)
	ds_write_b64 v27, v[5:6]
	s_waitcnt lgkmcnt(0)
	; wave barrier
	s_and_saveexec_b64 s[10:11], s[2:3]
	s_cbranch_execz .LBB3_46
; %bb.41:
	s_and_b64 vcc, exec, s[4:5]
	s_cbranch_vccnz .LBB3_43
; %bb.42:
	v_cmp_eq_u32_e32 vcc, 1, v0
	v_cndmask_b32_e32 v9, v2, v4, vcc
	v_cmp_eq_u32_e64 s[6:7], 2, v0
	v_cndmask_b32_e64 v6, v9, v6, s[6:7]
	ds_read_b64 v[9:10], v27
	v_cndmask_b32_e32 v11, v1, v3, vcc
	v_cmp_eq_u32_e64 s[8:9], 3, v0
	v_cndmask_b32_e64 v5, v11, v5, s[6:7]
	s_waitcnt vmcnt(0)
	v_cndmask_b32_e64 v6, v6, v8, s[8:9]
	v_cndmask_b32_e64 v5, v5, v7, s[8:9]
	s_waitcnt lgkmcnt(0)
	v_mul_f64 v[5:6], v[5:6], v[9:10]
	s_cbranch_execz .LBB3_44
	s_branch .LBB3_45
.LBB3_43:
                                        ; implicit-def: $vgpr5_vgpr6
.LBB3_44:
	ds_read_b64 v[5:6], v27
.LBB3_45:
	v_mov_b32_e32 v9, 0
	ds_read2_b64 v[9:12], v9 offset0:2 offset1:5
	s_waitcnt lgkmcnt(0)
	v_fma_f64 v[11:12], v[3:4], v[11:12], v[5:6]
	v_cndmask_b32_e64 v6, v6, v12, s[0:1]
	v_cndmask_b32_e64 v5, v5, v11, s[0:1]
	v_mul_f64 v[5:6], v[5:6], v[9:10]
.LBB3_46:
	s_or_b64 exec, exec, s[10:11]
	v_cmp_ne_u32_e32 vcc, 3, v0
	s_waitcnt vmcnt(0)
	ds_write_b64 v27, v[7:8]
	s_waitcnt lgkmcnt(0)
	; wave barrier
	s_and_saveexec_b64 s[8:9], vcc
	s_cbranch_execz .LBB3_54
; %bb.47:
	s_and_b64 vcc, exec, s[4:5]
	s_cbranch_vccnz .LBB3_49
; %bb.48:
	v_cmp_eq_u32_e32 vcc, 1, v0
	v_cndmask_b32_e32 v9, v2, v4, vcc
	v_cmp_eq_u32_e64 s[4:5], 2, v0
	v_cndmask_b32_e64 v11, v9, v6, s[4:5]
	ds_read_b64 v[9:10], v27
	v_cmp_eq_u32_e64 s[6:7], 3, v0
	v_cndmask_b32_e64 v12, v11, v8, s[6:7]
	v_cndmask_b32_e32 v11, v1, v3, vcc
	v_cndmask_b32_e64 v11, v11, v5, s[4:5]
	v_cndmask_b32_e64 v11, v11, v7, s[6:7]
	s_waitcnt lgkmcnt(0)
	v_mul_f64 v[9:10], v[11:12], v[9:10]
	s_cbranch_execz .LBB3_50
	s_branch .LBB3_51
.LBB3_49:
                                        ; implicit-def: $vgpr9_vgpr10
.LBB3_50:
	ds_read_b64 v[9:10], v27
.LBB3_51:
	s_and_saveexec_b64 s[6:7], s[2:3]
	s_cbranch_execz .LBB3_53
; %bb.52:
	v_add_u32_e32 v0, 1, v0
	v_cmp_eq_u32_e32 vcc, 1, v0
	v_cndmask_b32_e32 v11, v2, v4, vcc
	v_cmp_eq_u32_e64 s[2:3], 2, v0
	v_cndmask_b32_e64 v11, v11, v6, s[2:3]
	v_cmp_eq_u32_e64 s[4:5], 3, v0
	v_cndmask_b32_e64 v8, v11, v8, s[4:5]
	ds_read_b64 v[11:12], v27 offset:8
	v_cndmask_b32_e32 v0, v1, v3, vcc
	v_cndmask_b32_e64 v0, v0, v5, s[2:3]
	v_cndmask_b32_e64 v7, v0, v7, s[4:5]
	v_mov_b32_e32 v0, 0
	ds_read_b64 v[13:14], v0 offset:48
	s_waitcnt lgkmcnt(1)
	v_fma_f64 v[7:8], v[7:8], v[11:12], v[9:10]
	s_waitcnt lgkmcnt(0)
	v_fma_f64 v[9:10], v[5:6], v[13:14], v[7:8]
	v_cndmask_b32_e64 v10, v8, v10, s[0:1]
	v_cndmask_b32_e64 v9, v7, v9, s[0:1]
.LBB3_53:
	s_or_b64 exec, exec, s[6:7]
	v_mov_b32_e32 v0, 0
	ds_read_b64 v[7:8], v0 offset:24
	s_waitcnt lgkmcnt(0)
	v_mul_f64 v[7:8], v[9:10], v[7:8]
.LBB3_54:
	s_or_b64 exec, exec, s[8:9]
	v_mov_b32_e32 v16, v8
	v_mov_b32_e32 v15, v7
	;; [unrolled: 1-line block ×8, first 2 shown]
.LBB3_55:
	global_store_dwordx2 v[17:18], v[9:10], off
	global_store_dwordx2 v[19:20], v[11:12], off
	;; [unrolled: 1-line block ×4, first 2 shown]
.LBB3_56:
	s_endpgm
	.section	.rodata,"a",@progbits
	.p2align	6, 0x0
	.amdhsa_kernel _ZN9rocsolver6v33100L18trti2_kernel_smallILi4EdPdEEv13rocblas_fill_17rocblas_diagonal_T1_iil
		.amdhsa_group_segment_fixed_size 64
		.amdhsa_private_segment_fixed_size 0
		.amdhsa_kernarg_size 32
		.amdhsa_user_sgpr_count 6
		.amdhsa_user_sgpr_private_segment_buffer 1
		.amdhsa_user_sgpr_dispatch_ptr 0
		.amdhsa_user_sgpr_queue_ptr 0
		.amdhsa_user_sgpr_kernarg_segment_ptr 1
		.amdhsa_user_sgpr_dispatch_id 0
		.amdhsa_user_sgpr_flat_scratch_init 0
		.amdhsa_user_sgpr_private_segment_size 0
		.amdhsa_uses_dynamic_stack 0
		.amdhsa_system_sgpr_private_segment_wavefront_offset 0
		.amdhsa_system_sgpr_workgroup_id_x 1
		.amdhsa_system_sgpr_workgroup_id_y 0
		.amdhsa_system_sgpr_workgroup_id_z 0
		.amdhsa_system_sgpr_workgroup_info 0
		.amdhsa_system_vgpr_workitem_id 0
		.amdhsa_next_free_vgpr 37
		.amdhsa_next_free_sgpr 17
		.amdhsa_reserve_vcc 1
		.amdhsa_reserve_flat_scratch 0
		.amdhsa_float_round_mode_32 0
		.amdhsa_float_round_mode_16_64 0
		.amdhsa_float_denorm_mode_32 3
		.amdhsa_float_denorm_mode_16_64 3
		.amdhsa_dx10_clamp 1
		.amdhsa_ieee_mode 1
		.amdhsa_fp16_overflow 0
		.amdhsa_exception_fp_ieee_invalid_op 0
		.amdhsa_exception_fp_denorm_src 0
		.amdhsa_exception_fp_ieee_div_zero 0
		.amdhsa_exception_fp_ieee_overflow 0
		.amdhsa_exception_fp_ieee_underflow 0
		.amdhsa_exception_fp_ieee_inexact 0
		.amdhsa_exception_int_div_zero 0
	.end_amdhsa_kernel
	.section	.text._ZN9rocsolver6v33100L18trti2_kernel_smallILi4EdPdEEv13rocblas_fill_17rocblas_diagonal_T1_iil,"axG",@progbits,_ZN9rocsolver6v33100L18trti2_kernel_smallILi4EdPdEEv13rocblas_fill_17rocblas_diagonal_T1_iil,comdat
.Lfunc_end3:
	.size	_ZN9rocsolver6v33100L18trti2_kernel_smallILi4EdPdEEv13rocblas_fill_17rocblas_diagonal_T1_iil, .Lfunc_end3-_ZN9rocsolver6v33100L18trti2_kernel_smallILi4EdPdEEv13rocblas_fill_17rocblas_diagonal_T1_iil
                                        ; -- End function
	.set _ZN9rocsolver6v33100L18trti2_kernel_smallILi4EdPdEEv13rocblas_fill_17rocblas_diagonal_T1_iil.num_vgpr, 37
	.set _ZN9rocsolver6v33100L18trti2_kernel_smallILi4EdPdEEv13rocblas_fill_17rocblas_diagonal_T1_iil.num_agpr, 0
	.set _ZN9rocsolver6v33100L18trti2_kernel_smallILi4EdPdEEv13rocblas_fill_17rocblas_diagonal_T1_iil.numbered_sgpr, 17
	.set _ZN9rocsolver6v33100L18trti2_kernel_smallILi4EdPdEEv13rocblas_fill_17rocblas_diagonal_T1_iil.num_named_barrier, 0
	.set _ZN9rocsolver6v33100L18trti2_kernel_smallILi4EdPdEEv13rocblas_fill_17rocblas_diagonal_T1_iil.private_seg_size, 0
	.set _ZN9rocsolver6v33100L18trti2_kernel_smallILi4EdPdEEv13rocblas_fill_17rocblas_diagonal_T1_iil.uses_vcc, 1
	.set _ZN9rocsolver6v33100L18trti2_kernel_smallILi4EdPdEEv13rocblas_fill_17rocblas_diagonal_T1_iil.uses_flat_scratch, 0
	.set _ZN9rocsolver6v33100L18trti2_kernel_smallILi4EdPdEEv13rocblas_fill_17rocblas_diagonal_T1_iil.has_dyn_sized_stack, 0
	.set _ZN9rocsolver6v33100L18trti2_kernel_smallILi4EdPdEEv13rocblas_fill_17rocblas_diagonal_T1_iil.has_recursion, 0
	.set _ZN9rocsolver6v33100L18trti2_kernel_smallILi4EdPdEEv13rocblas_fill_17rocblas_diagonal_T1_iil.has_indirect_call, 0
	.section	.AMDGPU.csdata,"",@progbits
; Kernel info:
; codeLenInByte = 2736
; TotalNumSgprs: 21
; NumVgprs: 37
; ScratchSize: 0
; MemoryBound: 0
; FloatMode: 240
; IeeeMode: 1
; LDSByteSize: 64 bytes/workgroup (compile time only)
; SGPRBlocks: 2
; VGPRBlocks: 9
; NumSGPRsForWavesPerEU: 21
; NumVGPRsForWavesPerEU: 37
; Occupancy: 6
; WaveLimiterHint : 0
; COMPUTE_PGM_RSRC2:SCRATCH_EN: 0
; COMPUTE_PGM_RSRC2:USER_SGPR: 6
; COMPUTE_PGM_RSRC2:TRAP_HANDLER: 0
; COMPUTE_PGM_RSRC2:TGID_X_EN: 1
; COMPUTE_PGM_RSRC2:TGID_Y_EN: 0
; COMPUTE_PGM_RSRC2:TGID_Z_EN: 0
; COMPUTE_PGM_RSRC2:TIDIG_COMP_CNT: 0
	.section	.text._ZN9rocsolver6v33100L18trti2_kernel_smallILi5EdPdEEv13rocblas_fill_17rocblas_diagonal_T1_iil,"axG",@progbits,_ZN9rocsolver6v33100L18trti2_kernel_smallILi5EdPdEEv13rocblas_fill_17rocblas_diagonal_T1_iil,comdat
	.globl	_ZN9rocsolver6v33100L18trti2_kernel_smallILi5EdPdEEv13rocblas_fill_17rocblas_diagonal_T1_iil ; -- Begin function _ZN9rocsolver6v33100L18trti2_kernel_smallILi5EdPdEEv13rocblas_fill_17rocblas_diagonal_T1_iil
	.p2align	8
	.type	_ZN9rocsolver6v33100L18trti2_kernel_smallILi5EdPdEEv13rocblas_fill_17rocblas_diagonal_T1_iil,@function
_ZN9rocsolver6v33100L18trti2_kernel_smallILi5EdPdEEv13rocblas_fill_17rocblas_diagonal_T1_iil: ; @_ZN9rocsolver6v33100L18trti2_kernel_smallILi5EdPdEEv13rocblas_fill_17rocblas_diagonal_T1_iil
; %bb.0:
	v_cmp_gt_u32_e32 vcc, 5, v0
	s_and_saveexec_b64 s[0:1], vcc
	s_cbranch_execz .LBB4_82
; %bb.1:
	s_load_dwordx8 s[8:15], s[4:5], 0x0
	s_ashr_i32 s2, s6, 31
	v_lshlrev_b32_e32 v13, 3, v0
	v_mov_b32_e32 v11, 0
	v_mov_b32_e32 v12, 0xbff00000
	s_waitcnt lgkmcnt(0)
	s_mul_hi_u32 s3, s14, s6
	s_mul_i32 s2, s14, s2
	s_add_i32 s2, s3, s2
	s_mul_i32 s3, s15, s6
	s_add_i32 s3, s2, s3
	s_mul_i32 s2, s14, s6
	s_ashr_i32 s1, s12, 31
	s_lshl_b64 s[2:3], s[2:3], 3
	s_mov_b32 s0, s12
	s_add_u32 s2, s10, s2
	s_addc_u32 s3, s11, s3
	s_lshl_b64 s[0:1], s[0:1], 3
	s_add_u32 s0, s2, s0
	s_addc_u32 s1, s3, s1
	v_mov_b32_e32 v1, s1
	v_add_co_u32_e32 v27, vcc, s0, v13
	s_ashr_i32 s3, s13, 31
	s_mov_b32 s2, s13
	v_addc_co_u32_e32 v28, vcc, 0, v1, vcc
	s_lshl_b64 s[2:3], s[2:3], 3
	v_mov_b32_e32 v1, s3
	v_add_co_u32_e32 v29, vcc, s2, v27
	s_add_i32 s2, s13, s13
	v_addc_co_u32_e32 v30, vcc, v28, v1, vcc
	v_add_u32_e32 v1, s2, v0
	v_ashrrev_i32_e32 v2, 31, v1
	v_lshlrev_b64 v[2:3], 3, v[1:2]
	v_add_u32_e32 v1, s13, v1
	v_mov_b32_e32 v4, s1
	v_add_co_u32_e32 v31, vcc, s0, v2
	v_ashrrev_i32_e32 v2, 31, v1
	v_addc_co_u32_e32 v32, vcc, v4, v3, vcc
	v_lshlrev_b64 v[2:3], 3, v[1:2]
	v_add_u32_e32 v1, s13, v1
	v_add_co_u32_e32 v33, vcc, s0, v2
	v_ashrrev_i32_e32 v2, 31, v1
	v_lshlrev_b64 v[1:2], 3, v[1:2]
	v_addc_co_u32_e32 v34, vcc, v4, v3, vcc
	v_mov_b32_e32 v3, s1
	v_add_co_u32_e32 v35, vcc, s0, v1
	v_addc_co_u32_e32 v36, vcc, v3, v2, vcc
	global_load_dwordx2 v[1:2], v13, s[0:1]
	global_load_dwordx2 v[3:4], v[29:30], off
	global_load_dwordx2 v[5:6], v[31:32], off
	;; [unrolled: 1-line block ×4, first 2 shown]
	s_cmpk_lg_i32 s9, 0x84
	s_cselect_b64 s[10:11], -1, 0
	s_cmpk_eq_i32 s9, 0x84
	v_mov_b32_e32 v37, 0
	s_cbranch_scc1 .LBB4_3
; %bb.2:
	v_cmp_eq_u32_e64 s[0:1], 1, v0
	s_waitcnt vmcnt(3)
	v_cndmask_b32_e64 v11, v2, v4, s[0:1]
	v_cmp_eq_u32_e64 s[2:3], 2, v0
	s_waitcnt vmcnt(2)
	v_cndmask_b32_e64 v11, v11, v6, s[2:3]
	;; [unrolled: 3-line block ×4, first 2 shown]
	v_cndmask_b32_e64 v11, v1, v3, s[0:1]
	v_cndmask_b32_e64 v11, v11, v5, s[2:3]
	;; [unrolled: 1-line block ×4, first 2 shown]
	v_div_scale_f64 v[14:15], s[12:13], v[11:12], v[11:12], 1.0
	v_rcp_f64_e32 v[16:17], v[14:15]
	v_fma_f64 v[18:19], -v[14:15], v[16:17], 1.0
	v_fma_f64 v[16:17], v[16:17], v[18:19], v[16:17]
	v_div_scale_f64 v[18:19], vcc, 1.0, v[11:12], 1.0
	v_fma_f64 v[20:21], -v[14:15], v[16:17], 1.0
	v_fma_f64 v[16:17], v[16:17], v[20:21], v[16:17]
	v_mul_f64 v[20:21], v[18:19], v[16:17]
	v_fma_f64 v[14:15], -v[14:15], v[20:21], v[18:19]
	v_div_fmas_f64 v[14:15], v[14:15], v[16:17], v[20:21]
	v_cmp_eq_u32_e32 vcc, 0, v0
	v_div_fixup_f64 v[11:12], v[14:15], v[11:12], 1.0
	v_cndmask_b32_e64 v10, v10, v12, s[6:7]
	v_cndmask_b32_e64 v9, v9, v11, s[6:7]
	;; [unrolled: 1-line block ×8, first 2 shown]
	v_cndmask_b32_e32 v2, v2, v12, vcc
	v_cndmask_b32_e32 v1, v1, v11, vcc
	v_xor_b32_e32 v12, 0x80000000, v12
.LBB4_3:
	s_cmpk_eq_i32 s8, 0x79
	v_add_u32_e32 v38, 48, v13
	ds_write_b64 v13, v[11:12]
	s_cbranch_scc1 .LBB4_7
; %bb.4:
	s_waitcnt vmcnt(0)
	v_mov_b32_e32 v26, v16
	v_mov_b32_e32 v25, v15
	;; [unrolled: 1-line block ×16, first 2 shown]
	v_cmp_eq_u32_e64 s[0:1], 4, v0
	ds_write_b64 v38, v[7:8]
	s_waitcnt lgkmcnt(0)
	; wave barrier
	s_and_saveexec_b64 s[8:9], s[0:1]
	s_cbranch_execz .LBB4_11
; %bb.5:
	s_and_b64 vcc, exec, s[10:11]
	s_cbranch_vccz .LBB4_8
; %bb.6:
	v_cmp_eq_u32_e32 vcc, 1, v0
	v_cndmask_b32_e32 v11, v2, v4, vcc
	v_cmp_eq_u32_e64 s[2:3], 2, v0
	v_cndmask_b32_e64 v11, v11, v6, s[2:3]
	v_cmp_eq_u32_e64 s[4:5], 3, v0
	v_cndmask_b32_e64 v11, v11, v8, s[4:5]
	v_cmp_eq_u32_e64 s[6:7], 4, v0
	ds_read_b64 v[13:14], v38
	v_cndmask_b32_e64 v12, v11, v10, s[6:7]
	v_cndmask_b32_e32 v11, v1, v3, vcc
	v_cndmask_b32_e64 v11, v11, v5, s[2:3]
	v_cndmask_b32_e64 v11, v11, v7, s[4:5]
	;; [unrolled: 1-line block ×3, first 2 shown]
	s_waitcnt lgkmcnt(0)
	v_mul_f64 v[11:12], v[11:12], v[13:14]
	s_cbranch_execz .LBB4_9
	s_branch .LBB4_10
.LBB4_7:
                                        ; implicit-def: $vgpr11_vgpr12_vgpr13_vgpr14_vgpr15_vgpr16_vgpr17_vgpr18_vgpr19_vgpr20_vgpr21_vgpr22_vgpr23_vgpr24_vgpr25_vgpr26
	s_cbranch_execnz .LBB4_50
	s_branch .LBB4_81
.LBB4_8:
                                        ; implicit-def: $vgpr11_vgpr12
.LBB4_9:
	ds_read_b64 v[11:12], v38
.LBB4_10:
	v_mov_b32_e32 v13, 0
	ds_read_b64 v[13:14], v13 offset:24
	v_mov_b32_e32 v15, v5
	v_mov_b32_e32 v16, v6
	;; [unrolled: 1-line block ×4, first 2 shown]
	s_waitcnt lgkmcnt(0)
	v_mul_f64 v[17:18], v[11:12], v[13:14]
	v_mov_b32_e32 v11, v1
	v_mov_b32_e32 v12, v2
	v_mov_b32_e32 v13, v3
	v_mov_b32_e32 v14, v4
.LBB4_11:
	s_or_b64 exec, exec, s[8:9]
	v_cmp_lt_u32_e64 s[2:3], 2, v0
	ds_write_b64 v38, v[15:16]
	s_waitcnt lgkmcnt(0)
	; wave barrier
	s_and_saveexec_b64 s[12:13], s[2:3]
	s_cbranch_execz .LBB4_17
; %bb.12:
	s_andn2_b64 vcc, exec, s[10:11]
	s_cbranch_vccnz .LBB4_14
; %bb.13:
	v_cmp_eq_u32_e32 vcc, 1, v0
	v_cndmask_b32_e32 v21, v12, v14, vcc
	v_cmp_eq_u32_e64 s[4:5], 2, v0
	v_cndmask_b32_e64 v16, v21, v16, s[4:5]
	ds_read_b64 v[21:22], v38
	v_cndmask_b32_e32 v23, v11, v13, vcc
	v_cmp_eq_u32_e64 s[6:7], 3, v0
	v_cndmask_b32_e64 v15, v23, v15, s[4:5]
	v_cndmask_b32_e64 v16, v16, v18, s[6:7]
	v_cmp_eq_u32_e64 s[8:9], 4, v0
	v_cndmask_b32_e64 v15, v15, v17, s[6:7]
	v_cndmask_b32_e64 v16, v16, v20, s[8:9]
	;; [unrolled: 1-line block ×3, first 2 shown]
	s_waitcnt lgkmcnt(0)
	v_mul_f64 v[15:16], v[15:16], v[21:22]
	s_cbranch_execz .LBB4_15
	s_branch .LBB4_16
.LBB4_14:
                                        ; implicit-def: $vgpr15_vgpr16
.LBB4_15:
	ds_read_b64 v[15:16], v38
.LBB4_16:
	v_mov_b32_e32 v21, 0
	ds_read2_b64 v[21:24], v21 offset0:2 offset1:9
	s_waitcnt lgkmcnt(0)
	v_fma_f64 v[23:24], v[17:18], v[23:24], v[15:16]
	v_cndmask_b32_e64 v16, v16, v24, s[0:1]
	v_cndmask_b32_e64 v15, v15, v23, s[0:1]
	v_mul_f64 v[15:16], v[15:16], v[21:22]
.LBB4_17:
	s_or_b64 exec, exec, s[12:13]
	v_cmp_lt_u32_e64 s[0:1], 1, v0
	ds_write_b64 v38, v[13:14]
	s_waitcnt lgkmcnt(0)
	; wave barrier
	s_and_saveexec_b64 s[12:13], s[0:1]
	s_cbranch_execz .LBB4_33
; %bb.18:
	s_andn2_b64 vcc, exec, s[10:11]
	s_cbranch_vccnz .LBB4_20
; %bb.19:
	v_cmp_eq_u32_e32 vcc, 1, v0
	v_cndmask_b32_e32 v21, v12, v14, vcc
	v_cmp_eq_u32_e64 s[4:5], 2, v0
	v_cndmask_b32_e64 v21, v21, v16, s[4:5]
	v_cmp_eq_u32_e64 s[6:7], 3, v0
	v_cndmask_b32_e64 v21, v21, v18, s[6:7]
	v_cmp_eq_u32_e64 s[8:9], 4, v0
	ds_read_b64 v[23:24], v38
	v_cndmask_b32_e64 v22, v21, v20, s[8:9]
	v_cndmask_b32_e32 v21, v11, v13, vcc
	v_cndmask_b32_e64 v21, v21, v15, s[4:5]
	v_cndmask_b32_e64 v21, v21, v17, s[6:7]
	;; [unrolled: 1-line block ×3, first 2 shown]
	s_waitcnt lgkmcnt(0)
	v_mul_f64 v[21:22], v[21:22], v[23:24]
	s_cbranch_execz .LBB4_21
	s_branch .LBB4_22
.LBB4_20:
                                        ; implicit-def: $vgpr21_vgpr22
.LBB4_21:
	ds_read_b64 v[21:22], v38
.LBB4_22:
	s_and_saveexec_b64 s[4:5], s[2:3]
	s_cbranch_execz .LBB4_32
; %bb.23:
	v_add_u32_e32 v24, -3, v0
	v_add_u32_e32 v23, -2, v0
	v_cmp_lt_u32_e32 vcc, 6, v24
	v_mov_b32_e32 v25, 2
	s_and_saveexec_b64 s[6:7], vcc
	s_cbranch_execz .LBB4_27
; %bb.24:
	v_and_b32_e32 v24, -8, v23
	v_sub_u32_e32 v24, 0, v24
	s_mov_b64 s[8:9], 9
	s_mov_b32 s16, 64
	s_mov_b64 s[14:15], 0
.LBB4_25:                               ; =>This Inner Loop Header: Depth=1
	s_add_i32 s17, s8, -7
	s_cmp_eq_u32 s17, 1
	v_mov_b32_e32 v25, s16
	s_cselect_b64 vcc, -1, 0
	s_cmp_eq_u32 s17, 2
	ds_read_b128 v[39:42], v25
	ds_read_b128 v[43:46], v25 offset:16
	ds_read_b128 v[47:50], v25 offset:32
	;; [unrolled: 1-line block ×3, first 2 shown]
	v_cndmask_b32_e32 v25, v12, v14, vcc
	s_cselect_b64 s[2:3], -1, 0
	s_cmp_eq_u32 s17, 3
	v_cndmask_b32_e32 v26, v11, v13, vcc
	v_cndmask_b32_e64 v25, v25, v16, s[2:3]
	s_cselect_b64 vcc, -1, 0
	s_cmp_eq_u32 s17, 4
	v_cndmask_b32_e64 v26, v26, v15, s[2:3]
	v_cndmask_b32_e32 v25, v25, v18, vcc
	s_cselect_b64 s[2:3], -1, 0
	v_cndmask_b32_e32 v55, v26, v17, vcc
	v_cndmask_b32_e64 v26, v25, v20, s[2:3]
	v_cndmask_b32_e64 v25, v55, v19, s[2:3]
	s_waitcnt lgkmcnt(3)
	v_fma_f64 v[21:22], v[25:26], v[39:40], v[21:22]
	s_add_i32 s17, s8, -6
	s_cmp_eq_u32 s17, 1
	s_cselect_b64 vcc, -1, 0
	s_cmp_eq_u32 s17, 2
	v_cndmask_b32_e32 v25, v12, v14, vcc
	s_cselect_b64 s[2:3], -1, 0
	s_cmp_eq_u32 s17, 3
	v_cndmask_b32_e32 v26, v11, v13, vcc
	v_cndmask_b32_e64 v25, v25, v16, s[2:3]
	s_cselect_b64 vcc, -1, 0
	s_cmp_eq_u32 s17, 4
	v_cndmask_b32_e64 v26, v26, v15, s[2:3]
	v_cndmask_b32_e32 v25, v25, v18, vcc
	v_cndmask_b32_e32 v39, v26, v17, vcc
	s_cselect_b64 vcc, -1, 0
	v_cndmask_b32_e32 v26, v25, v20, vcc
	v_cndmask_b32_e32 v25, v39, v19, vcc
	v_fma_f64 v[21:22], v[25:26], v[41:42], v[21:22]
	s_add_i32 s17, s8, -5
	s_cmp_eq_u32 s17, 1
	s_cselect_b64 vcc, -1, 0
	s_cmp_eq_u32 s17, 2
	v_cndmask_b32_e32 v39, v12, v14, vcc
	s_cselect_b64 s[2:3], -1, 0
	s_cmp_eq_u32 s17, 3
	v_cndmask_b32_e32 v40, v11, v13, vcc
	v_cndmask_b32_e64 v39, v39, v16, s[2:3]
	s_cselect_b64 vcc, -1, 0
	s_cmp_eq_u32 s17, 4
	v_cndmask_b32_e64 v40, v40, v15, s[2:3]
	v_cndmask_b32_e32 v39, v39, v18, vcc
	s_cselect_b64 s[2:3], -1, 0
	v_cndmask_b32_e32 v25, v40, v17, vcc
	v_cndmask_b32_e64 v26, v39, v20, s[2:3]
	v_cndmask_b32_e64 v25, v25, v19, s[2:3]
	s_waitcnt lgkmcnt(2)
	v_fma_f64 v[21:22], v[25:26], v[43:44], v[21:22]
	s_add_i32 s17, s8, -4
	s_cmp_eq_u32 s17, 1
	s_cselect_b64 vcc, -1, 0
	s_cmp_eq_u32 s17, 2
	v_cndmask_b32_e32 v39, v12, v14, vcc
	s_cselect_b64 s[2:3], -1, 0
	s_cmp_eq_u32 s17, 3
	v_cndmask_b32_e32 v40, v11, v13, vcc
	v_cndmask_b32_e64 v39, v39, v16, s[2:3]
	s_cselect_b64 vcc, -1, 0
	s_cmp_eq_u32 s17, 4
	v_cndmask_b32_e64 v40, v40, v15, s[2:3]
	v_cndmask_b32_e32 v39, v39, v18, vcc
	s_cselect_b64 s[2:3], -1, 0
	v_cndmask_b32_e32 v41, v40, v17, vcc
	v_cndmask_b32_e64 v40, v39, v20, s[2:3]
	v_cndmask_b32_e64 v39, v41, v19, s[2:3]
	v_fma_f64 v[21:22], v[39:40], v[45:46], v[21:22]
	s_add_i32 s17, s8, -3
	s_cmp_eq_u32 s17, 1
	s_cselect_b64 vcc, -1, 0
	s_cmp_eq_u32 s17, 2
	v_cndmask_b32_e32 v41, v12, v14, vcc
	s_cselect_b64 s[2:3], -1, 0
	s_cmp_eq_u32 s17, 3
	v_cndmask_b32_e32 v25, v11, v13, vcc
	v_cndmask_b32_e64 v26, v41, v16, s[2:3]
	s_cselect_b64 vcc, -1, 0
	s_cmp_eq_u32 s17, 4
	v_cndmask_b32_e64 v25, v25, v15, s[2:3]
	v_cndmask_b32_e32 v26, v26, v18, vcc
	s_cselect_b64 s[2:3], -1, 0
	v_cndmask_b32_e32 v25, v25, v17, vcc
	v_cndmask_b32_e64 v26, v26, v20, s[2:3]
	v_cndmask_b32_e64 v25, v25, v19, s[2:3]
	s_waitcnt lgkmcnt(1)
	v_fma_f64 v[21:22], v[25:26], v[47:48], v[21:22]
	s_add_i32 s17, s8, -2
	s_cmp_eq_u32 s17, 1
	s_cselect_b64 vcc, -1, 0
	s_cmp_eq_u32 s17, 2
	v_cndmask_b32_e32 v41, v12, v14, vcc
	s_cselect_b64 s[2:3], -1, 0
	s_cmp_eq_u32 s17, 3
	v_cndmask_b32_e32 v42, v11, v13, vcc
	v_cndmask_b32_e64 v41, v41, v16, s[2:3]
	s_cselect_b64 vcc, -1, 0
	s_cmp_eq_u32 s17, 4
	v_cndmask_b32_e64 v42, v42, v15, s[2:3]
	v_cndmask_b32_e32 v41, v41, v18, vcc
	s_cselect_b64 s[2:3], -1, 0
	v_cndmask_b32_e32 v42, v42, v17, vcc
	v_cndmask_b32_e64 v41, v41, v20, s[2:3]
	v_cndmask_b32_e64 v40, v42, v19, s[2:3]
	v_fma_f64 v[21:22], v[40:41], v[49:50], v[21:22]
	s_add_i32 s17, s8, -1
	s_cmp_eq_u32 s17, 1
	s_cselect_b64 vcc, -1, 0
	s_cmp_eq_u32 s17, 2
	v_cndmask_b32_e32 v39, v12, v14, vcc
	s_cselect_b64 s[2:3], -1, 0
	s_cmp_eq_u32 s17, 3
	v_cndmask_b32_e32 v42, v11, v13, vcc
	v_cndmask_b32_e64 v39, v39, v16, s[2:3]
	s_cselect_b64 vcc, -1, 0
	s_cmp_eq_u32 s17, 4
	v_cndmask_b32_e64 v42, v42, v15, s[2:3]
	v_cndmask_b32_e32 v39, v39, v18, vcc
	s_cselect_b64 s[2:3], -1, 0
	v_cndmask_b32_e32 v25, v42, v17, vcc
	v_cndmask_b32_e64 v26, v39, v20, s[2:3]
	v_cndmask_b32_e64 v25, v25, v19, s[2:3]
	s_waitcnt lgkmcnt(0)
	v_fma_f64 v[21:22], v[25:26], v[51:52], v[21:22]
	s_cmp_eq_u32 s8, 1
	s_cselect_b64 vcc, -1, 0
	s_cmp_eq_u32 s8, 2
	v_cndmask_b32_e32 v39, v12, v14, vcc
	s_cselect_b64 s[2:3], -1, 0
	s_cmp_eq_u32 s8, 3
	v_cndmask_b32_e32 v40, v11, v13, vcc
	v_cndmask_b32_e64 v39, v39, v16, s[2:3]
	s_cselect_b64 vcc, -1, 0
	s_cmp_eq_u32 s8, 4
	v_cndmask_b32_e64 v25, v40, v15, s[2:3]
	v_cndmask_b32_e32 v26, v39, v18, vcc
	s_cselect_b64 s[2:3], -1, 0
	v_cndmask_b32_e32 v25, v25, v17, vcc
	v_cndmask_b32_e64 v26, v26, v20, s[2:3]
	v_cndmask_b32_e64 v25, v25, v19, s[2:3]
	v_fma_f64 v[21:22], v[25:26], v[53:54], v[21:22]
	s_add_u32 s8, s8, 8
	v_add_u32_e32 v25, s8, v24
	s_addc_u32 s9, s9, 0
	s_add_i32 s16, s16, 64
	s_add_i32 s2, s8, -7
	v_cmp_eq_u32_e32 vcc, 9, v25
	s_or_b64 s[14:15], vcc, s[14:15]
	v_mov_b32_e32 v25, s2
	s_andn2_b64 exec, exec, s[14:15]
	s_cbranch_execnz .LBB4_25
; %bb.26:
	s_or_b64 exec, exec, s[14:15]
.LBB4_27:
	s_or_b64 exec, exec, s[6:7]
	v_and_b32_e32 v23, 7, v23
	v_cmp_ne_u32_e32 vcc, 0, v23
	s_and_saveexec_b64 s[6:7], vcc
	s_cbranch_execz .LBB4_31
; %bb.28:
	v_lshl_add_u32 v24, v25, 3, 48
	v_mov_b32_e32 v26, 0
	s_mov_b64 s[8:9], 0
.LBB4_29:                               ; =>This Inner Loop Header: Depth=1
	v_cmp_eq_u32_e32 vcc, 1, v25
	v_cndmask_b32_e32 v41, v12, v14, vcc
	ds_read_b64 v[39:40], v24
	v_cmp_eq_u32_e64 s[2:3], 2, v25
	v_cndmask_b32_e64 v41, v41, v16, s[2:3]
	v_cndmask_b32_e32 v42, v11, v13, vcc
	v_cmp_eq_u32_e32 vcc, 3, v25
	v_cndmask_b32_e32 v41, v41, v18, vcc
	v_cndmask_b32_e64 v43, v42, v15, s[2:3]
	v_cmp_eq_u32_e64 s[2:3], 4, v25
	v_cndmask_b32_e64 v42, v41, v20, s[2:3]
	v_cndmask_b32_e32 v41, v43, v17, vcc
	v_cndmask_b32_e64 v41, v41, v19, s[2:3]
	s_waitcnt lgkmcnt(0)
	v_fma_f64 v[21:22], v[41:42], v[39:40], v[21:22]
	v_add_u32_e32 v23, -1, v23
	v_cmp_eq_u32_e32 vcc, 0, v23
	s_or_b64 s[8:9], vcc, s[8:9]
	v_add_co_u32_e32 v25, vcc, 1, v25
	v_add_u32_e32 v24, 8, v24
	v_addc_co_u32_e32 v26, vcc, 0, v26, vcc
	s_andn2_b64 exec, exec, s[8:9]
	s_cbranch_execnz .LBB4_29
; %bb.30:
	s_or_b64 exec, exec, s[8:9]
.LBB4_31:
	s_or_b64 exec, exec, s[6:7]
.LBB4_32:
	s_or_b64 exec, exec, s[4:5]
	v_mov_b32_e32 v13, 0
	ds_read_b64 v[13:14], v13 offset:8
	s_waitcnt lgkmcnt(0)
	v_mul_f64 v[13:14], v[21:22], v[13:14]
.LBB4_33:
	s_or_b64 exec, exec, s[12:13]
	v_cmp_ne_u32_e32 vcc, 0, v0
	ds_write_b64 v38, v[11:12]
	s_waitcnt lgkmcnt(0)
	; wave barrier
	s_and_saveexec_b64 s[8:9], vcc
	s_cbranch_execz .LBB4_49
; %bb.34:
	s_andn2_b64 vcc, exec, s[10:11]
	s_cbranch_vccnz .LBB4_36
; %bb.35:
	v_cmp_eq_u32_e32 vcc, 1, v0
	v_cndmask_b32_e32 v21, v12, v14, vcc
	v_cmp_eq_u32_e64 s[2:3], 2, v0
	v_cndmask_b32_e64 v21, v21, v16, s[2:3]
	v_cmp_eq_u32_e64 s[4:5], 3, v0
	v_cndmask_b32_e64 v21, v21, v18, s[4:5]
	v_cmp_eq_u32_e64 s[6:7], 4, v0
	ds_read_b64 v[23:24], v38
	v_cndmask_b32_e64 v22, v21, v20, s[6:7]
	v_cndmask_b32_e32 v21, v11, v13, vcc
	v_cndmask_b32_e64 v21, v21, v15, s[2:3]
	v_cndmask_b32_e64 v21, v21, v17, s[4:5]
	;; [unrolled: 1-line block ×3, first 2 shown]
	s_waitcnt lgkmcnt(0)
	v_mul_f64 v[21:22], v[21:22], v[23:24]
	s_cbranch_execz .LBB4_37
	s_branch .LBB4_38
.LBB4_36:
                                        ; implicit-def: $vgpr21_vgpr22
.LBB4_37:
	ds_read_b64 v[21:22], v38
.LBB4_38:
	s_and_saveexec_b64 s[2:3], s[0:1]
	s_cbranch_execz .LBB4_48
; %bb.39:
	v_add_u32_e32 v24, -2, v0
	v_add_u32_e32 v23, -1, v0
	v_cmp_lt_u32_e32 vcc, 6, v24
	v_mov_b32_e32 v25, 1
	s_and_saveexec_b64 s[4:5], vcc
	s_cbranch_execz .LBB4_43
; %bb.40:
	v_and_b32_e32 v24, -8, v23
	v_sub_u32_e32 v24, 0, v24
	s_mov_b64 s[6:7], 8
	s_mov_b32 s14, 56
	s_mov_b64 s[12:13], 0
.LBB4_41:                               ; =>This Inner Loop Header: Depth=1
	s_add_i32 s15, s6, -7
	s_cmp_eq_u32 s15, 1
	v_mov_b32_e32 v25, s14
	s_cselect_b64 vcc, -1, 0
	s_cmp_eq_u32 s15, 2
	ds_read2_b64 v[39:42], v25 offset1:1
	ds_read2_b64 v[43:46], v25 offset0:2 offset1:3
	ds_read2_b64 v[47:50], v25 offset0:4 offset1:5
	;; [unrolled: 1-line block ×3, first 2 shown]
	v_cndmask_b32_e32 v25, v12, v14, vcc
	s_cselect_b64 s[0:1], -1, 0
	s_cmp_eq_u32 s15, 3
	v_cndmask_b32_e64 v25, v25, v16, s[0:1]
	v_cndmask_b32_e32 v26, v11, v13, vcc
	s_cselect_b64 vcc, -1, 0
	s_cmp_eq_u32 s15, 4
	v_cndmask_b32_e32 v25, v25, v18, vcc
	v_cndmask_b32_e64 v55, v26, v15, s[0:1]
	s_cselect_b64 s[0:1], -1, 0
	v_cndmask_b32_e64 v26, v25, v20, s[0:1]
	v_cndmask_b32_e32 v25, v55, v17, vcc
	v_cndmask_b32_e64 v25, v25, v19, s[0:1]
	s_add_i32 s15, s6, -6
	s_waitcnt lgkmcnt(3)
	v_fma_f64 v[21:22], v[25:26], v[39:40], v[21:22]
	s_cmp_eq_u32 s15, 1
	s_cselect_b64 vcc, -1, 0
	s_cmp_eq_u32 s15, 2
	v_cndmask_b32_e32 v25, v12, v14, vcc
	s_cselect_b64 s[0:1], -1, 0
	s_cmp_eq_u32 s15, 3
	v_cndmask_b32_e64 v25, v25, v16, s[0:1]
	v_cndmask_b32_e32 v26, v11, v13, vcc
	s_cselect_b64 vcc, -1, 0
	s_cmp_eq_u32 s15, 4
	v_cndmask_b32_e32 v25, v25, v18, vcc
	v_cndmask_b32_e64 v39, v26, v15, s[0:1]
	s_cselect_b64 s[0:1], -1, 0
	v_cndmask_b32_e64 v26, v25, v20, s[0:1]
	v_cndmask_b32_e32 v25, v39, v17, vcc
	v_cndmask_b32_e64 v25, v25, v19, s[0:1]
	v_fma_f64 v[21:22], v[25:26], v[41:42], v[21:22]
	s_add_i32 s15, s6, -5
	s_cmp_eq_u32 s15, 1
	s_cselect_b64 vcc, -1, 0
	s_cmp_eq_u32 s15, 2
	v_cndmask_b32_e32 v39, v12, v14, vcc
	s_cselect_b64 s[0:1], -1, 0
	s_cmp_eq_u32 s15, 3
	v_cndmask_b32_e32 v40, v11, v13, vcc
	v_cndmask_b32_e64 v39, v39, v16, s[0:1]
	s_cselect_b64 vcc, -1, 0
	s_cmp_eq_u32 s15, 4
	v_cndmask_b32_e64 v40, v40, v15, s[0:1]
	v_cndmask_b32_e32 v39, v39, v18, vcc
	s_cselect_b64 s[0:1], -1, 0
	v_cndmask_b32_e32 v25, v40, v17, vcc
	v_cndmask_b32_e64 v26, v39, v20, s[0:1]
	v_cndmask_b32_e64 v25, v25, v19, s[0:1]
	s_add_i32 s15, s6, -4
	s_waitcnt lgkmcnt(2)
	v_fma_f64 v[21:22], v[25:26], v[43:44], v[21:22]
	s_cmp_eq_u32 s15, 1
	s_cselect_b64 vcc, -1, 0
	s_cmp_eq_u32 s15, 2
	v_cndmask_b32_e32 v39, v12, v14, vcc
	s_cselect_b64 s[0:1], -1, 0
	s_cmp_eq_u32 s15, 3
	v_cndmask_b32_e64 v39, v39, v16, s[0:1]
	v_cndmask_b32_e32 v40, v11, v13, vcc
	s_cselect_b64 vcc, -1, 0
	s_cmp_eq_u32 s15, 4
	v_cndmask_b32_e32 v39, v39, v18, vcc
	v_cndmask_b32_e64 v41, v40, v15, s[0:1]
	s_cselect_b64 s[0:1], -1, 0
	v_cndmask_b32_e64 v40, v39, v20, s[0:1]
	v_cndmask_b32_e32 v39, v41, v17, vcc
	v_cndmask_b32_e64 v39, v39, v19, s[0:1]
	s_add_i32 s15, s6, -3
	v_fma_f64 v[21:22], v[39:40], v[45:46], v[21:22]
	s_cmp_eq_u32 s15, 1
	s_cselect_b64 vcc, -1, 0
	s_cmp_eq_u32 s15, 2
	v_cndmask_b32_e32 v41, v12, v14, vcc
	s_cselect_b64 s[0:1], -1, 0
	s_cmp_eq_u32 s15, 3
	v_cndmask_b32_e64 v25, v41, v16, s[0:1]
	v_cndmask_b32_e32 v26, v11, v13, vcc
	s_cselect_b64 vcc, -1, 0
	s_cmp_eq_u32 s15, 4
	v_cndmask_b32_e32 v25, v25, v18, vcc
	v_cndmask_b32_e64 v41, v26, v15, s[0:1]
	s_cselect_b64 s[0:1], -1, 0
	v_cndmask_b32_e64 v26, v25, v20, s[0:1]
	v_cndmask_b32_e32 v25, v41, v17, vcc
	v_cndmask_b32_e64 v25, v25, v19, s[0:1]
	s_waitcnt lgkmcnt(1)
	v_fma_f64 v[21:22], v[25:26], v[47:48], v[21:22]
	s_add_i32 s15, s6, -2
	s_cmp_eq_u32 s15, 1
	s_cselect_b64 vcc, -1, 0
	s_cmp_eq_u32 s15, 2
	v_cndmask_b32_e32 v41, v12, v14, vcc
	s_cselect_b64 s[0:1], -1, 0
	s_cmp_eq_u32 s15, 3
	v_cndmask_b32_e32 v42, v11, v13, vcc
	v_cndmask_b32_e64 v41, v41, v16, s[0:1]
	s_cselect_b64 vcc, -1, 0
	s_cmp_eq_u32 s15, 4
	v_cndmask_b32_e64 v42, v42, v15, s[0:1]
	v_cndmask_b32_e32 v41, v41, v18, vcc
	s_cselect_b64 s[0:1], -1, 0
	v_cndmask_b32_e32 v42, v42, v17, vcc
	v_cndmask_b32_e64 v41, v41, v20, s[0:1]
	v_cndmask_b32_e64 v40, v42, v19, s[0:1]
	v_fma_f64 v[21:22], v[40:41], v[49:50], v[21:22]
	s_add_i32 s15, s6, -1
	s_cmp_eq_u32 s15, 1
	s_cselect_b64 vcc, -1, 0
	s_cmp_eq_u32 s15, 2
	v_cndmask_b32_e32 v39, v12, v14, vcc
	s_cselect_b64 s[0:1], -1, 0
	s_cmp_eq_u32 s15, 3
	v_cndmask_b32_e32 v42, v11, v13, vcc
	v_cndmask_b32_e64 v39, v39, v16, s[0:1]
	s_cselect_b64 vcc, -1, 0
	s_cmp_eq_u32 s15, 4
	v_cndmask_b32_e64 v42, v42, v15, s[0:1]
	v_cndmask_b32_e32 v39, v39, v18, vcc
	s_cselect_b64 s[0:1], -1, 0
	v_cndmask_b32_e32 v25, v42, v17, vcc
	v_cndmask_b32_e64 v26, v39, v20, s[0:1]
	v_cndmask_b32_e64 v25, v25, v19, s[0:1]
	s_waitcnt lgkmcnt(0)
	v_fma_f64 v[21:22], v[25:26], v[51:52], v[21:22]
	s_cmp_eq_u32 s6, 1
	s_cselect_b64 vcc, -1, 0
	s_cmp_eq_u32 s6, 2
	v_cndmask_b32_e32 v39, v12, v14, vcc
	s_cselect_b64 s[0:1], -1, 0
	s_cmp_eq_u32 s6, 3
	v_cndmask_b32_e32 v40, v11, v13, vcc
	v_cndmask_b32_e64 v39, v39, v16, s[0:1]
	s_cselect_b64 vcc, -1, 0
	s_cmp_eq_u32 s6, 4
	v_cndmask_b32_e64 v25, v40, v15, s[0:1]
	v_cndmask_b32_e32 v39, v39, v18, vcc
	s_cselect_b64 s[0:1], -1, 0
	v_cndmask_b32_e32 v25, v25, v17, vcc
	v_cndmask_b32_e64 v26, v39, v20, s[0:1]
	v_cndmask_b32_e64 v25, v25, v19, s[0:1]
	v_fma_f64 v[21:22], v[25:26], v[53:54], v[21:22]
	s_add_u32 s6, s6, 8
	v_add_u32_e32 v25, s6, v24
	s_addc_u32 s7, s7, 0
	s_add_i32 s14, s14, 64
	s_add_i32 s0, s6, -7
	v_cmp_eq_u32_e32 vcc, 8, v25
	s_or_b64 s[12:13], vcc, s[12:13]
	v_mov_b32_e32 v25, s0
	s_andn2_b64 exec, exec, s[12:13]
	s_cbranch_execnz .LBB4_41
; %bb.42:
	s_or_b64 exec, exec, s[12:13]
.LBB4_43:
	s_or_b64 exec, exec, s[4:5]
	v_and_b32_e32 v23, 7, v23
	v_cmp_ne_u32_e32 vcc, 0, v23
	s_and_saveexec_b64 s[4:5], vcc
	s_cbranch_execz .LBB4_47
; %bb.44:
	v_lshl_add_u32 v24, v25, 3, 48
	v_mov_b32_e32 v26, 0
	s_mov_b64 s[6:7], 0
.LBB4_45:                               ; =>This Inner Loop Header: Depth=1
	v_cmp_eq_u32_e32 vcc, 1, v25
	v_cndmask_b32_e32 v41, v12, v14, vcc
	ds_read_b64 v[39:40], v24
	v_cmp_eq_u32_e64 s[0:1], 2, v25
	v_cndmask_b32_e64 v41, v41, v16, s[0:1]
	v_cndmask_b32_e32 v42, v11, v13, vcc
	v_cmp_eq_u32_e32 vcc, 3, v25
	v_cndmask_b32_e32 v41, v41, v18, vcc
	v_cndmask_b32_e64 v43, v42, v15, s[0:1]
	v_cmp_eq_u32_e64 s[0:1], 4, v25
	v_cndmask_b32_e64 v42, v41, v20, s[0:1]
	v_cndmask_b32_e32 v41, v43, v17, vcc
	v_cndmask_b32_e64 v41, v41, v19, s[0:1]
	s_waitcnt lgkmcnt(0)
	v_fma_f64 v[21:22], v[41:42], v[39:40], v[21:22]
	v_add_u32_e32 v23, -1, v23
	v_cmp_eq_u32_e32 vcc, 0, v23
	s_or_b64 s[6:7], vcc, s[6:7]
	v_add_co_u32_e32 v25, vcc, 1, v25
	v_add_u32_e32 v24, 8, v24
	v_addc_co_u32_e32 v26, vcc, 0, v26, vcc
	s_andn2_b64 exec, exec, s[6:7]
	s_cbranch_execnz .LBB4_45
; %bb.46:
	s_or_b64 exec, exec, s[6:7]
.LBB4_47:
	s_or_b64 exec, exec, s[4:5]
.LBB4_48:
	s_or_b64 exec, exec, s[2:3]
	v_mov_b32_e32 v11, 0
	ds_read_b64 v[11:12], v11
	s_waitcnt lgkmcnt(0)
	v_mul_f64 v[11:12], v[21:22], v[11:12]
.LBB4_49:
	s_or_b64 exec, exec, s[8:9]
	s_branch .LBB4_81
.LBB4_50:
	v_cmp_eq_u32_e64 s[0:1], 0, v0
	s_waitcnt vmcnt(3)
	ds_write_b64 v38, v[3:4]
	s_waitcnt lgkmcnt(0)
	; wave barrier
	s_and_saveexec_b64 s[8:9], s[0:1]
	s_cbranch_execz .LBB4_56
; %bb.51:
	s_and_b64 vcc, exec, s[10:11]
	s_cbranch_vccz .LBB4_53
; %bb.52:
	v_cmp_eq_u32_e32 vcc, 1, v0
	ds_read_b64 v[11:12], v38
	v_cndmask_b32_e32 v4, v2, v4, vcc
	v_cmp_eq_u32_e64 s[2:3], 2, v0
	v_cndmask_b32_e32 v3, v1, v3, vcc
	s_waitcnt vmcnt(2)
	v_cndmask_b32_e64 v4, v4, v6, s[2:3]
	v_cmp_eq_u32_e64 s[4:5], 3, v0
	v_cndmask_b32_e64 v3, v3, v5, s[2:3]
	s_waitcnt vmcnt(1)
	v_cndmask_b32_e64 v4, v4, v8, s[4:5]
	v_cmp_eq_u32_e64 s[6:7], 4, v0
	v_cndmask_b32_e64 v3, v3, v7, s[4:5]
	s_waitcnt vmcnt(0)
	v_cndmask_b32_e64 v4, v4, v10, s[6:7]
	v_cndmask_b32_e64 v3, v3, v9, s[6:7]
	s_waitcnt lgkmcnt(0)
	v_mul_f64 v[3:4], v[3:4], v[11:12]
	s_cbranch_execz .LBB4_54
	s_branch .LBB4_55
.LBB4_53:
                                        ; implicit-def: $vgpr3_vgpr4
.LBB4_54:
	ds_read_b64 v[3:4], v38
.LBB4_55:
	v_mov_b32_e32 v11, 0
	ds_read_b64 v[11:12], v11 offset:8
	s_waitcnt lgkmcnt(0)
	v_mul_f64 v[3:4], v[3:4], v[11:12]
.LBB4_56:
	s_or_b64 exec, exec, s[8:9]
	v_cndmask_b32_e64 v11, 0, 1, s[10:11]
	v_cmp_gt_u32_e32 vcc, 2, v0
	v_cmp_ne_u32_e64 s[2:3], 1, v11
	s_waitcnt vmcnt(2)
	ds_write_b64 v38, v[5:6]
	s_waitcnt lgkmcnt(0)
	; wave barrier
	s_and_saveexec_b64 s[10:11], vcc
	s_cbranch_execz .LBB4_62
; %bb.57:
	s_and_b64 vcc, exec, s[2:3]
	s_cbranch_vccnz .LBB4_59
; %bb.58:
	v_cmp_eq_u32_e32 vcc, 1, v0
	v_cndmask_b32_e32 v11, v2, v4, vcc
	v_cmp_eq_u32_e64 s[4:5], 2, v0
	v_cndmask_b32_e64 v6, v11, v6, s[4:5]
	ds_read_b64 v[11:12], v38
	v_cndmask_b32_e32 v13, v1, v3, vcc
	v_cmp_eq_u32_e64 s[6:7], 3, v0
	v_cndmask_b32_e64 v5, v13, v5, s[4:5]
	s_waitcnt vmcnt(1)
	v_cndmask_b32_e64 v6, v6, v8, s[6:7]
	v_cmp_eq_u32_e64 s[8:9], 4, v0
	v_cndmask_b32_e64 v5, v5, v7, s[6:7]
	s_waitcnt vmcnt(0)
	v_cndmask_b32_e64 v6, v6, v10, s[8:9]
	v_cndmask_b32_e64 v5, v5, v9, s[8:9]
	s_waitcnt lgkmcnt(0)
	v_mul_f64 v[5:6], v[5:6], v[11:12]
	s_cbranch_execz .LBB4_60
	s_branch .LBB4_61
.LBB4_59:
                                        ; implicit-def: $vgpr5_vgpr6
.LBB4_60:
	ds_read_b64 v[5:6], v38
.LBB4_61:
	v_mov_b32_e32 v11, 0
	ds_read2_b64 v[11:14], v11 offset0:2 offset1:7
	s_waitcnt lgkmcnt(0)
	v_fma_f64 v[13:14], v[3:4], v[13:14], v[5:6]
	v_cndmask_b32_e64 v6, v6, v14, s[0:1]
	v_cndmask_b32_e64 v5, v5, v13, s[0:1]
	v_mul_f64 v[5:6], v[5:6], v[11:12]
.LBB4_62:
	s_or_b64 exec, exec, s[10:11]
	v_cmp_gt_u32_e64 s[4:5], 3, v0
	s_waitcnt vmcnt(1)
	ds_write_b64 v38, v[7:8]
	s_waitcnt lgkmcnt(0)
	; wave barrier
	s_and_saveexec_b64 s[12:13], s[4:5]
	s_cbranch_execz .LBB4_70
; %bb.63:
	s_and_b64 vcc, exec, s[2:3]
	s_cbranch_vccnz .LBB4_65
; %bb.64:
	v_cmp_eq_u32_e32 vcc, 1, v0
	v_cndmask_b32_e32 v11, v2, v4, vcc
	v_cmp_eq_u32_e64 s[6:7], 2, v0
	v_cndmask_b32_e64 v11, v11, v6, s[6:7]
	v_cmp_eq_u32_e64 s[8:9], 3, v0
	v_cndmask_b32_e64 v11, v11, v8, s[8:9]
	v_cmp_eq_u32_e64 s[10:11], 4, v0
	ds_read_b64 v[13:14], v38
	s_waitcnt vmcnt(0)
	v_cndmask_b32_e64 v12, v11, v10, s[10:11]
	v_cndmask_b32_e32 v11, v1, v3, vcc
	v_cndmask_b32_e64 v11, v11, v5, s[6:7]
	v_cndmask_b32_e64 v11, v11, v7, s[8:9]
	;; [unrolled: 1-line block ×3, first 2 shown]
	s_waitcnt lgkmcnt(0)
	v_mul_f64 v[11:12], v[11:12], v[13:14]
	s_cbranch_execz .LBB4_66
	s_branch .LBB4_67
.LBB4_65:
                                        ; implicit-def: $vgpr11_vgpr12
.LBB4_66:
	ds_read_b64 v[11:12], v38
.LBB4_67:
	v_cmp_ne_u32_e32 vcc, 2, v0
	s_and_saveexec_b64 s[14:15], vcc
	s_cbranch_execz .LBB4_69
; %bb.68:
	v_add_u32_e32 v13, 1, v0
	v_cmp_eq_u32_e32 vcc, 1, v13
	v_cndmask_b32_e32 v14, v2, v4, vcc
	v_cmp_eq_u32_e64 s[6:7], 2, v13
	v_cndmask_b32_e64 v14, v14, v6, s[6:7]
	v_cmp_eq_u32_e64 s[8:9], 3, v13
	v_cmp_eq_u32_e64 s[10:11], 4, v13
	v_cndmask_b32_e32 v13, v1, v3, vcc
	v_cndmask_b32_e64 v8, v14, v8, s[8:9]
	v_cndmask_b32_e64 v15, v13, v5, s[6:7]
	ds_read_b64 v[13:14], v38 offset:8
	v_cndmask_b32_e64 v7, v15, v7, s[8:9]
	s_waitcnt vmcnt(0)
	v_cndmask_b32_e64 v8, v8, v10, s[10:11]
	v_cndmask_b32_e64 v7, v7, v9, s[10:11]
	v_mov_b32_e32 v15, 0
	ds_read_b64 v[15:16], v15 offset:64
	s_waitcnt lgkmcnt(1)
	v_fma_f64 v[7:8], v[7:8], v[13:14], v[11:12]
	s_waitcnt lgkmcnt(0)
	v_fma_f64 v[11:12], v[5:6], v[15:16], v[7:8]
	v_cndmask_b32_e64 v12, v8, v12, s[0:1]
	v_cndmask_b32_e64 v11, v7, v11, s[0:1]
.LBB4_69:
	s_or_b64 exec, exec, s[14:15]
	v_mov_b32_e32 v7, 0
	ds_read_b64 v[7:8], v7 offset:24
	s_waitcnt lgkmcnt(0)
	v_mul_f64 v[7:8], v[11:12], v[7:8]
.LBB4_70:
	s_or_b64 exec, exec, s[12:13]
	v_cmp_ne_u32_e32 vcc, 4, v0
	s_waitcnt vmcnt(0)
	ds_write_b64 v38, v[9:10]
	s_waitcnt lgkmcnt(0)
	; wave barrier
	s_and_saveexec_b64 s[8:9], vcc
	s_cbranch_execz .LBB4_80
; %bb.71:
	s_and_b64 vcc, exec, s[2:3]
	s_cbranch_vccnz .LBB4_73
; %bb.72:
	v_cmp_eq_u32_e32 vcc, 1, v0
	v_cndmask_b32_e32 v11, v2, v4, vcc
	v_cmp_eq_u32_e64 s[0:1], 2, v0
	v_cndmask_b32_e64 v11, v11, v6, s[0:1]
	v_cmp_eq_u32_e64 s[2:3], 3, v0
	v_cndmask_b32_e64 v11, v11, v8, s[2:3]
	v_cmp_eq_u32_e64 s[6:7], 4, v0
	ds_read_b64 v[13:14], v38
	v_cndmask_b32_e64 v12, v11, v10, s[6:7]
	v_cndmask_b32_e32 v11, v1, v3, vcc
	v_cndmask_b32_e64 v11, v11, v5, s[0:1]
	v_cndmask_b32_e64 v11, v11, v7, s[2:3]
	;; [unrolled: 1-line block ×3, first 2 shown]
	s_waitcnt lgkmcnt(0)
	v_mul_f64 v[11:12], v[11:12], v[13:14]
	s_cbranch_execz .LBB4_74
	s_branch .LBB4_75
.LBB4_73:
                                        ; implicit-def: $vgpr11_vgpr12
.LBB4_74:
	ds_read_b64 v[11:12], v38
.LBB4_75:
	s_and_saveexec_b64 s[2:3], s[4:5]
	s_cbranch_execz .LBB4_79
; %bb.76:
	v_lshl_add_u32 v13, v0, 3, 56
	s_mov_b64 s[4:5], 0
.LBB4_77:                               ; =>This Inner Loop Header: Depth=1
	v_add_co_u32_e32 v0, vcc, 1, v0
	v_addc_co_u32_e32 v37, vcc, 0, v37, vcc
	v_cmp_eq_u32_e32 vcc, 1, v0
	ds_read_b64 v[14:15], v13
	v_cndmask_b32_e32 v16, v2, v4, vcc
	v_cmp_eq_u32_e64 s[0:1], 2, v0
	v_cndmask_b32_e64 v16, v16, v6, s[0:1]
	v_cndmask_b32_e32 v17, v1, v3, vcc
	v_cmp_eq_u32_e32 vcc, 3, v0
	v_cndmask_b32_e32 v16, v16, v8, vcc
	v_cndmask_b32_e64 v18, v17, v5, s[0:1]
	v_cmp_eq_u32_e64 s[0:1], 4, v0
	v_cndmask_b32_e64 v17, v16, v10, s[0:1]
	v_cndmask_b32_e32 v16, v18, v7, vcc
	v_cndmask_b32_e64 v16, v16, v9, s[0:1]
	s_waitcnt lgkmcnt(0)
	v_fma_f64 v[11:12], v[16:17], v[14:15], v[11:12]
	v_cmp_lt_u32_e32 vcc, 2, v0
	s_or_b64 s[4:5], vcc, s[4:5]
	v_add_u32_e32 v13, 8, v13
	s_andn2_b64 exec, exec, s[4:5]
	s_cbranch_execnz .LBB4_77
; %bb.78:
	s_or_b64 exec, exec, s[4:5]
.LBB4_79:
	s_or_b64 exec, exec, s[2:3]
	v_mov_b32_e32 v0, 0
	ds_read_b64 v[9:10], v0 offset:32
	s_waitcnt lgkmcnt(0)
	v_mul_f64 v[9:10], v[11:12], v[9:10]
.LBB4_80:
	s_or_b64 exec, exec, s[8:9]
	v_mov_b32_e32 v26, v16
	v_mov_b32_e32 v25, v15
	;; [unrolled: 1-line block ×16, first 2 shown]
.LBB4_81:
	global_store_dwordx2 v[27:28], v[11:12], off
	global_store_dwordx2 v[29:30], v[13:14], off
	;; [unrolled: 1-line block ×5, first 2 shown]
.LBB4_82:
	s_endpgm
	.section	.rodata,"a",@progbits
	.p2align	6, 0x0
	.amdhsa_kernel _ZN9rocsolver6v33100L18trti2_kernel_smallILi5EdPdEEv13rocblas_fill_17rocblas_diagonal_T1_iil
		.amdhsa_group_segment_fixed_size 88
		.amdhsa_private_segment_fixed_size 0
		.amdhsa_kernarg_size 32
		.amdhsa_user_sgpr_count 6
		.amdhsa_user_sgpr_private_segment_buffer 1
		.amdhsa_user_sgpr_dispatch_ptr 0
		.amdhsa_user_sgpr_queue_ptr 0
		.amdhsa_user_sgpr_kernarg_segment_ptr 1
		.amdhsa_user_sgpr_dispatch_id 0
		.amdhsa_user_sgpr_flat_scratch_init 0
		.amdhsa_user_sgpr_private_segment_size 0
		.amdhsa_uses_dynamic_stack 0
		.amdhsa_system_sgpr_private_segment_wavefront_offset 0
		.amdhsa_system_sgpr_workgroup_id_x 1
		.amdhsa_system_sgpr_workgroup_id_y 0
		.amdhsa_system_sgpr_workgroup_id_z 0
		.amdhsa_system_sgpr_workgroup_info 0
		.amdhsa_system_vgpr_workitem_id 0
		.amdhsa_next_free_vgpr 56
		.amdhsa_next_free_sgpr 18
		.amdhsa_reserve_vcc 1
		.amdhsa_reserve_flat_scratch 0
		.amdhsa_float_round_mode_32 0
		.amdhsa_float_round_mode_16_64 0
		.amdhsa_float_denorm_mode_32 3
		.amdhsa_float_denorm_mode_16_64 3
		.amdhsa_dx10_clamp 1
		.amdhsa_ieee_mode 1
		.amdhsa_fp16_overflow 0
		.amdhsa_exception_fp_ieee_invalid_op 0
		.amdhsa_exception_fp_denorm_src 0
		.amdhsa_exception_fp_ieee_div_zero 0
		.amdhsa_exception_fp_ieee_overflow 0
		.amdhsa_exception_fp_ieee_underflow 0
		.amdhsa_exception_fp_ieee_inexact 0
		.amdhsa_exception_int_div_zero 0
	.end_amdhsa_kernel
	.section	.text._ZN9rocsolver6v33100L18trti2_kernel_smallILi5EdPdEEv13rocblas_fill_17rocblas_diagonal_T1_iil,"axG",@progbits,_ZN9rocsolver6v33100L18trti2_kernel_smallILi5EdPdEEv13rocblas_fill_17rocblas_diagonal_T1_iil,comdat
.Lfunc_end4:
	.size	_ZN9rocsolver6v33100L18trti2_kernel_smallILi5EdPdEEv13rocblas_fill_17rocblas_diagonal_T1_iil, .Lfunc_end4-_ZN9rocsolver6v33100L18trti2_kernel_smallILi5EdPdEEv13rocblas_fill_17rocblas_diagonal_T1_iil
                                        ; -- End function
	.set _ZN9rocsolver6v33100L18trti2_kernel_smallILi5EdPdEEv13rocblas_fill_17rocblas_diagonal_T1_iil.num_vgpr, 56
	.set _ZN9rocsolver6v33100L18trti2_kernel_smallILi5EdPdEEv13rocblas_fill_17rocblas_diagonal_T1_iil.num_agpr, 0
	.set _ZN9rocsolver6v33100L18trti2_kernel_smallILi5EdPdEEv13rocblas_fill_17rocblas_diagonal_T1_iil.numbered_sgpr, 18
	.set _ZN9rocsolver6v33100L18trti2_kernel_smallILi5EdPdEEv13rocblas_fill_17rocblas_diagonal_T1_iil.num_named_barrier, 0
	.set _ZN9rocsolver6v33100L18trti2_kernel_smallILi5EdPdEEv13rocblas_fill_17rocblas_diagonal_T1_iil.private_seg_size, 0
	.set _ZN9rocsolver6v33100L18trti2_kernel_smallILi5EdPdEEv13rocblas_fill_17rocblas_diagonal_T1_iil.uses_vcc, 1
	.set _ZN9rocsolver6v33100L18trti2_kernel_smallILi5EdPdEEv13rocblas_fill_17rocblas_diagonal_T1_iil.uses_flat_scratch, 0
	.set _ZN9rocsolver6v33100L18trti2_kernel_smallILi5EdPdEEv13rocblas_fill_17rocblas_diagonal_T1_iil.has_dyn_sized_stack, 0
	.set _ZN9rocsolver6v33100L18trti2_kernel_smallILi5EdPdEEv13rocblas_fill_17rocblas_diagonal_T1_iil.has_recursion, 0
	.set _ZN9rocsolver6v33100L18trti2_kernel_smallILi5EdPdEEv13rocblas_fill_17rocblas_diagonal_T1_iil.has_indirect_call, 0
	.section	.AMDGPU.csdata,"",@progbits
; Kernel info:
; codeLenInByte = 4776
; TotalNumSgprs: 22
; NumVgprs: 56
; ScratchSize: 0
; MemoryBound: 0
; FloatMode: 240
; IeeeMode: 1
; LDSByteSize: 88 bytes/workgroup (compile time only)
; SGPRBlocks: 2
; VGPRBlocks: 13
; NumSGPRsForWavesPerEU: 22
; NumVGPRsForWavesPerEU: 56
; Occupancy: 4
; WaveLimiterHint : 0
; COMPUTE_PGM_RSRC2:SCRATCH_EN: 0
; COMPUTE_PGM_RSRC2:USER_SGPR: 6
; COMPUTE_PGM_RSRC2:TRAP_HANDLER: 0
; COMPUTE_PGM_RSRC2:TGID_X_EN: 1
; COMPUTE_PGM_RSRC2:TGID_Y_EN: 0
; COMPUTE_PGM_RSRC2:TGID_Z_EN: 0
; COMPUTE_PGM_RSRC2:TIDIG_COMP_CNT: 0
	.section	.text._ZN9rocsolver6v33100L18trti2_kernel_smallILi6EdPdEEv13rocblas_fill_17rocblas_diagonal_T1_iil,"axG",@progbits,_ZN9rocsolver6v33100L18trti2_kernel_smallILi6EdPdEEv13rocblas_fill_17rocblas_diagonal_T1_iil,comdat
	.globl	_ZN9rocsolver6v33100L18trti2_kernel_smallILi6EdPdEEv13rocblas_fill_17rocblas_diagonal_T1_iil ; -- Begin function _ZN9rocsolver6v33100L18trti2_kernel_smallILi6EdPdEEv13rocblas_fill_17rocblas_diagonal_T1_iil
	.p2align	8
	.type	_ZN9rocsolver6v33100L18trti2_kernel_smallILi6EdPdEEv13rocblas_fill_17rocblas_diagonal_T1_iil,@function
_ZN9rocsolver6v33100L18trti2_kernel_smallILi6EdPdEEv13rocblas_fill_17rocblas_diagonal_T1_iil: ; @_ZN9rocsolver6v33100L18trti2_kernel_smallILi6EdPdEEv13rocblas_fill_17rocblas_diagonal_T1_iil
; %bb.0:
	v_cmp_gt_u32_e32 vcc, 6, v0
	s_and_saveexec_b64 s[0:1], vcc
	s_cbranch_execz .LBB5_108
; %bb.1:
	s_load_dwordx8 s[12:19], s[4:5], 0x0
	s_ashr_i32 s2, s6, 31
	v_lshlrev_b32_e32 v16, 3, v0
	v_mov_b32_e32 v14, 0
	v_mov_b32_e32 v15, 0xbff00000
	s_waitcnt lgkmcnt(0)
	s_mul_hi_u32 s3, s18, s6
	s_mul_i32 s2, s18, s2
	s_add_i32 s2, s3, s2
	s_mul_i32 s3, s19, s6
	s_add_i32 s3, s2, s3
	s_mul_i32 s2, s18, s6
	s_ashr_i32 s1, s16, 31
	s_lshl_b64 s[2:3], s[2:3], 3
	s_mov_b32 s0, s16
	s_add_u32 s2, s14, s2
	s_addc_u32 s3, s15, s3
	s_lshl_b64 s[0:1], s[0:1], 3
	s_add_u32 s0, s2, s0
	s_addc_u32 s1, s3, s1
	v_mov_b32_e32 v1, s1
	v_add_co_u32_e32 v30, vcc, s0, v16
	s_ashr_i32 s3, s17, 31
	s_mov_b32 s2, s17
	v_addc_co_u32_e32 v31, vcc, 0, v1, vcc
	s_lshl_b64 s[2:3], s[2:3], 3
	v_mov_b32_e32 v1, s3
	v_add_co_u32_e32 v32, vcc, s2, v30
	s_add_i32 s2, s17, s17
	v_addc_co_u32_e32 v33, vcc, v31, v1, vcc
	v_add_u32_e32 v1, s2, v0
	v_ashrrev_i32_e32 v2, 31, v1
	v_lshlrev_b64 v[2:3], 3, v[1:2]
	v_add_u32_e32 v1, s17, v1
	v_mov_b32_e32 v4, s1
	v_add_co_u32_e32 v34, vcc, s0, v2
	v_ashrrev_i32_e32 v2, 31, v1
	v_addc_co_u32_e32 v35, vcc, v4, v3, vcc
	v_lshlrev_b64 v[2:3], 3, v[1:2]
	v_add_u32_e32 v1, s17, v1
	v_add_co_u32_e32 v36, vcc, s0, v2
	v_ashrrev_i32_e32 v2, 31, v1
	v_addc_co_u32_e32 v37, vcc, v4, v3, vcc
	v_lshlrev_b64 v[2:3], 3, v[1:2]
	v_add_u32_e32 v1, s17, v1
	v_add_co_u32_e32 v38, vcc, s0, v2
	v_ashrrev_i32_e32 v2, 31, v1
	v_lshlrev_b64 v[1:2], 3, v[1:2]
	v_addc_co_u32_e32 v39, vcc, v4, v3, vcc
	v_mov_b32_e32 v3, s1
	v_add_co_u32_e32 v40, vcc, s0, v1
	v_addc_co_u32_e32 v41, vcc, v3, v2, vcc
	global_load_dwordx2 v[4:5], v[32:33], off
	global_load_dwordx2 v[6:7], v[34:35], off
	;; [unrolled: 1-line block ×4, first 2 shown]
	global_load_dwordx2 v[2:3], v16, s[0:1]
	global_load_dwordx2 v[12:13], v[40:41], off
	s_cmpk_lg_i32 s13, 0x84
	s_cselect_b64 s[14:15], -1, 0
	s_cmpk_eq_i32 s13, 0x84
	v_mov_b32_e32 v1, 0
	s_cbranch_scc1 .LBB5_3
; %bb.2:
	v_cmp_eq_u32_e64 s[0:1], 1, v0
	s_waitcnt vmcnt(1)
	v_cndmask_b32_e64 v14, v3, v5, s[0:1]
	v_cmp_eq_u32_e64 s[2:3], 2, v0
	v_cndmask_b32_e64 v14, v14, v7, s[2:3]
	v_cmp_eq_u32_e64 s[4:5], 3, v0
	;; [unrolled: 2-line block ×4, first 2 shown]
	s_waitcnt vmcnt(0)
	v_cndmask_b32_e64 v15, v14, v13, s[8:9]
	v_cndmask_b32_e64 v14, v2, v4, s[0:1]
	;; [unrolled: 1-line block ×6, first 2 shown]
	v_div_scale_f64 v[17:18], s[10:11], v[14:15], v[14:15], 1.0
	v_rcp_f64_e32 v[19:20], v[17:18]
	v_fma_f64 v[21:22], -v[17:18], v[19:20], 1.0
	v_fma_f64 v[19:20], v[19:20], v[21:22], v[19:20]
	v_div_scale_f64 v[21:22], vcc, 1.0, v[14:15], 1.0
	v_fma_f64 v[23:24], -v[17:18], v[19:20], 1.0
	v_fma_f64 v[19:20], v[19:20], v[23:24], v[19:20]
	v_mul_f64 v[23:24], v[21:22], v[19:20]
	v_fma_f64 v[17:18], -v[17:18], v[23:24], v[21:22]
	v_div_fmas_f64 v[17:18], v[17:18], v[19:20], v[23:24]
	v_cmp_eq_u32_e32 vcc, 0, v0
	v_div_fixup_f64 v[14:15], v[17:18], v[14:15], 1.0
	v_cndmask_b32_e64 v13, v13, v15, s[8:9]
	v_cndmask_b32_e64 v12, v12, v14, s[8:9]
	;; [unrolled: 1-line block ×10, first 2 shown]
	v_cndmask_b32_e32 v3, v3, v15, vcc
	v_cndmask_b32_e32 v2, v2, v14, vcc
	v_xor_b32_e32 v15, 0x80000000, v15
.LBB5_3:
	s_cmpk_eq_i32 s12, 0x79
	v_add_u32_e32 v44, 48, v16
	ds_write_b64 v16, v[14:15]
	s_cbranch_scc1 .LBB5_7
; %bb.4:
	s_waitcnt vmcnt(0)
	v_mov_b32_e32 v29, v17
	v_mov_b32_e32 v28, v16
	;; [unrolled: 1-line block ×16, first 2 shown]
	v_cmp_eq_u32_e64 s[0:1], 5, v0
	ds_write_b64 v44, v[10:11]
	s_waitcnt lgkmcnt(0)
	; wave barrier
	s_and_saveexec_b64 s[10:11], s[0:1]
	s_cbranch_execz .LBB5_11
; %bb.5:
	s_and_b64 vcc, exec, s[14:15]
	s_cbranch_vccz .LBB5_8
; %bb.6:
	v_cmp_eq_u32_e32 vcc, 1, v0
	v_cndmask_b32_e32 v14, v3, v5, vcc
	v_cmp_eq_u32_e64 s[2:3], 2, v0
	v_cndmask_b32_e64 v14, v14, v7, s[2:3]
	v_cmp_eq_u32_e64 s[4:5], 3, v0
	v_cndmask_b32_e64 v14, v14, v9, s[4:5]
	;; [unrolled: 2-line block ×4, first 2 shown]
	v_cndmask_b32_e32 v14, v2, v4, vcc
	ds_read_b64 v[16:17], v44
	v_cndmask_b32_e64 v14, v14, v6, s[2:3]
	v_cndmask_b32_e64 v14, v14, v8, s[4:5]
	;; [unrolled: 1-line block ×4, first 2 shown]
	s_waitcnt lgkmcnt(0)
	v_mul_f64 v[16:17], v[14:15], v[16:17]
	s_cbranch_execz .LBB5_9
	s_branch .LBB5_10
.LBB5_7:
                                        ; implicit-def: $vgpr14_vgpr15_vgpr16_vgpr17_vgpr18_vgpr19_vgpr20_vgpr21_vgpr22_vgpr23_vgpr24_vgpr25_vgpr26_vgpr27_vgpr28_vgpr29
	s_cbranch_execnz .LBB5_66
	s_branch .LBB5_107
.LBB5_8:
                                        ; implicit-def: $vgpr16_vgpr17
.LBB5_9:
	ds_read_b64 v[16:17], v44
.LBB5_10:
	v_mov_b32_e32 v14, 0
	ds_read_b64 v[18:19], v14 offset:32
	v_mov_b32_e32 v14, v2
	v_mov_b32_e32 v15, v3
	;; [unrolled: 1-line block ×4, first 2 shown]
	s_waitcnt lgkmcnt(0)
	v_mul_f64 v[22:23], v[16:17], v[18:19]
	v_mov_b32_e32 v16, v4
	v_mov_b32_e32 v17, v5
	;; [unrolled: 1-line block ×6, first 2 shown]
.LBB5_11:
	s_or_b64 exec, exec, s[10:11]
	v_cmp_lt_u32_e64 s[2:3], 3, v0
	ds_write_b64 v44, v[20:21]
	s_waitcnt lgkmcnt(0)
	; wave barrier
	s_and_saveexec_b64 s[12:13], s[2:3]
	s_cbranch_execz .LBB5_17
; %bb.12:
	s_andn2_b64 vcc, exec, s[14:15]
	s_cbranch_vccnz .LBB5_14
; %bb.13:
	v_cmp_eq_u32_e32 vcc, 1, v0
	v_cndmask_b32_e32 v26, v15, v17, vcc
	v_cmp_eq_u32_e64 s[4:5], 2, v0
	v_cndmask_b32_e64 v26, v26, v19, s[4:5]
	v_cmp_eq_u32_e64 s[6:7], 3, v0
	v_cndmask_b32_e64 v21, v26, v21, s[6:7]
	v_cndmask_b32_e32 v28, v14, v16, vcc
	ds_read_b64 v[26:27], v44
	v_cndmask_b32_e64 v28, v28, v18, s[4:5]
	v_cmp_eq_u32_e64 s[8:9], 4, v0
	v_cndmask_b32_e64 v20, v28, v20, s[6:7]
	v_cndmask_b32_e64 v21, v21, v23, s[8:9]
	v_cmp_eq_u32_e64 s[10:11], 5, v0
	v_cndmask_b32_e64 v20, v20, v22, s[8:9]
	v_cndmask_b32_e64 v21, v21, v25, s[10:11]
	;; [unrolled: 1-line block ×3, first 2 shown]
	s_waitcnt lgkmcnt(0)
	v_mul_f64 v[20:21], v[20:21], v[26:27]
	s_cbranch_execz .LBB5_15
	s_branch .LBB5_16
.LBB5_14:
                                        ; implicit-def: $vgpr20_vgpr21
.LBB5_15:
	ds_read_b64 v[20:21], v44
.LBB5_16:
	v_mov_b32_e32 v26, 0
	ds_read2_b64 v[26:29], v26 offset0:3 offset1:10
	s_waitcnt lgkmcnt(0)
	v_fma_f64 v[28:29], v[22:23], v[28:29], v[20:21]
	v_cndmask_b32_e64 v21, v21, v29, s[0:1]
	v_cndmask_b32_e64 v20, v20, v28, s[0:1]
	v_mul_f64 v[20:21], v[20:21], v[26:27]
.LBB5_17:
	s_or_b64 exec, exec, s[12:13]
	v_cmp_lt_u32_e64 s[0:1], 2, v0
	ds_write_b64 v44, v[18:19]
	s_waitcnt lgkmcnt(0)
	; wave barrier
	s_and_saveexec_b64 s[12:13], s[0:1]
	s_cbranch_execz .LBB5_33
; %bb.18:
	s_andn2_b64 vcc, exec, s[14:15]
	s_cbranch_vccnz .LBB5_20
; %bb.19:
	v_cmp_eq_u32_e32 vcc, 1, v0
	v_cndmask_b32_e32 v42, v15, v17, vcc
	v_cmp_eq_u32_e64 s[4:5], 2, v0
	v_cndmask_b32_e64 v42, v42, v19, s[4:5]
	v_cmp_eq_u32_e64 s[6:7], 3, v0
	v_cndmask_b32_e64 v42, v42, v21, s[6:7]
	;; [unrolled: 2-line block ×4, first 2 shown]
	v_cndmask_b32_e32 v42, v14, v16, vcc
	ds_read_b64 v[45:46], v44
	v_cndmask_b32_e64 v42, v42, v18, s[4:5]
	v_cndmask_b32_e64 v42, v42, v20, s[6:7]
	;; [unrolled: 1-line block ×4, first 2 shown]
	s_waitcnt lgkmcnt(0)
	v_mul_f64 v[42:43], v[42:43], v[45:46]
	s_cbranch_execz .LBB5_21
	s_branch .LBB5_22
.LBB5_20:
                                        ; implicit-def: $vgpr42_vgpr43
.LBB5_21:
	ds_read_b64 v[42:43], v44
.LBB5_22:
	s_and_saveexec_b64 s[4:5], s[2:3]
	s_cbranch_execz .LBB5_32
; %bb.23:
	v_add_u32_e32 v46, -4, v0
	v_add_u32_e32 v45, -3, v0
	v_cmp_lt_u32_e32 vcc, 6, v46
	v_mov_b32_e32 v47, 3
	s_and_saveexec_b64 s[2:3], vcc
	s_cbranch_execz .LBB5_27
; %bb.24:
	v_and_b32_e32 v46, -8, v45
	v_sub_u32_e32 v46, 0, v46
	s_mov_b64 s[6:7], 10
	s_movk_i32 s10, 0x48
	s_mov_b64 s[8:9], 0
.LBB5_25:                               ; =>This Inner Loop Header: Depth=1
	s_lshl_b32 s11, s6, 1
	s_add_i32 s16, s11, -13
	v_mov_b32_e32 v53, s10
	s_add_i32 s17, s11, -14
	s_set_gpr_idx_on s16, gpr_idx(SRC0)
	v_mov_b32_e32 v52, v14
	s_set_gpr_idx_off
	s_set_gpr_idx_on s17, gpr_idx(SRC0)
	v_mov_b32_e32 v51, v14
	s_set_gpr_idx_off
	ds_read2_b64 v[47:50], v53 offset1:1
	s_add_i32 s16, s11, -11
	s_add_i32 s17, s11, -12
	;; [unrolled: 1-line block ×4, first 2 shown]
	s_waitcnt lgkmcnt(0)
	v_fma_f64 v[42:43], v[51:52], v[47:48], v[42:43]
	s_set_gpr_idx_on s16, gpr_idx(SRC0)
	v_mov_b32_e32 v48, v14
	s_set_gpr_idx_off
	s_set_gpr_idx_on s17, gpr_idx(SRC0)
	v_mov_b32_e32 v47, v14
	s_set_gpr_idx_off
	s_add_i32 s16, s11, -7
	s_add_i32 s17, s11, -8
	v_fma_f64 v[42:43], v[47:48], v[49:50], v[42:43]
	s_set_gpr_idx_on s18, gpr_idx(SRC0)
	v_mov_b32_e32 v52, v14
	s_set_gpr_idx_off
	s_set_gpr_idx_on s19, gpr_idx(SRC0)
	v_mov_b32_e32 v51, v14
	s_set_gpr_idx_off
	ds_read2_b64 v[47:50], v53 offset0:2 offset1:3
	s_add_i32 s18, s11, -5
	s_add_i32 s19, s11, -6
	s_waitcnt lgkmcnt(0)
	v_fma_f64 v[42:43], v[51:52], v[47:48], v[42:43]
	s_set_gpr_idx_on s16, gpr_idx(SRC0)
	v_mov_b32_e32 v48, v14
	s_set_gpr_idx_off
	s_set_gpr_idx_on s17, gpr_idx(SRC0)
	v_mov_b32_e32 v47, v14
	s_set_gpr_idx_off
	s_add_i32 s16, s11, -3
	s_add_i32 s17, s11, -4
	v_fma_f64 v[42:43], v[47:48], v[49:50], v[42:43]
	s_set_gpr_idx_on s18, gpr_idx(SRC0)
	v_mov_b32_e32 v52, v14
	s_set_gpr_idx_off
	s_set_gpr_idx_on s19, gpr_idx(SRC0)
	v_mov_b32_e32 v51, v14
	s_set_gpr_idx_off
	ds_read2_b64 v[47:50], v53 offset0:4 offset1:5
	s_add_i32 s18, s11, -1
	s_add_i32 s19, s11, -2
	s_add_u32 s6, s6, 8
	s_addc_u32 s7, s7, 0
	s_waitcnt lgkmcnt(0)
	v_fma_f64 v[42:43], v[51:52], v[47:48], v[42:43]
	s_set_gpr_idx_on s16, gpr_idx(SRC0)
	v_mov_b32_e32 v48, v14
	s_set_gpr_idx_off
	s_set_gpr_idx_on s17, gpr_idx(SRC0)
	v_mov_b32_e32 v47, v14
	s_set_gpr_idx_off
	s_add_i32 s10, s10, 64
	v_fma_f64 v[42:43], v[47:48], v[49:50], v[42:43]
	s_set_gpr_idx_on s18, gpr_idx(SRC0)
	v_mov_b32_e32 v52, v14
	s_set_gpr_idx_off
	s_set_gpr_idx_on s19, gpr_idx(SRC0)
	v_mov_b32_e32 v51, v14
	s_set_gpr_idx_off
	ds_read2_b64 v[47:50], v53 offset0:6 offset1:7
	s_waitcnt lgkmcnt(0)
	v_fma_f64 v[42:43], v[51:52], v[47:48], v[42:43]
	s_set_gpr_idx_on s11, gpr_idx(SRC0)
	v_mov_b32_e32 v48, v15
	v_mov_b32_e32 v47, v14
	s_set_gpr_idx_off
	s_add_i32 s11, s6, -7
	v_fma_f64 v[42:43], v[47:48], v[49:50], v[42:43]
	v_add_u32_e32 v47, s6, v46
	v_cmp_eq_u32_e32 vcc, 10, v47
	s_or_b64 s[8:9], vcc, s[8:9]
	v_mov_b32_e32 v47, s11
	s_andn2_b64 exec, exec, s[8:9]
	s_cbranch_execnz .LBB5_25
; %bb.26:
	s_or_b64 exec, exec, s[8:9]
.LBB5_27:
	s_or_b64 exec, exec, s[2:3]
	v_and_b32_e32 v26, 7, v45
	v_cmp_ne_u32_e32 vcc, 0, v26
	s_and_saveexec_b64 s[6:7], vcc
	s_cbranch_execz .LBB5_31
; %bb.28:
	v_lshl_add_u32 v27, v47, 3, 48
	v_mov_b32_e32 v28, 0
	s_mov_b64 s[8:9], 0
.LBB5_29:                               ; =>This Inner Loop Header: Depth=1
	v_cmp_eq_u32_e32 vcc, 1, v47
	v_cndmask_b32_e32 v29, v15, v17, vcc
	v_cmp_eq_u32_e64 s[2:3], 2, v47
	ds_read_b64 v[45:46], v27
	v_cndmask_b32_e64 v29, v29, v19, s[2:3]
	v_cndmask_b32_e32 v48, v14, v16, vcc
	v_cmp_eq_u32_e32 vcc, 3, v47
	v_cndmask_b32_e32 v29, v29, v21, vcc
	v_cndmask_b32_e64 v48, v48, v18, s[2:3]
	v_cmp_eq_u32_e64 s[2:3], 4, v47
	v_cndmask_b32_e64 v29, v29, v23, s[2:3]
	v_cndmask_b32_e32 v48, v48, v20, vcc
	v_cmp_eq_u32_e32 vcc, 5, v47
	v_cndmask_b32_e32 v49, v29, v25, vcc
	v_cndmask_b32_e64 v29, v48, v22, s[2:3]
	v_cndmask_b32_e32 v48, v29, v24, vcc
	s_waitcnt lgkmcnt(0)
	v_fma_f64 v[42:43], v[48:49], v[45:46], v[42:43]
	v_add_u32_e32 v26, -1, v26
	v_cmp_eq_u32_e32 vcc, 0, v26
	s_or_b64 s[8:9], vcc, s[8:9]
	v_add_co_u32_e32 v47, vcc, 1, v47
	v_add_u32_e32 v27, 8, v27
	v_addc_co_u32_e32 v28, vcc, 0, v28, vcc
	s_andn2_b64 exec, exec, s[8:9]
	s_cbranch_execnz .LBB5_29
; %bb.30:
	s_or_b64 exec, exec, s[8:9]
.LBB5_31:
	s_or_b64 exec, exec, s[6:7]
.LBB5_32:
	s_or_b64 exec, exec, s[4:5]
	v_mov_b32_e32 v18, 0
	ds_read_b64 v[18:19], v18 offset:16
	s_waitcnt lgkmcnt(0)
	v_mul_f64 v[18:19], v[42:43], v[18:19]
.LBB5_33:
	s_or_b64 exec, exec, s[12:13]
	v_cmp_lt_u32_e64 s[2:3], 1, v0
	ds_write_b64 v44, v[16:17]
	s_waitcnt lgkmcnt(0)
	; wave barrier
	s_and_saveexec_b64 s[12:13], s[2:3]
	s_cbranch_execz .LBB5_49
; %bb.34:
	s_andn2_b64 vcc, exec, s[14:15]
	s_cbranch_vccnz .LBB5_36
; %bb.35:
	v_cmp_eq_u32_e32 vcc, 1, v0
	v_cndmask_b32_e32 v42, v15, v17, vcc
	v_cmp_eq_u32_e64 s[4:5], 2, v0
	v_cndmask_b32_e64 v42, v42, v19, s[4:5]
	v_cmp_eq_u32_e64 s[6:7], 3, v0
	v_cndmask_b32_e64 v42, v42, v21, s[6:7]
	;; [unrolled: 2-line block ×4, first 2 shown]
	v_cndmask_b32_e32 v42, v14, v16, vcc
	ds_read_b64 v[45:46], v44
	v_cndmask_b32_e64 v42, v42, v18, s[4:5]
	v_cndmask_b32_e64 v42, v42, v20, s[6:7]
	;; [unrolled: 1-line block ×4, first 2 shown]
	s_waitcnt lgkmcnt(0)
	v_mul_f64 v[42:43], v[42:43], v[45:46]
	s_cbranch_execz .LBB5_37
	s_branch .LBB5_38
.LBB5_36:
                                        ; implicit-def: $vgpr42_vgpr43
.LBB5_37:
	ds_read_b64 v[42:43], v44
.LBB5_38:
	s_and_saveexec_b64 s[4:5], s[0:1]
	s_cbranch_execz .LBB5_48
; %bb.39:
	v_add_u32_e32 v46, -3, v0
	v_add_u32_e32 v45, -2, v0
	v_cmp_lt_u32_e32 vcc, 6, v46
	v_mov_b32_e32 v47, 2
	s_and_saveexec_b64 s[0:1], vcc
	s_cbranch_execz .LBB5_43
; %bb.40:
	v_and_b32_e32 v46, -8, v45
	v_sub_u32_e32 v46, 0, v46
	s_mov_b64 s[6:7], 9
	s_mov_b32 s10, 64
	s_mov_b64 s[8:9], 0
.LBB5_41:                               ; =>This Inner Loop Header: Depth=1
	s_lshl_b32 s11, s6, 1
	s_add_i32 s16, s11, -13
	v_mov_b32_e32 v59, s10
	s_add_i32 s17, s11, -14
	s_set_gpr_idx_on s16, gpr_idx(SRC0)
	v_mov_b32_e32 v52, v14
	s_set_gpr_idx_off
	s_set_gpr_idx_on s17, gpr_idx(SRC0)
	v_mov_b32_e32 v51, v14
	s_set_gpr_idx_off
	ds_read_b128 v[47:50], v59
	s_add_i32 s16, s11, -11
	s_add_i32 s17, s11, -12
	s_waitcnt lgkmcnt(0)
	v_fma_f64 v[42:43], v[51:52], v[47:48], v[42:43]
	ds_read_b128 v[51:54], v59 offset:16
	ds_read_b128 v[55:58], v59 offset:32
	;; [unrolled: 1-line block ×3, first 2 shown]
	s_set_gpr_idx_on s16, gpr_idx(SRC0)
	v_mov_b32_e32 v48, v14
	s_set_gpr_idx_off
	s_set_gpr_idx_on s17, gpr_idx(SRC0)
	v_mov_b32_e32 v47, v14
	s_set_gpr_idx_off
	s_add_i32 s16, s11, -9
	s_add_i32 s17, s11, -10
	v_fma_f64 v[42:43], v[47:48], v[49:50], v[42:43]
	s_set_gpr_idx_on s16, gpr_idx(SRC0)
	v_mov_b32_e32 v48, v14
	s_set_gpr_idx_off
	s_set_gpr_idx_on s17, gpr_idx(SRC0)
	v_mov_b32_e32 v47, v14
	s_set_gpr_idx_off
	s_add_i32 s16, s11, -7
	s_add_i32 s17, s11, -8
	s_waitcnt lgkmcnt(2)
	v_fma_f64 v[42:43], v[47:48], v[51:52], v[42:43]
	s_set_gpr_idx_on s16, gpr_idx(SRC0)
	v_mov_b32_e32 v48, v14
	s_set_gpr_idx_off
	s_set_gpr_idx_on s17, gpr_idx(SRC0)
	v_mov_b32_e32 v47, v14
	s_set_gpr_idx_off
	s_add_i32 s16, s11, -5
	s_add_i32 s17, s11, -6
	v_fma_f64 v[42:43], v[47:48], v[53:54], v[42:43]
	s_set_gpr_idx_on s16, gpr_idx(SRC0)
	v_mov_b32_e32 v48, v14
	s_set_gpr_idx_off
	s_set_gpr_idx_on s17, gpr_idx(SRC0)
	v_mov_b32_e32 v47, v14
	s_set_gpr_idx_off
	s_add_i32 s16, s11, -3
	s_add_i32 s17, s11, -4
	s_waitcnt lgkmcnt(1)
	v_fma_f64 v[42:43], v[47:48], v[55:56], v[42:43]
	s_set_gpr_idx_on s16, gpr_idx(SRC0)
	v_mov_b32_e32 v48, v14
	s_set_gpr_idx_off
	s_set_gpr_idx_on s17, gpr_idx(SRC0)
	v_mov_b32_e32 v47, v14
	s_set_gpr_idx_off
	s_add_i32 s16, s11, -1
	s_add_i32 s17, s11, -2
	s_add_u32 s6, s6, 8
	s_addc_u32 s7, s7, 0
	s_add_i32 s10, s10, 64
	v_fma_f64 v[42:43], v[47:48], v[57:58], v[42:43]
	s_set_gpr_idx_on s16, gpr_idx(SRC0)
	v_mov_b32_e32 v48, v14
	s_set_gpr_idx_off
	s_set_gpr_idx_on s17, gpr_idx(SRC0)
	v_mov_b32_e32 v47, v14
	s_set_gpr_idx_off
	s_waitcnt lgkmcnt(0)
	v_fma_f64 v[42:43], v[47:48], v[59:60], v[42:43]
	s_set_gpr_idx_on s11, gpr_idx(SRC0)
	v_mov_b32_e32 v48, v15
	v_mov_b32_e32 v47, v14
	s_set_gpr_idx_off
	s_add_i32 s11, s6, -7
	v_fma_f64 v[42:43], v[47:48], v[61:62], v[42:43]
	v_add_u32_e32 v47, s6, v46
	v_cmp_eq_u32_e32 vcc, 9, v47
	s_or_b64 s[8:9], vcc, s[8:9]
	v_mov_b32_e32 v47, s11
	s_andn2_b64 exec, exec, s[8:9]
	s_cbranch_execnz .LBB5_41
; %bb.42:
	s_or_b64 exec, exec, s[8:9]
.LBB5_43:
	s_or_b64 exec, exec, s[0:1]
	v_and_b32_e32 v26, 7, v45
	v_cmp_ne_u32_e32 vcc, 0, v26
	s_and_saveexec_b64 s[6:7], vcc
	s_cbranch_execz .LBB5_47
; %bb.44:
	v_lshl_add_u32 v27, v47, 3, 48
	v_mov_b32_e32 v28, 0
	s_mov_b64 s[8:9], 0
.LBB5_45:                               ; =>This Inner Loop Header: Depth=1
	v_cmp_eq_u32_e32 vcc, 1, v47
	v_cndmask_b32_e32 v29, v15, v17, vcc
	v_cmp_eq_u32_e64 s[0:1], 2, v47
	ds_read_b64 v[45:46], v27
	v_cndmask_b32_e64 v29, v29, v19, s[0:1]
	v_cndmask_b32_e32 v48, v14, v16, vcc
	v_cmp_eq_u32_e32 vcc, 3, v47
	v_cndmask_b32_e32 v29, v29, v21, vcc
	v_cndmask_b32_e64 v48, v48, v18, s[0:1]
	v_cmp_eq_u32_e64 s[0:1], 4, v47
	v_cndmask_b32_e64 v29, v29, v23, s[0:1]
	v_cndmask_b32_e32 v48, v48, v20, vcc
	v_cmp_eq_u32_e32 vcc, 5, v47
	v_cndmask_b32_e32 v49, v29, v25, vcc
	v_cndmask_b32_e64 v29, v48, v22, s[0:1]
	v_cndmask_b32_e32 v48, v29, v24, vcc
	s_waitcnt lgkmcnt(0)
	v_fma_f64 v[42:43], v[48:49], v[45:46], v[42:43]
	v_add_u32_e32 v26, -1, v26
	v_cmp_eq_u32_e32 vcc, 0, v26
	s_or_b64 s[8:9], vcc, s[8:9]
	v_add_co_u32_e32 v47, vcc, 1, v47
	v_add_u32_e32 v27, 8, v27
	v_addc_co_u32_e32 v28, vcc, 0, v28, vcc
	s_andn2_b64 exec, exec, s[8:9]
	s_cbranch_execnz .LBB5_45
; %bb.46:
	s_or_b64 exec, exec, s[8:9]
.LBB5_47:
	s_or_b64 exec, exec, s[6:7]
.LBB5_48:
	s_or_b64 exec, exec, s[4:5]
	v_mov_b32_e32 v16, 0
	ds_read_b64 v[16:17], v16 offset:8
	s_waitcnt lgkmcnt(0)
	v_mul_f64 v[16:17], v[42:43], v[16:17]
.LBB5_49:
	s_or_b64 exec, exec, s[12:13]
	v_cmp_ne_u32_e32 vcc, 0, v0
	ds_write_b64 v44, v[14:15]
	s_waitcnt lgkmcnt(0)
	; wave barrier
	s_and_saveexec_b64 s[10:11], vcc
	s_cbranch_execz .LBB5_65
; %bb.50:
	s_andn2_b64 vcc, exec, s[14:15]
	s_cbranch_vccnz .LBB5_52
; %bb.51:
	v_cmp_eq_u32_e32 vcc, 1, v0
	v_cndmask_b32_e32 v42, v15, v17, vcc
	v_cmp_eq_u32_e64 s[0:1], 2, v0
	v_cndmask_b32_e64 v42, v42, v19, s[0:1]
	v_cmp_eq_u32_e64 s[4:5], 3, v0
	v_cndmask_b32_e64 v42, v42, v21, s[4:5]
	;; [unrolled: 2-line block ×4, first 2 shown]
	v_cndmask_b32_e32 v42, v14, v16, vcc
	ds_read_b64 v[45:46], v44
	v_cndmask_b32_e64 v42, v42, v18, s[0:1]
	v_cndmask_b32_e64 v42, v42, v20, s[4:5]
	;; [unrolled: 1-line block ×4, first 2 shown]
	s_waitcnt lgkmcnt(0)
	v_mul_f64 v[42:43], v[42:43], v[45:46]
	s_cbranch_execz .LBB5_53
	s_branch .LBB5_54
.LBB5_52:
                                        ; implicit-def: $vgpr42_vgpr43
.LBB5_53:
	ds_read_b64 v[42:43], v44
.LBB5_54:
	s_and_saveexec_b64 s[4:5], s[2:3]
	s_cbranch_execz .LBB5_64
; %bb.55:
	v_add_u32_e32 v46, -2, v0
	v_add_u32_e32 v45, -1, v0
	v_cmp_lt_u32_e32 vcc, 6, v46
	v_mov_b32_e32 v47, 1
	s_and_saveexec_b64 s[0:1], vcc
	s_cbranch_execz .LBB5_59
; %bb.56:
	v_and_b32_e32 v46, -8, v45
	v_sub_u32_e32 v46, 0, v46
	s_mov_b64 s[2:3], 8
	s_mov_b32 s8, 56
	s_mov_b64 s[6:7], 0
.LBB5_57:                               ; =>This Inner Loop Header: Depth=1
	s_lshl_b32 s9, s2, 1
	s_add_i32 s12, s9, -13
	v_mov_b32_e32 v53, s8
	s_add_i32 s13, s9, -14
	s_set_gpr_idx_on s12, gpr_idx(SRC0)
	v_mov_b32_e32 v52, v14
	s_set_gpr_idx_off
	s_set_gpr_idx_on s13, gpr_idx(SRC0)
	v_mov_b32_e32 v51, v14
	s_set_gpr_idx_off
	ds_read2_b64 v[47:50], v53 offset1:1
	s_add_i32 s12, s9, -11
	s_add_i32 s13, s9, -12
	;; [unrolled: 1-line block ×4, first 2 shown]
	s_waitcnt lgkmcnt(0)
	v_fma_f64 v[42:43], v[51:52], v[47:48], v[42:43]
	s_set_gpr_idx_on s12, gpr_idx(SRC0)
	v_mov_b32_e32 v48, v14
	s_set_gpr_idx_off
	s_set_gpr_idx_on s13, gpr_idx(SRC0)
	v_mov_b32_e32 v47, v14
	s_set_gpr_idx_off
	s_add_i32 s12, s9, -7
	s_add_i32 s13, s9, -8
	v_fma_f64 v[42:43], v[47:48], v[49:50], v[42:43]
	s_set_gpr_idx_on s16, gpr_idx(SRC0)
	v_mov_b32_e32 v52, v14
	s_set_gpr_idx_off
	s_set_gpr_idx_on s17, gpr_idx(SRC0)
	v_mov_b32_e32 v51, v14
	s_set_gpr_idx_off
	ds_read2_b64 v[47:50], v53 offset0:2 offset1:3
	s_add_i32 s16, s9, -5
	s_add_i32 s17, s9, -6
	s_waitcnt lgkmcnt(0)
	v_fma_f64 v[42:43], v[51:52], v[47:48], v[42:43]
	s_set_gpr_idx_on s12, gpr_idx(SRC0)
	v_mov_b32_e32 v48, v14
	s_set_gpr_idx_off
	s_set_gpr_idx_on s13, gpr_idx(SRC0)
	v_mov_b32_e32 v47, v14
	s_set_gpr_idx_off
	s_add_i32 s12, s9, -3
	s_add_i32 s13, s9, -4
	v_fma_f64 v[42:43], v[47:48], v[49:50], v[42:43]
	s_set_gpr_idx_on s16, gpr_idx(SRC0)
	v_mov_b32_e32 v52, v14
	s_set_gpr_idx_off
	s_set_gpr_idx_on s17, gpr_idx(SRC0)
	v_mov_b32_e32 v51, v14
	s_set_gpr_idx_off
	ds_read2_b64 v[47:50], v53 offset0:4 offset1:5
	s_add_i32 s16, s9, -1
	s_add_i32 s17, s9, -2
	s_add_u32 s2, s2, 8
	s_addc_u32 s3, s3, 0
	s_waitcnt lgkmcnt(0)
	v_fma_f64 v[42:43], v[51:52], v[47:48], v[42:43]
	s_set_gpr_idx_on s12, gpr_idx(SRC0)
	v_mov_b32_e32 v48, v14
	s_set_gpr_idx_off
	s_set_gpr_idx_on s13, gpr_idx(SRC0)
	v_mov_b32_e32 v47, v14
	s_set_gpr_idx_off
	s_add_i32 s8, s8, 64
	v_fma_f64 v[42:43], v[47:48], v[49:50], v[42:43]
	s_set_gpr_idx_on s16, gpr_idx(SRC0)
	v_mov_b32_e32 v52, v14
	s_set_gpr_idx_off
	s_set_gpr_idx_on s17, gpr_idx(SRC0)
	v_mov_b32_e32 v51, v14
	s_set_gpr_idx_off
	ds_read2_b64 v[47:50], v53 offset0:6 offset1:7
	s_waitcnt lgkmcnt(0)
	v_fma_f64 v[42:43], v[51:52], v[47:48], v[42:43]
	s_set_gpr_idx_on s9, gpr_idx(SRC0)
	v_mov_b32_e32 v48, v15
	v_mov_b32_e32 v47, v14
	s_set_gpr_idx_off
	s_add_i32 s9, s2, -7
	v_fma_f64 v[42:43], v[47:48], v[49:50], v[42:43]
	v_add_u32_e32 v47, s2, v46
	v_cmp_eq_u32_e32 vcc, 8, v47
	s_or_b64 s[6:7], vcc, s[6:7]
	v_mov_b32_e32 v47, s9
	s_andn2_b64 exec, exec, s[6:7]
	s_cbranch_execnz .LBB5_57
; %bb.58:
	s_or_b64 exec, exec, s[6:7]
.LBB5_59:
	s_or_b64 exec, exec, s[0:1]
	v_and_b32_e32 v26, 7, v45
	v_cmp_ne_u32_e32 vcc, 0, v26
	s_and_saveexec_b64 s[2:3], vcc
	s_cbranch_execz .LBB5_63
; %bb.60:
	v_lshl_add_u32 v27, v47, 3, 48
	v_mov_b32_e32 v28, 0
	s_mov_b64 s[6:7], 0
.LBB5_61:                               ; =>This Inner Loop Header: Depth=1
	v_cmp_eq_u32_e32 vcc, 1, v47
	v_cndmask_b32_e32 v29, v15, v17, vcc
	v_cmp_eq_u32_e64 s[0:1], 2, v47
	ds_read_b64 v[45:46], v27
	v_cndmask_b32_e64 v29, v29, v19, s[0:1]
	v_cndmask_b32_e32 v48, v14, v16, vcc
	v_cmp_eq_u32_e32 vcc, 3, v47
	v_cndmask_b32_e32 v29, v29, v21, vcc
	v_cndmask_b32_e64 v48, v48, v18, s[0:1]
	v_cmp_eq_u32_e64 s[0:1], 4, v47
	v_cndmask_b32_e64 v29, v29, v23, s[0:1]
	v_cndmask_b32_e32 v48, v48, v20, vcc
	v_cmp_eq_u32_e32 vcc, 5, v47
	v_cndmask_b32_e32 v49, v29, v25, vcc
	v_cndmask_b32_e64 v29, v48, v22, s[0:1]
	v_cndmask_b32_e32 v48, v29, v24, vcc
	s_waitcnt lgkmcnt(0)
	v_fma_f64 v[42:43], v[48:49], v[45:46], v[42:43]
	v_add_u32_e32 v26, -1, v26
	v_cmp_eq_u32_e32 vcc, 0, v26
	s_or_b64 s[6:7], vcc, s[6:7]
	v_add_co_u32_e32 v47, vcc, 1, v47
	v_add_u32_e32 v27, 8, v27
	v_addc_co_u32_e32 v28, vcc, 0, v28, vcc
	s_andn2_b64 exec, exec, s[6:7]
	s_cbranch_execnz .LBB5_61
; %bb.62:
	s_or_b64 exec, exec, s[6:7]
.LBB5_63:
	s_or_b64 exec, exec, s[2:3]
.LBB5_64:
	s_or_b64 exec, exec, s[4:5]
	v_mov_b32_e32 v14, 0
	ds_read_b64 v[14:15], v14
	s_waitcnt lgkmcnt(0)
	v_mul_f64 v[14:15], v[42:43], v[14:15]
.LBB5_65:
	s_or_b64 exec, exec, s[10:11]
	s_branch .LBB5_107
.LBB5_66:
	v_cmp_eq_u32_e64 s[2:3], 0, v0
	s_waitcnt vmcnt(5)
	ds_write_b64 v44, v[4:5]
	s_waitcnt lgkmcnt(0)
	; wave barrier
	s_and_saveexec_b64 s[10:11], s[2:3]
	s_cbranch_execz .LBB5_72
; %bb.67:
	s_and_b64 vcc, exec, s[14:15]
	s_cbranch_vccz .LBB5_69
; %bb.68:
	v_cmp_eq_u32_e32 vcc, 1, v0
	s_waitcnt vmcnt(1)
	v_cndmask_b32_e32 v5, v3, v5, vcc
	v_cmp_eq_u32_e64 s[0:1], 2, v0
	v_cndmask_b32_e32 v4, v2, v4, vcc
	ds_read_b64 v[14:15], v44
	v_cndmask_b32_e64 v5, v5, v7, s[0:1]
	v_cmp_eq_u32_e64 s[4:5], 3, v0
	v_cndmask_b32_e64 v4, v4, v6, s[0:1]
	v_cndmask_b32_e64 v5, v5, v9, s[4:5]
	v_cmp_eq_u32_e64 s[6:7], 4, v0
	v_cndmask_b32_e64 v4, v4, v8, s[4:5]
	;; [unrolled: 3-line block ×3, first 2 shown]
	s_waitcnt vmcnt(0)
	v_cndmask_b32_e64 v5, v5, v13, s[8:9]
	v_cndmask_b32_e64 v4, v4, v12, s[8:9]
	s_waitcnt lgkmcnt(0)
	v_mul_f64 v[4:5], v[4:5], v[14:15]
	s_cbranch_execz .LBB5_70
	s_branch .LBB5_71
.LBB5_69:
                                        ; implicit-def: $vgpr4_vgpr5
.LBB5_70:
	ds_read_b64 v[4:5], v44
.LBB5_71:
	v_mov_b32_e32 v14, 0
	ds_read_b64 v[14:15], v14 offset:8
	s_waitcnt lgkmcnt(0)
	v_mul_f64 v[4:5], v[4:5], v[14:15]
.LBB5_72:
	s_or_b64 exec, exec, s[10:11]
	v_cndmask_b32_e64 v14, 0, 1, s[14:15]
	v_cmp_gt_u32_e32 vcc, 2, v0
	v_cmp_ne_u32_e64 s[0:1], 1, v14
	s_waitcnt vmcnt(4)
	ds_write_b64 v44, v[6:7]
	s_waitcnt lgkmcnt(0)
	; wave barrier
	s_and_saveexec_b64 s[12:13], vcc
	s_cbranch_execz .LBB5_78
; %bb.73:
	s_and_b64 vcc, exec, s[0:1]
	s_cbranch_vccnz .LBB5_75
; %bb.74:
	v_cmp_eq_u32_e32 vcc, 1, v0
	s_waitcnt vmcnt(1)
	v_cndmask_b32_e32 v14, v3, v5, vcc
	v_cmp_eq_u32_e64 s[4:5], 2, v0
	v_cndmask_b32_e64 v7, v14, v7, s[4:5]
	v_cndmask_b32_e32 v16, v2, v4, vcc
	ds_read_b64 v[14:15], v44
	v_cmp_eq_u32_e64 s[6:7], 3, v0
	v_cndmask_b32_e64 v6, v16, v6, s[4:5]
	v_cndmask_b32_e64 v7, v7, v9, s[6:7]
	v_cmp_eq_u32_e64 s[8:9], 4, v0
	v_cndmask_b32_e64 v6, v6, v8, s[6:7]
	v_cndmask_b32_e64 v7, v7, v11, s[8:9]
	v_cmp_eq_u32_e64 s[10:11], 5, v0
	v_cndmask_b32_e64 v6, v6, v10, s[8:9]
	s_waitcnt vmcnt(0)
	v_cndmask_b32_e64 v7, v7, v13, s[10:11]
	v_cndmask_b32_e64 v6, v6, v12, s[10:11]
	s_waitcnt lgkmcnt(0)
	v_mul_f64 v[6:7], v[6:7], v[14:15]
	s_cbranch_execz .LBB5_76
	s_branch .LBB5_77
.LBB5_75:
                                        ; implicit-def: $vgpr6_vgpr7
.LBB5_76:
	ds_read_b64 v[6:7], v44
.LBB5_77:
	v_mov_b32_e32 v14, 0
	ds_read2_b64 v[14:17], v14 offset0:2 offset1:7
	s_waitcnt lgkmcnt(0)
	v_fma_f64 v[16:17], v[4:5], v[16:17], v[6:7]
	v_cndmask_b32_e64 v7, v7, v17, s[2:3]
	v_cndmask_b32_e64 v6, v6, v16, s[2:3]
	v_mul_f64 v[6:7], v[6:7], v[14:15]
.LBB5_78:
	s_or_b64 exec, exec, s[12:13]
	v_cmp_gt_u32_e32 vcc, 3, v0
	s_waitcnt vmcnt(3)
	ds_write_b64 v44, v[8:9]
	s_waitcnt lgkmcnt(0)
	; wave barrier
	s_and_saveexec_b64 s[12:13], vcc
	s_cbranch_execz .LBB5_86
; %bb.79:
	s_and_b64 vcc, exec, s[0:1]
	s_cbranch_vccnz .LBB5_81
; %bb.80:
	v_cmp_eq_u32_e32 vcc, 1, v0
	s_waitcnt vmcnt(1)
	v_cndmask_b32_e32 v14, v3, v5, vcc
	v_cmp_eq_u32_e64 s[4:5], 2, v0
	v_cndmask_b32_e64 v14, v14, v7, s[4:5]
	v_cmp_eq_u32_e64 s[6:7], 3, v0
	v_cndmask_b32_e64 v14, v14, v9, s[6:7]
	;; [unrolled: 2-line block ×3, first 2 shown]
	v_cmp_eq_u32_e64 s[10:11], 5, v0
	s_waitcnt vmcnt(0)
	v_cndmask_b32_e64 v15, v14, v13, s[10:11]
	v_cndmask_b32_e32 v14, v2, v4, vcc
	ds_read_b64 v[16:17], v44
	v_cndmask_b32_e64 v14, v14, v6, s[4:5]
	v_cndmask_b32_e64 v14, v14, v8, s[6:7]
	;; [unrolled: 1-line block ×4, first 2 shown]
	s_waitcnt lgkmcnt(0)
	v_mul_f64 v[14:15], v[14:15], v[16:17]
	s_cbranch_execz .LBB5_82
	s_branch .LBB5_83
.LBB5_81:
                                        ; implicit-def: $vgpr14_vgpr15
.LBB5_82:
	ds_read_b64 v[14:15], v44
.LBB5_83:
	v_cmp_ne_u32_e32 vcc, 2, v0
	s_and_saveexec_b64 s[14:15], vcc
	s_cbranch_execz .LBB5_85
; %bb.84:
	v_add_u32_e32 v16, 1, v0
	v_cmp_eq_u32_e32 vcc, 1, v16
	s_waitcnt vmcnt(1)
	v_cndmask_b32_e32 v17, v3, v5, vcc
	v_cmp_eq_u32_e64 s[4:5], 2, v16
	v_cmp_eq_u32_e64 s[6:7], 3, v16
	;; [unrolled: 1-line block ×4, first 2 shown]
	v_cndmask_b32_e32 v16, v2, v4, vcc
	v_cndmask_b32_e64 v17, v17, v7, s[4:5]
	v_cndmask_b32_e64 v16, v16, v6, s[4:5]
	;; [unrolled: 1-line block ×4, first 2 shown]
	ds_read_b64 v[16:17], v44 offset:8
	v_cndmask_b32_e64 v9, v9, v11, s[8:9]
	v_cndmask_b32_e64 v8, v8, v10, s[8:9]
	s_waitcnt vmcnt(0)
	v_cndmask_b32_e64 v9, v9, v13, s[10:11]
	v_cndmask_b32_e64 v8, v8, v12, s[10:11]
	v_mov_b32_e32 v18, 0
	ds_read_b64 v[18:19], v18 offset:64
	s_waitcnt lgkmcnt(1)
	v_fma_f64 v[8:9], v[8:9], v[16:17], v[14:15]
	s_waitcnt lgkmcnt(0)
	v_fma_f64 v[14:15], v[6:7], v[18:19], v[8:9]
	v_cndmask_b32_e64 v15, v9, v15, s[2:3]
	v_cndmask_b32_e64 v14, v8, v14, s[2:3]
.LBB5_85:
	s_or_b64 exec, exec, s[14:15]
	v_mov_b32_e32 v8, 0
	ds_read_b64 v[8:9], v8 offset:24
	s_waitcnt lgkmcnt(0)
	v_mul_f64 v[8:9], v[14:15], v[8:9]
.LBB5_86:
	s_or_b64 exec, exec, s[12:13]
	v_cmp_gt_u32_e64 s[2:3], 4, v0
	s_waitcnt vmcnt(2)
	ds_write_b64 v44, v[10:11]
	s_waitcnt lgkmcnt(0)
	; wave barrier
	s_and_saveexec_b64 s[12:13], s[2:3]
	s_cbranch_execz .LBB5_96
; %bb.87:
	s_and_b64 vcc, exec, s[0:1]
	s_cbranch_vccnz .LBB5_89
; %bb.88:
	v_cmp_eq_u32_e32 vcc, 1, v0
	s_waitcnt vmcnt(1)
	v_cndmask_b32_e32 v14, v3, v5, vcc
	v_cmp_eq_u32_e64 s[4:5], 2, v0
	v_cndmask_b32_e64 v14, v14, v7, s[4:5]
	v_cmp_eq_u32_e64 s[6:7], 3, v0
	v_cndmask_b32_e64 v14, v14, v9, s[6:7]
	;; [unrolled: 2-line block ×3, first 2 shown]
	v_cmp_eq_u32_e64 s[10:11], 5, v0
	s_waitcnt vmcnt(0)
	v_cndmask_b32_e64 v15, v14, v13, s[10:11]
	v_cndmask_b32_e32 v14, v2, v4, vcc
	ds_read_b64 v[16:17], v44
	v_cndmask_b32_e64 v14, v14, v6, s[4:5]
	v_cndmask_b32_e64 v14, v14, v8, s[6:7]
	;; [unrolled: 1-line block ×4, first 2 shown]
	s_waitcnt lgkmcnt(0)
	v_mul_f64 v[14:15], v[14:15], v[16:17]
	s_cbranch_execz .LBB5_90
	s_branch .LBB5_91
.LBB5_89:
                                        ; implicit-def: $vgpr14_vgpr15
.LBB5_90:
	ds_read_b64 v[14:15], v44
.LBB5_91:
	v_cmp_ne_u32_e32 vcc, 3, v0
	s_and_saveexec_b64 s[6:7], vcc
	s_cbranch_execz .LBB5_95
; %bb.92:
	v_mov_b32_e32 v17, v1
	v_lshl_add_u32 v18, v0, 3, 56
	s_mov_b64 s[8:9], 0
	v_mov_b32_e32 v16, v0
.LBB5_93:                               ; =>This Inner Loop Header: Depth=1
	v_add_co_u32_e32 v16, vcc, 1, v16
	v_addc_co_u32_e32 v17, vcc, 0, v17, vcc
	v_cmp_eq_u32_e32 vcc, 1, v16
	s_waitcnt vmcnt(1)
	v_cndmask_b32_e32 v21, v3, v5, vcc
	v_cmp_eq_u32_e64 s[4:5], 2, v16
	ds_read_b64 v[19:20], v18
	v_cndmask_b32_e64 v21, v21, v7, s[4:5]
	v_cndmask_b32_e32 v22, v2, v4, vcc
	v_cmp_eq_u32_e32 vcc, 3, v16
	v_cndmask_b32_e32 v21, v21, v9, vcc
	v_cndmask_b32_e64 v22, v22, v6, s[4:5]
	v_cmp_eq_u32_e64 s[4:5], 4, v16
	v_cndmask_b32_e64 v21, v21, v11, s[4:5]
	v_cndmask_b32_e32 v23, v22, v8, vcc
	v_cmp_eq_u32_e32 vcc, 5, v16
	s_waitcnt vmcnt(0)
	v_cndmask_b32_e32 v22, v21, v13, vcc
	v_cndmask_b32_e64 v21, v23, v10, s[4:5]
	v_cndmask_b32_e32 v21, v21, v12, vcc
	s_waitcnt lgkmcnt(0)
	v_fma_f64 v[14:15], v[21:22], v[19:20], v[14:15]
	v_cmp_lt_u32_e32 vcc, 2, v16
	s_or_b64 s[8:9], vcc, s[8:9]
	v_add_u32_e32 v18, 8, v18
	s_andn2_b64 exec, exec, s[8:9]
	s_cbranch_execnz .LBB5_93
; %bb.94:
	s_or_b64 exec, exec, s[8:9]
.LBB5_95:
	s_or_b64 exec, exec, s[6:7]
	v_mov_b32_e32 v10, 0
	ds_read_b64 v[10:11], v10 offset:32
	s_waitcnt lgkmcnt(0)
	v_mul_f64 v[10:11], v[14:15], v[10:11]
.LBB5_96:
	s_or_b64 exec, exec, s[12:13]
	v_cmp_ne_u32_e32 vcc, 5, v0
	s_waitcnt vmcnt(0)
	ds_write_b64 v44, v[12:13]
	s_waitcnt lgkmcnt(0)
	; wave barrier
	s_and_saveexec_b64 s[10:11], vcc
	s_cbranch_execz .LBB5_106
; %bb.97:
	s_and_b64 vcc, exec, s[0:1]
	s_cbranch_vccnz .LBB5_99
; %bb.98:
	v_cmp_eq_u32_e32 vcc, 1, v0
	v_cndmask_b32_e32 v14, v3, v5, vcc
	v_cmp_eq_u32_e64 s[0:1], 2, v0
	v_cndmask_b32_e64 v14, v14, v7, s[0:1]
	v_cmp_eq_u32_e64 s[4:5], 3, v0
	v_cndmask_b32_e64 v14, v14, v9, s[4:5]
	;; [unrolled: 2-line block ×4, first 2 shown]
	v_cndmask_b32_e32 v14, v2, v4, vcc
	ds_read_b64 v[16:17], v44
	v_cndmask_b32_e64 v14, v14, v6, s[0:1]
	v_cndmask_b32_e64 v14, v14, v8, s[4:5]
	;; [unrolled: 1-line block ×4, first 2 shown]
	s_waitcnt lgkmcnt(0)
	v_mul_f64 v[14:15], v[14:15], v[16:17]
	s_cbranch_execz .LBB5_100
	s_branch .LBB5_101
.LBB5_99:
                                        ; implicit-def: $vgpr14_vgpr15
.LBB5_100:
	ds_read_b64 v[14:15], v44
.LBB5_101:
	s_and_saveexec_b64 s[4:5], s[2:3]
	s_cbranch_execz .LBB5_105
; %bb.102:
	v_lshl_add_u32 v16, v0, 3, 56
	s_mov_b64 s[2:3], 0
.LBB5_103:                              ; =>This Inner Loop Header: Depth=1
	v_add_co_u32_e32 v0, vcc, 1, v0
	v_addc_co_u32_e32 v1, vcc, 0, v1, vcc
	v_cmp_eq_u32_e32 vcc, 1, v0
	v_cndmask_b32_e32 v19, v3, v5, vcc
	v_cmp_eq_u32_e64 s[0:1], 2, v0
	ds_read_b64 v[17:18], v16
	v_cndmask_b32_e64 v19, v19, v7, s[0:1]
	v_cndmask_b32_e32 v20, v2, v4, vcc
	v_cmp_eq_u32_e32 vcc, 3, v0
	v_cndmask_b32_e32 v19, v19, v9, vcc
	v_cndmask_b32_e64 v20, v20, v6, s[0:1]
	v_cmp_eq_u32_e64 s[0:1], 4, v0
	v_cndmask_b32_e64 v19, v19, v11, s[0:1]
	v_cndmask_b32_e32 v21, v20, v8, vcc
	v_cmp_eq_u32_e32 vcc, 5, v0
	v_cndmask_b32_e32 v20, v19, v13, vcc
	v_cndmask_b32_e64 v19, v21, v10, s[0:1]
	v_cndmask_b32_e32 v19, v19, v12, vcc
	s_waitcnt lgkmcnt(0)
	v_fma_f64 v[14:15], v[19:20], v[17:18], v[14:15]
	v_cmp_lt_u32_e32 vcc, 3, v0
	s_or_b64 s[2:3], vcc, s[2:3]
	v_add_u32_e32 v16, 8, v16
	s_andn2_b64 exec, exec, s[2:3]
	s_cbranch_execnz .LBB5_103
; %bb.104:
	s_or_b64 exec, exec, s[2:3]
.LBB5_105:
	s_or_b64 exec, exec, s[4:5]
	v_mov_b32_e32 v0, 0
	ds_read_b64 v[0:1], v0 offset:40
	s_waitcnt lgkmcnt(0)
	v_mul_f64 v[12:13], v[14:15], v[0:1]
.LBB5_106:
	s_or_b64 exec, exec, s[10:11]
	v_mov_b32_e32 v29, v17
	v_mov_b32_e32 v28, v16
	;; [unrolled: 1-line block ×16, first 2 shown]
.LBB5_107:
	global_store_dwordx2 v[30:31], v[14:15], off
	global_store_dwordx2 v[32:33], v[16:17], off
	;; [unrolled: 1-line block ×6, first 2 shown]
.LBB5_108:
	s_endpgm
	.section	.rodata,"a",@progbits
	.p2align	6, 0x0
	.amdhsa_kernel _ZN9rocsolver6v33100L18trti2_kernel_smallILi6EdPdEEv13rocblas_fill_17rocblas_diagonal_T1_iil
		.amdhsa_group_segment_fixed_size 96
		.amdhsa_private_segment_fixed_size 0
		.amdhsa_kernarg_size 32
		.amdhsa_user_sgpr_count 6
		.amdhsa_user_sgpr_private_segment_buffer 1
		.amdhsa_user_sgpr_dispatch_ptr 0
		.amdhsa_user_sgpr_queue_ptr 0
		.amdhsa_user_sgpr_kernarg_segment_ptr 1
		.amdhsa_user_sgpr_dispatch_id 0
		.amdhsa_user_sgpr_flat_scratch_init 0
		.amdhsa_user_sgpr_private_segment_size 0
		.amdhsa_uses_dynamic_stack 0
		.amdhsa_system_sgpr_private_segment_wavefront_offset 0
		.amdhsa_system_sgpr_workgroup_id_x 1
		.amdhsa_system_sgpr_workgroup_id_y 0
		.amdhsa_system_sgpr_workgroup_id_z 0
		.amdhsa_system_sgpr_workgroup_info 0
		.amdhsa_system_vgpr_workitem_id 0
		.amdhsa_next_free_vgpr 63
		.amdhsa_next_free_sgpr 20
		.amdhsa_reserve_vcc 1
		.amdhsa_reserve_flat_scratch 0
		.amdhsa_float_round_mode_32 0
		.amdhsa_float_round_mode_16_64 0
		.amdhsa_float_denorm_mode_32 3
		.amdhsa_float_denorm_mode_16_64 3
		.amdhsa_dx10_clamp 1
		.amdhsa_ieee_mode 1
		.amdhsa_fp16_overflow 0
		.amdhsa_exception_fp_ieee_invalid_op 0
		.amdhsa_exception_fp_denorm_src 0
		.amdhsa_exception_fp_ieee_div_zero 0
		.amdhsa_exception_fp_ieee_overflow 0
		.amdhsa_exception_fp_ieee_underflow 0
		.amdhsa_exception_fp_ieee_inexact 0
		.amdhsa_exception_int_div_zero 0
	.end_amdhsa_kernel
	.section	.text._ZN9rocsolver6v33100L18trti2_kernel_smallILi6EdPdEEv13rocblas_fill_17rocblas_diagonal_T1_iil,"axG",@progbits,_ZN9rocsolver6v33100L18trti2_kernel_smallILi6EdPdEEv13rocblas_fill_17rocblas_diagonal_T1_iil,comdat
.Lfunc_end5:
	.size	_ZN9rocsolver6v33100L18trti2_kernel_smallILi6EdPdEEv13rocblas_fill_17rocblas_diagonal_T1_iil, .Lfunc_end5-_ZN9rocsolver6v33100L18trti2_kernel_smallILi6EdPdEEv13rocblas_fill_17rocblas_diagonal_T1_iil
                                        ; -- End function
	.set _ZN9rocsolver6v33100L18trti2_kernel_smallILi6EdPdEEv13rocblas_fill_17rocblas_diagonal_T1_iil.num_vgpr, 63
	.set _ZN9rocsolver6v33100L18trti2_kernel_smallILi6EdPdEEv13rocblas_fill_17rocblas_diagonal_T1_iil.num_agpr, 0
	.set _ZN9rocsolver6v33100L18trti2_kernel_smallILi6EdPdEEv13rocblas_fill_17rocblas_diagonal_T1_iil.numbered_sgpr, 20
	.set _ZN9rocsolver6v33100L18trti2_kernel_smallILi6EdPdEEv13rocblas_fill_17rocblas_diagonal_T1_iil.num_named_barrier, 0
	.set _ZN9rocsolver6v33100L18trti2_kernel_smallILi6EdPdEEv13rocblas_fill_17rocblas_diagonal_T1_iil.private_seg_size, 0
	.set _ZN9rocsolver6v33100L18trti2_kernel_smallILi6EdPdEEv13rocblas_fill_17rocblas_diagonal_T1_iil.uses_vcc, 1
	.set _ZN9rocsolver6v33100L18trti2_kernel_smallILi6EdPdEEv13rocblas_fill_17rocblas_diagonal_T1_iil.uses_flat_scratch, 0
	.set _ZN9rocsolver6v33100L18trti2_kernel_smallILi6EdPdEEv13rocblas_fill_17rocblas_diagonal_T1_iil.has_dyn_sized_stack, 0
	.set _ZN9rocsolver6v33100L18trti2_kernel_smallILi6EdPdEEv13rocblas_fill_17rocblas_diagonal_T1_iil.has_recursion, 0
	.set _ZN9rocsolver6v33100L18trti2_kernel_smallILi6EdPdEEv13rocblas_fill_17rocblas_diagonal_T1_iil.has_indirect_call, 0
	.section	.AMDGPU.csdata,"",@progbits
; Kernel info:
; codeLenInByte = 5516
; TotalNumSgprs: 24
; NumVgprs: 63
; ScratchSize: 0
; MemoryBound: 0
; FloatMode: 240
; IeeeMode: 1
; LDSByteSize: 96 bytes/workgroup (compile time only)
; SGPRBlocks: 2
; VGPRBlocks: 15
; NumSGPRsForWavesPerEU: 24
; NumVGPRsForWavesPerEU: 63
; Occupancy: 4
; WaveLimiterHint : 0
; COMPUTE_PGM_RSRC2:SCRATCH_EN: 0
; COMPUTE_PGM_RSRC2:USER_SGPR: 6
; COMPUTE_PGM_RSRC2:TRAP_HANDLER: 0
; COMPUTE_PGM_RSRC2:TGID_X_EN: 1
; COMPUTE_PGM_RSRC2:TGID_Y_EN: 0
; COMPUTE_PGM_RSRC2:TGID_Z_EN: 0
; COMPUTE_PGM_RSRC2:TIDIG_COMP_CNT: 0
	.section	.text._ZN9rocsolver6v33100L18trti2_kernel_smallILi7EdPdEEv13rocblas_fill_17rocblas_diagonal_T1_iil,"axG",@progbits,_ZN9rocsolver6v33100L18trti2_kernel_smallILi7EdPdEEv13rocblas_fill_17rocblas_diagonal_T1_iil,comdat
	.globl	_ZN9rocsolver6v33100L18trti2_kernel_smallILi7EdPdEEv13rocblas_fill_17rocblas_diagonal_T1_iil ; -- Begin function _ZN9rocsolver6v33100L18trti2_kernel_smallILi7EdPdEEv13rocblas_fill_17rocblas_diagonal_T1_iil
	.p2align	8
	.type	_ZN9rocsolver6v33100L18trti2_kernel_smallILi7EdPdEEv13rocblas_fill_17rocblas_diagonal_T1_iil,@function
_ZN9rocsolver6v33100L18trti2_kernel_smallILi7EdPdEEv13rocblas_fill_17rocblas_diagonal_T1_iil: ; @_ZN9rocsolver6v33100L18trti2_kernel_smallILi7EdPdEEv13rocblas_fill_17rocblas_diagonal_T1_iil
; %bb.0:
	v_cmp_gt_u32_e32 vcc, 7, v0
	s_and_saveexec_b64 s[0:1], vcc
	s_cbranch_execz .LBB6_134
; %bb.1:
	s_load_dwordx8 s[12:19], s[4:5], 0x0
	s_ashr_i32 s2, s6, 31
	v_lshlrev_b32_e32 v18, 3, v0
	v_mov_b32_e32 v16, 0
	v_mov_b32_e32 v17, 0xbff00000
	s_waitcnt lgkmcnt(0)
	s_mul_hi_u32 s3, s18, s6
	s_mul_i32 s2, s18, s2
	s_add_i32 s2, s3, s2
	s_mul_i32 s3, s19, s6
	s_add_i32 s3, s2, s3
	s_mul_i32 s2, s18, s6
	s_ashr_i32 s1, s16, 31
	s_lshl_b64 s[2:3], s[2:3], 3
	s_mov_b32 s0, s16
	s_add_u32 s2, s14, s2
	s_addc_u32 s3, s15, s3
	s_lshl_b64 s[0:1], s[0:1], 3
	s_add_u32 s0, s2, s0
	s_addc_u32 s1, s3, s1
	v_mov_b32_e32 v1, s1
	v_add_co_u32_e32 v32, vcc, s0, v18
	s_ashr_i32 s3, s17, 31
	s_mov_b32 s2, s17
	v_addc_co_u32_e32 v33, vcc, 0, v1, vcc
	s_lshl_b64 s[2:3], s[2:3], 3
	v_mov_b32_e32 v1, s3
	v_add_co_u32_e32 v34, vcc, s2, v32
	s_add_i32 s2, s17, s17
	v_addc_co_u32_e32 v35, vcc, v33, v1, vcc
	v_add_u32_e32 v1, s2, v0
	v_ashrrev_i32_e32 v2, 31, v1
	v_lshlrev_b64 v[2:3], 3, v[1:2]
	v_add_u32_e32 v1, s17, v1
	v_mov_b32_e32 v4, s1
	v_add_co_u32_e32 v36, vcc, s0, v2
	v_ashrrev_i32_e32 v2, 31, v1
	v_addc_co_u32_e32 v37, vcc, v4, v3, vcc
	v_lshlrev_b64 v[2:3], 3, v[1:2]
	v_add_u32_e32 v1, s17, v1
	v_add_co_u32_e32 v38, vcc, s0, v2
	v_ashrrev_i32_e32 v2, 31, v1
	v_addc_co_u32_e32 v39, vcc, v4, v3, vcc
	v_lshlrev_b64 v[2:3], 3, v[1:2]
	v_add_u32_e32 v1, s17, v1
	;; [unrolled: 5-line block ×3, first 2 shown]
	v_add_co_u32_e32 v42, vcc, s0, v2
	v_ashrrev_i32_e32 v2, 31, v1
	v_lshlrev_b64 v[1:2], 3, v[1:2]
	v_addc_co_u32_e32 v43, vcc, v4, v3, vcc
	v_mov_b32_e32 v3, s1
	v_add_co_u32_e32 v44, vcc, s0, v1
	v_addc_co_u32_e32 v45, vcc, v3, v2, vcc
	global_load_dwordx2 v[4:5], v[34:35], off
	global_load_dwordx2 v[6:7], v[36:37], off
	;; [unrolled: 1-line block ×4, first 2 shown]
	global_load_dwordx2 v[2:3], v18, s[0:1]
	global_load_dwordx2 v[12:13], v[42:43], off
	global_load_dwordx2 v[14:15], v[44:45], off
	s_cmpk_lg_i32 s13, 0x84
	s_cselect_b64 s[14:15], -1, 0
	s_cmpk_eq_i32 s13, 0x84
	v_mov_b32_e32 v1, 0
	s_cbranch_scc1 .LBB6_3
; %bb.2:
	v_cmp_eq_u32_e64 s[0:1], 1, v0
	s_waitcnt vmcnt(2)
	v_cndmask_b32_e64 v16, v3, v5, s[0:1]
	v_cmp_eq_u32_e64 s[2:3], 2, v0
	v_cndmask_b32_e64 v16, v16, v7, s[2:3]
	v_cmp_eq_u32_e64 s[4:5], 3, v0
	;; [unrolled: 2-line block ×4, first 2 shown]
	s_waitcnt vmcnt(1)
	v_cndmask_b32_e64 v16, v16, v13, s[8:9]
	v_cmp_eq_u32_e64 s[10:11], 6, v0
	s_waitcnt vmcnt(0)
	v_cndmask_b32_e64 v17, v16, v15, s[10:11]
	v_cndmask_b32_e64 v16, v2, v4, s[0:1]
	;; [unrolled: 1-line block ×7, first 2 shown]
	v_div_scale_f64 v[19:20], s[16:17], v[16:17], v[16:17], 1.0
	v_rcp_f64_e32 v[21:22], v[19:20]
	v_fma_f64 v[23:24], -v[19:20], v[21:22], 1.0
	v_fma_f64 v[21:22], v[21:22], v[23:24], v[21:22]
	v_div_scale_f64 v[23:24], vcc, 1.0, v[16:17], 1.0
	v_fma_f64 v[25:26], -v[19:20], v[21:22], 1.0
	v_fma_f64 v[21:22], v[21:22], v[25:26], v[21:22]
	v_mul_f64 v[25:26], v[23:24], v[21:22]
	v_fma_f64 v[19:20], -v[19:20], v[25:26], v[23:24]
	v_div_fmas_f64 v[19:20], v[19:20], v[21:22], v[25:26]
	v_cmp_eq_u32_e32 vcc, 0, v0
	v_div_fixup_f64 v[16:17], v[19:20], v[16:17], 1.0
	v_cndmask_b32_e64 v15, v15, v17, s[10:11]
	v_cndmask_b32_e64 v14, v14, v16, s[10:11]
	;; [unrolled: 1-line block ×12, first 2 shown]
	v_cndmask_b32_e32 v3, v3, v17, vcc
	v_cndmask_b32_e32 v2, v2, v16, vcc
	v_xor_b32_e32 v17, 0x80000000, v17
.LBB6_3:
	s_cmpk_eq_i32 s12, 0x79
	v_add_u32_e32 v48, 64, v18
	ds_write_b64 v18, v[16:17]
	s_cbranch_scc1 .LBB6_7
; %bb.4:
	s_waitcnt vmcnt(0)
	v_mov_b32_e32 v31, v17
	v_mov_b32_e32 v30, v16
	;; [unrolled: 1-line block ×16, first 2 shown]
	v_cmp_eq_u32_e64 s[2:3], 6, v0
	ds_write_b64 v48, v[12:13]
	s_waitcnt lgkmcnt(0)
	; wave barrier
	s_and_saveexec_b64 s[12:13], s[2:3]
	s_cbranch_execz .LBB6_11
; %bb.5:
	s_and_b64 vcc, exec, s[14:15]
	s_cbranch_vccz .LBB6_8
; %bb.6:
	v_cmp_eq_u32_e32 vcc, 1, v0
	v_cndmask_b32_e32 v16, v3, v5, vcc
	v_cmp_eq_u32_e64 s[0:1], 2, v0
	v_cndmask_b32_e64 v16, v16, v7, s[0:1]
	v_cmp_eq_u32_e64 s[4:5], 3, v0
	v_cndmask_b32_e64 v16, v16, v9, s[4:5]
	;; [unrolled: 2-line block ×5, first 2 shown]
	v_cndmask_b32_e32 v16, v2, v4, vcc
	v_cndmask_b32_e64 v16, v16, v6, s[0:1]
	ds_read_b64 v[18:19], v48
	v_cndmask_b32_e64 v16, v16, v8, s[4:5]
	v_cndmask_b32_e64 v16, v16, v10, s[6:7]
	;; [unrolled: 1-line block ×4, first 2 shown]
	s_waitcnt lgkmcnt(0)
	v_mul_f64 v[20:21], v[16:17], v[18:19]
	s_cbranch_execz .LBB6_9
	s_branch .LBB6_10
.LBB6_7:
                                        ; implicit-def: $vgpr16_vgpr17_vgpr18_vgpr19_vgpr20_vgpr21_vgpr22_vgpr23_vgpr24_vgpr25_vgpr26_vgpr27_vgpr28_vgpr29_vgpr30_vgpr31
	s_cbranch_execnz .LBB6_82
	s_branch .LBB6_133
.LBB6_8:
                                        ; implicit-def: $vgpr20_vgpr21
.LBB6_9:
	ds_read_b64 v[20:21], v48
.LBB6_10:
	v_mov_b32_e32 v16, 0
	ds_read_b64 v[22:23], v16 offset:40
	v_mov_b32_e32 v16, v2
	v_mov_b32_e32 v17, v3
	;; [unrolled: 1-line block ×4, first 2 shown]
	s_waitcnt lgkmcnt(0)
	v_mul_f64 v[26:27], v[20:21], v[22:23]
	v_mov_b32_e32 v20, v6
	v_mov_b32_e32 v21, v7
	;; [unrolled: 1-line block ×8, first 2 shown]
.LBB6_11:
	s_or_b64 exec, exec, s[12:13]
	v_cmp_lt_u32_e64 s[0:1], 4, v0
	ds_write_b64 v48, v[24:25]
	s_waitcnt lgkmcnt(0)
	; wave barrier
	s_and_saveexec_b64 s[16:17], s[0:1]
	s_cbranch_execz .LBB6_17
; %bb.12:
	s_andn2_b64 vcc, exec, s[14:15]
	s_cbranch_vccnz .LBB6_14
; %bb.13:
	v_cmp_eq_u32_e32 vcc, 1, v0
	v_cndmask_b32_e32 v30, v17, v19, vcc
	v_cmp_eq_u32_e64 s[4:5], 2, v0
	v_cndmask_b32_e64 v30, v30, v21, s[4:5]
	v_cmp_eq_u32_e64 s[6:7], 3, v0
	v_cndmask_b32_e64 v30, v30, v23, s[6:7]
	;; [unrolled: 2-line block ×3, first 2 shown]
	v_cndmask_b32_e32 v30, v16, v18, vcc
	v_cndmask_b32_e64 v46, v30, v20, s[4:5]
	ds_read_b64 v[30:31], v48
	v_cndmask_b32_e64 v46, v46, v22, s[6:7]
	v_cmp_eq_u32_e64 s[10:11], 5, v0
	v_cndmask_b32_e64 v24, v46, v24, s[8:9]
	v_cndmask_b32_e64 v25, v25, v27, s[10:11]
	v_cmp_eq_u32_e64 s[12:13], 6, v0
	v_cndmask_b32_e64 v24, v24, v26, s[10:11]
	v_cndmask_b32_e64 v25, v25, v29, s[12:13]
	;; [unrolled: 1-line block ×3, first 2 shown]
	s_waitcnt lgkmcnt(0)
	v_mul_f64 v[24:25], v[24:25], v[30:31]
	s_cbranch_execz .LBB6_15
	s_branch .LBB6_16
.LBB6_14:
                                        ; implicit-def: $vgpr24_vgpr25
.LBB6_15:
	ds_read_b64 v[24:25], v48
.LBB6_16:
	v_mov_b32_e32 v30, 0
	ds_read2_b64 v[49:52], v30 offset0:4 offset1:13
	s_waitcnt lgkmcnt(0)
	v_fma_f64 v[30:31], v[26:27], v[51:52], v[24:25]
	v_cndmask_b32_e64 v25, v25, v31, s[2:3]
	v_cndmask_b32_e64 v24, v24, v30, s[2:3]
	v_mul_f64 v[24:25], v[24:25], v[49:50]
.LBB6_17:
	s_or_b64 exec, exec, s[16:17]
	v_cmp_lt_u32_e64 s[2:3], 3, v0
	ds_write_b64 v48, v[22:23]
	s_waitcnt lgkmcnt(0)
	; wave barrier
	s_and_saveexec_b64 s[16:17], s[2:3]
	s_cbranch_execz .LBB6_33
; %bb.18:
	s_andn2_b64 vcc, exec, s[14:15]
	s_cbranch_vccnz .LBB6_20
; %bb.19:
	v_cmp_eq_u32_e32 vcc, 1, v0
	v_cndmask_b32_e32 v46, v17, v19, vcc
	v_cmp_eq_u32_e64 s[4:5], 2, v0
	v_cndmask_b32_e64 v46, v46, v21, s[4:5]
	v_cmp_eq_u32_e64 s[6:7], 3, v0
	v_cndmask_b32_e64 v46, v46, v23, s[6:7]
	;; [unrolled: 2-line block ×5, first 2 shown]
	v_cndmask_b32_e32 v46, v16, v18, vcc
	v_cndmask_b32_e64 v46, v46, v20, s[4:5]
	ds_read_b64 v[49:50], v48
	v_cndmask_b32_e64 v46, v46, v22, s[6:7]
	v_cndmask_b32_e64 v46, v46, v24, s[8:9]
	v_cndmask_b32_e64 v46, v46, v26, s[10:11]
	v_cndmask_b32_e64 v46, v46, v28, s[12:13]
	s_waitcnt lgkmcnt(0)
	v_mul_f64 v[46:47], v[46:47], v[49:50]
	s_cbranch_execz .LBB6_21
	s_branch .LBB6_22
.LBB6_20:
                                        ; implicit-def: $vgpr46_vgpr47
.LBB6_21:
	ds_read_b64 v[46:47], v48
.LBB6_22:
	s_and_saveexec_b64 s[4:5], s[0:1]
	s_cbranch_execz .LBB6_32
; %bb.23:
	v_add_u32_e32 v50, -5, v0
	v_add_u32_e32 v49, -4, v0
	v_cmp_lt_u32_e32 vcc, 6, v50
	v_mov_b32_e32 v51, 4
	s_and_saveexec_b64 s[0:1], vcc
	s_cbranch_execz .LBB6_27
; %bb.24:
	v_and_b32_e32 v50, -8, v49
	v_sub_u32_e32 v50, 0, v50
	s_mov_b64 s[6:7], 5
	s_movk_i32 s10, 0x60
	s_mov_b64 s[8:9], 0
.LBB6_25:                               ; =>This Inner Loop Header: Depth=1
	s_lshl_b32 s11, s6, 1
	s_add_i32 s12, s11, -1
	v_mov_b32_e32 v63, s10
	s_add_i32 s13, s11, -2
	s_set_gpr_idx_on s12, gpr_idx(SRC0)
	v_mov_b32_e32 v56, v16
	s_set_gpr_idx_off
	s_set_gpr_idx_on s13, gpr_idx(SRC0)
	v_mov_b32_e32 v55, v16
	s_set_gpr_idx_off
	ds_read_b128 v[51:54], v63
	s_add_i32 s12, s11, 3
	s_add_i32 s13, s11, 2
	s_waitcnt lgkmcnt(0)
	v_fma_f64 v[46:47], v[55:56], v[51:52], v[46:47]
	ds_read_b128 v[55:58], v63 offset:16
	ds_read_b128 v[59:62], v63 offset:32
	;; [unrolled: 1-line block ×3, first 2 shown]
	s_set_gpr_idx_on s11, gpr_idx(SRC0)
	v_mov_b32_e32 v52, v17
	v_mov_b32_e32 v51, v16
	s_set_gpr_idx_off
	v_fma_f64 v[46:47], v[51:52], v[53:54], v[46:47]
	s_set_gpr_idx_on s12, gpr_idx(SRC0)
	v_mov_b32_e32 v52, v16
	s_set_gpr_idx_off
	s_set_gpr_idx_on s13, gpr_idx(SRC0)
	v_mov_b32_e32 v51, v16
	s_set_gpr_idx_off
	s_add_i32 s12, s11, 5
	s_add_i32 s13, s11, 4
	s_waitcnt lgkmcnt(2)
	v_fma_f64 v[46:47], v[51:52], v[55:56], v[46:47]
	s_set_gpr_idx_on s12, gpr_idx(SRC0)
	v_mov_b32_e32 v52, v16
	s_set_gpr_idx_off
	s_set_gpr_idx_on s13, gpr_idx(SRC0)
	v_mov_b32_e32 v51, v16
	s_set_gpr_idx_off
	s_add_i32 s12, s11, 7
	s_add_i32 s13, s11, 6
	v_fma_f64 v[46:47], v[51:52], v[57:58], v[46:47]
	s_set_gpr_idx_on s12, gpr_idx(SRC0)
	v_mov_b32_e32 v52, v16
	s_set_gpr_idx_off
	s_set_gpr_idx_on s13, gpr_idx(SRC0)
	v_mov_b32_e32 v51, v16
	s_set_gpr_idx_off
	s_add_i32 s12, s11, 9
	s_add_i32 s13, s11, 8
	s_waitcnt lgkmcnt(1)
	v_fma_f64 v[46:47], v[51:52], v[59:60], v[46:47]
	s_set_gpr_idx_on s12, gpr_idx(SRC0)
	v_mov_b32_e32 v52, v16
	s_set_gpr_idx_off
	s_set_gpr_idx_on s13, gpr_idx(SRC0)
	v_mov_b32_e32 v51, v16
	s_set_gpr_idx_off
	s_add_i32 s12, s11, 11
	s_add_i32 s13, s11, 10
	v_fma_f64 v[46:47], v[51:52], v[61:62], v[46:47]
	s_set_gpr_idx_on s12, gpr_idx(SRC0)
	v_mov_b32_e32 v52, v16
	s_set_gpr_idx_off
	s_set_gpr_idx_on s13, gpr_idx(SRC0)
	v_mov_b32_e32 v51, v16
	s_set_gpr_idx_off
	s_add_i32 s12, s11, 13
	s_add_i32 s11, s11, 12
	s_add_u32 s6, s6, 8
	s_addc_u32 s7, s7, 0
	s_add_i32 s10, s10, 64
	s_waitcnt lgkmcnt(0)
	v_fma_f64 v[46:47], v[51:52], v[63:64], v[46:47]
	s_set_gpr_idx_on s12, gpr_idx(SRC0)
	v_mov_b32_e32 v52, v16
	s_set_gpr_idx_off
	s_set_gpr_idx_on s11, gpr_idx(SRC0)
	v_mov_b32_e32 v51, v16
	s_set_gpr_idx_off
	s_add_i32 s11, s6, -1
	v_fma_f64 v[46:47], v[51:52], v[65:66], v[46:47]
	v_add_u32_e32 v51, s6, v50
	v_cmp_eq_u32_e32 vcc, 5, v51
	s_or_b64 s[8:9], vcc, s[8:9]
	v_mov_b32_e32 v51, s11
	s_andn2_b64 exec, exec, s[8:9]
	s_cbranch_execnz .LBB6_25
; %bb.26:
	s_or_b64 exec, exec, s[8:9]
.LBB6_27:
	s_or_b64 exec, exec, s[0:1]
	v_and_b32_e32 v30, 7, v49
	v_cmp_ne_u32_e32 vcc, 0, v30
	s_and_saveexec_b64 s[6:7], vcc
	s_cbranch_execz .LBB6_31
; %bb.28:
	v_lshl_add_u32 v31, v51, 3, 64
	v_mov_b32_e32 v49, 0
	s_mov_b64 s[8:9], 0
.LBB6_29:                               ; =>This Inner Loop Header: Depth=1
	v_cmp_eq_u32_e32 vcc, 1, v51
	v_cndmask_b32_e32 v50, v17, v19, vcc
	v_cmp_eq_u32_e64 s[0:1], 2, v51
	v_cndmask_b32_e64 v50, v50, v21, s[0:1]
	v_cndmask_b32_e32 v54, v16, v18, vcc
	v_cmp_eq_u32_e32 vcc, 3, v51
	ds_read_b64 v[52:53], v31
	v_cndmask_b32_e32 v50, v50, v23, vcc
	v_cndmask_b32_e64 v54, v54, v20, s[0:1]
	v_cmp_eq_u32_e64 s[0:1], 4, v51
	v_cndmask_b32_e64 v50, v50, v25, s[0:1]
	v_cndmask_b32_e32 v54, v54, v22, vcc
	v_cmp_eq_u32_e32 vcc, 5, v51
	v_cndmask_b32_e32 v50, v50, v27, vcc
	v_cndmask_b32_e64 v54, v54, v24, s[0:1]
	v_cmp_eq_u32_e64 s[0:1], 6, v51
	v_cndmask_b32_e64 v55, v50, v29, s[0:1]
	v_cndmask_b32_e32 v50, v54, v26, vcc
	v_cndmask_b32_e64 v54, v50, v28, s[0:1]
	s_waitcnt lgkmcnt(0)
	v_fma_f64 v[46:47], v[54:55], v[52:53], v[46:47]
	v_add_u32_e32 v30, -1, v30
	v_cmp_eq_u32_e32 vcc, 0, v30
	s_or_b64 s[8:9], vcc, s[8:9]
	v_add_co_u32_e32 v51, vcc, 1, v51
	v_add_u32_e32 v31, 8, v31
	v_addc_co_u32_e32 v49, vcc, 0, v49, vcc
	s_andn2_b64 exec, exec, s[8:9]
	s_cbranch_execnz .LBB6_29
; %bb.30:
	s_or_b64 exec, exec, s[8:9]
.LBB6_31:
	s_or_b64 exec, exec, s[6:7]
.LBB6_32:
	s_or_b64 exec, exec, s[4:5]
	v_mov_b32_e32 v22, 0
	ds_read_b64 v[22:23], v22 offset:24
	s_waitcnt lgkmcnt(0)
	v_mul_f64 v[22:23], v[46:47], v[22:23]
.LBB6_33:
	s_or_b64 exec, exec, s[16:17]
	v_cmp_lt_u32_e64 s[0:1], 2, v0
	ds_write_b64 v48, v[20:21]
	s_waitcnt lgkmcnt(0)
	; wave barrier
	s_and_saveexec_b64 s[16:17], s[0:1]
	s_cbranch_execz .LBB6_49
; %bb.34:
	s_andn2_b64 vcc, exec, s[14:15]
	s_cbranch_vccnz .LBB6_36
; %bb.35:
	v_cmp_eq_u32_e32 vcc, 1, v0
	v_cndmask_b32_e32 v46, v17, v19, vcc
	v_cmp_eq_u32_e64 s[4:5], 2, v0
	v_cndmask_b32_e64 v46, v46, v21, s[4:5]
	v_cmp_eq_u32_e64 s[6:7], 3, v0
	v_cndmask_b32_e64 v46, v46, v23, s[6:7]
	;; [unrolled: 2-line block ×5, first 2 shown]
	v_cndmask_b32_e32 v46, v16, v18, vcc
	v_cndmask_b32_e64 v46, v46, v20, s[4:5]
	ds_read_b64 v[49:50], v48
	v_cndmask_b32_e64 v46, v46, v22, s[6:7]
	v_cndmask_b32_e64 v46, v46, v24, s[8:9]
	;; [unrolled: 1-line block ×4, first 2 shown]
	s_waitcnt lgkmcnt(0)
	v_mul_f64 v[46:47], v[46:47], v[49:50]
	s_cbranch_execz .LBB6_37
	s_branch .LBB6_38
.LBB6_36:
                                        ; implicit-def: $vgpr46_vgpr47
.LBB6_37:
	ds_read_b64 v[46:47], v48
.LBB6_38:
	s_and_saveexec_b64 s[4:5], s[2:3]
	s_cbranch_execz .LBB6_48
; %bb.39:
	v_add_u32_e32 v50, -4, v0
	v_add_u32_e32 v49, -3, v0
	v_cmp_lt_u32_e32 vcc, 6, v50
	v_mov_b32_e32 v51, 3
	s_and_saveexec_b64 s[2:3], vcc
	s_cbranch_execz .LBB6_43
; %bb.40:
	v_and_b32_e32 v50, -8, v49
	v_sub_u32_e32 v50, 0, v50
	s_mov_b64 s[6:7], 10
	s_movk_i32 s10, 0x58
	s_mov_b64 s[8:9], 0
.LBB6_41:                               ; =>This Inner Loop Header: Depth=1
	s_lshl_b32 s11, s6, 1
	s_add_i32 s12, s11, -13
	v_mov_b32_e32 v57, s10
	s_add_i32 s13, s11, -14
	s_set_gpr_idx_on s12, gpr_idx(SRC0)
	v_mov_b32_e32 v56, v16
	s_set_gpr_idx_off
	s_set_gpr_idx_on s13, gpr_idx(SRC0)
	v_mov_b32_e32 v55, v16
	s_set_gpr_idx_off
	ds_read2_b64 v[51:54], v57 offset1:1
	s_add_i32 s12, s11, -11
	s_add_i32 s13, s11, -12
	;; [unrolled: 1-line block ×4, first 2 shown]
	s_waitcnt lgkmcnt(0)
	v_fma_f64 v[46:47], v[55:56], v[51:52], v[46:47]
	s_set_gpr_idx_on s12, gpr_idx(SRC0)
	v_mov_b32_e32 v52, v16
	s_set_gpr_idx_off
	s_set_gpr_idx_on s13, gpr_idx(SRC0)
	v_mov_b32_e32 v51, v16
	s_set_gpr_idx_off
	s_add_i32 s12, s11, -7
	s_add_i32 s13, s11, -8
	v_fma_f64 v[46:47], v[51:52], v[53:54], v[46:47]
	s_set_gpr_idx_on s18, gpr_idx(SRC0)
	v_mov_b32_e32 v56, v16
	s_set_gpr_idx_off
	s_set_gpr_idx_on s19, gpr_idx(SRC0)
	v_mov_b32_e32 v55, v16
	s_set_gpr_idx_off
	ds_read2_b64 v[51:54], v57 offset0:2 offset1:3
	s_add_i32 s18, s11, -5
	s_add_i32 s19, s11, -6
	s_waitcnt lgkmcnt(0)
	v_fma_f64 v[46:47], v[55:56], v[51:52], v[46:47]
	s_set_gpr_idx_on s12, gpr_idx(SRC0)
	v_mov_b32_e32 v52, v16
	s_set_gpr_idx_off
	s_set_gpr_idx_on s13, gpr_idx(SRC0)
	v_mov_b32_e32 v51, v16
	s_set_gpr_idx_off
	s_add_i32 s12, s11, -3
	s_add_i32 s13, s11, -4
	v_fma_f64 v[46:47], v[51:52], v[53:54], v[46:47]
	s_set_gpr_idx_on s18, gpr_idx(SRC0)
	v_mov_b32_e32 v56, v16
	s_set_gpr_idx_off
	s_set_gpr_idx_on s19, gpr_idx(SRC0)
	v_mov_b32_e32 v55, v16
	s_set_gpr_idx_off
	ds_read2_b64 v[51:54], v57 offset0:4 offset1:5
	s_add_i32 s18, s11, -1
	s_add_i32 s19, s11, -2
	s_add_u32 s6, s6, 8
	s_addc_u32 s7, s7, 0
	s_waitcnt lgkmcnt(0)
	v_fma_f64 v[46:47], v[55:56], v[51:52], v[46:47]
	s_set_gpr_idx_on s12, gpr_idx(SRC0)
	v_mov_b32_e32 v52, v16
	s_set_gpr_idx_off
	s_set_gpr_idx_on s13, gpr_idx(SRC0)
	v_mov_b32_e32 v51, v16
	s_set_gpr_idx_off
	s_add_i32 s10, s10, 64
	v_fma_f64 v[46:47], v[51:52], v[53:54], v[46:47]
	s_set_gpr_idx_on s18, gpr_idx(SRC0)
	v_mov_b32_e32 v56, v16
	s_set_gpr_idx_off
	s_set_gpr_idx_on s19, gpr_idx(SRC0)
	v_mov_b32_e32 v55, v16
	s_set_gpr_idx_off
	ds_read2_b64 v[51:54], v57 offset0:6 offset1:7
	s_waitcnt lgkmcnt(0)
	v_fma_f64 v[46:47], v[55:56], v[51:52], v[46:47]
	s_set_gpr_idx_on s11, gpr_idx(SRC0)
	v_mov_b32_e32 v52, v17
	v_mov_b32_e32 v51, v16
	s_set_gpr_idx_off
	s_add_i32 s11, s6, -7
	v_fma_f64 v[46:47], v[51:52], v[53:54], v[46:47]
	v_add_u32_e32 v51, s6, v50
	v_cmp_eq_u32_e32 vcc, 10, v51
	s_or_b64 s[8:9], vcc, s[8:9]
	v_mov_b32_e32 v51, s11
	s_andn2_b64 exec, exec, s[8:9]
	s_cbranch_execnz .LBB6_41
; %bb.42:
	s_or_b64 exec, exec, s[8:9]
.LBB6_43:
	s_or_b64 exec, exec, s[2:3]
	v_and_b32_e32 v30, 7, v49
	v_cmp_ne_u32_e32 vcc, 0, v30
	s_and_saveexec_b64 s[6:7], vcc
	s_cbranch_execz .LBB6_47
; %bb.44:
	v_lshl_add_u32 v31, v51, 3, 64
	v_mov_b32_e32 v49, 0
	s_mov_b64 s[8:9], 0
.LBB6_45:                               ; =>This Inner Loop Header: Depth=1
	v_cmp_eq_u32_e32 vcc, 1, v51
	v_cndmask_b32_e32 v50, v17, v19, vcc
	v_cmp_eq_u32_e64 s[2:3], 2, v51
	v_cndmask_b32_e64 v50, v50, v21, s[2:3]
	v_cndmask_b32_e32 v54, v16, v18, vcc
	v_cmp_eq_u32_e32 vcc, 3, v51
	ds_read_b64 v[52:53], v31
	v_cndmask_b32_e32 v50, v50, v23, vcc
	v_cndmask_b32_e64 v54, v54, v20, s[2:3]
	v_cmp_eq_u32_e64 s[2:3], 4, v51
	v_cndmask_b32_e64 v50, v50, v25, s[2:3]
	v_cndmask_b32_e32 v54, v54, v22, vcc
	v_cmp_eq_u32_e32 vcc, 5, v51
	v_cndmask_b32_e32 v50, v50, v27, vcc
	v_cndmask_b32_e64 v54, v54, v24, s[2:3]
	v_cmp_eq_u32_e64 s[2:3], 6, v51
	v_cndmask_b32_e64 v55, v50, v29, s[2:3]
	v_cndmask_b32_e32 v50, v54, v26, vcc
	v_cndmask_b32_e64 v54, v50, v28, s[2:3]
	s_waitcnt lgkmcnt(0)
	v_fma_f64 v[46:47], v[54:55], v[52:53], v[46:47]
	v_add_u32_e32 v30, -1, v30
	v_cmp_eq_u32_e32 vcc, 0, v30
	s_or_b64 s[8:9], vcc, s[8:9]
	v_add_co_u32_e32 v51, vcc, 1, v51
	v_add_u32_e32 v31, 8, v31
	v_addc_co_u32_e32 v49, vcc, 0, v49, vcc
	s_andn2_b64 exec, exec, s[8:9]
	s_cbranch_execnz .LBB6_45
; %bb.46:
	s_or_b64 exec, exec, s[8:9]
.LBB6_47:
	s_or_b64 exec, exec, s[6:7]
.LBB6_48:
	s_or_b64 exec, exec, s[4:5]
	v_mov_b32_e32 v20, 0
	ds_read_b64 v[20:21], v20 offset:16
	s_waitcnt lgkmcnt(0)
	v_mul_f64 v[20:21], v[46:47], v[20:21]
.LBB6_49:
	s_or_b64 exec, exec, s[16:17]
	v_cmp_lt_u32_e64 s[2:3], 1, v0
	ds_write_b64 v48, v[18:19]
	s_waitcnt lgkmcnt(0)
	; wave barrier
	s_and_saveexec_b64 s[16:17], s[2:3]
	s_cbranch_execz .LBB6_65
; %bb.50:
	s_andn2_b64 vcc, exec, s[14:15]
	s_cbranch_vccnz .LBB6_52
; %bb.51:
	v_cmp_eq_u32_e32 vcc, 1, v0
	v_cndmask_b32_e32 v46, v17, v19, vcc
	v_cmp_eq_u32_e64 s[4:5], 2, v0
	v_cndmask_b32_e64 v46, v46, v21, s[4:5]
	v_cmp_eq_u32_e64 s[6:7], 3, v0
	v_cndmask_b32_e64 v46, v46, v23, s[6:7]
	;; [unrolled: 2-line block ×5, first 2 shown]
	v_cndmask_b32_e32 v46, v16, v18, vcc
	v_cndmask_b32_e64 v46, v46, v20, s[4:5]
	ds_read_b64 v[49:50], v48
	v_cndmask_b32_e64 v46, v46, v22, s[6:7]
	v_cndmask_b32_e64 v46, v46, v24, s[8:9]
	;; [unrolled: 1-line block ×4, first 2 shown]
	s_waitcnt lgkmcnt(0)
	v_mul_f64 v[46:47], v[46:47], v[49:50]
	s_cbranch_execz .LBB6_53
	s_branch .LBB6_54
.LBB6_52:
                                        ; implicit-def: $vgpr46_vgpr47
.LBB6_53:
	ds_read_b64 v[46:47], v48
.LBB6_54:
	s_and_saveexec_b64 s[4:5], s[0:1]
	s_cbranch_execz .LBB6_64
; %bb.55:
	v_add_u32_e32 v50, -3, v0
	v_add_u32_e32 v49, -2, v0
	v_cmp_lt_u32_e32 vcc, 6, v50
	v_mov_b32_e32 v51, 2
	s_and_saveexec_b64 s[0:1], vcc
	s_cbranch_execz .LBB6_59
; %bb.56:
	v_and_b32_e32 v50, -8, v49
	v_sub_u32_e32 v50, 0, v50
	s_mov_b64 s[6:7], 9
	s_movk_i32 s10, 0x50
	s_mov_b64 s[8:9], 0
.LBB6_57:                               ; =>This Inner Loop Header: Depth=1
	s_lshl_b32 s11, s6, 1
	s_add_i32 s12, s11, -13
	v_mov_b32_e32 v63, s10
	s_add_i32 s13, s11, -14
	s_set_gpr_idx_on s12, gpr_idx(SRC0)
	v_mov_b32_e32 v60, v16
	s_set_gpr_idx_off
	s_set_gpr_idx_on s13, gpr_idx(SRC0)
	v_mov_b32_e32 v59, v16
	s_set_gpr_idx_off
	ds_read_b128 v[51:54], v63
	ds_read_b128 v[55:58], v63 offset:16
	s_add_i32 s12, s11, -11
	s_add_i32 s13, s11, -12
	s_waitcnt lgkmcnt(1)
	v_fma_f64 v[46:47], v[59:60], v[51:52], v[46:47]
	ds_read_b128 v[59:62], v63 offset:32
	ds_read_b128 v[63:66], v63 offset:48
	s_set_gpr_idx_on s12, gpr_idx(SRC0)
	v_mov_b32_e32 v52, v16
	s_set_gpr_idx_off
	s_set_gpr_idx_on s13, gpr_idx(SRC0)
	v_mov_b32_e32 v51, v16
	s_set_gpr_idx_off
	s_add_i32 s12, s11, -9
	s_add_i32 s13, s11, -10
	v_fma_f64 v[46:47], v[51:52], v[53:54], v[46:47]
	s_set_gpr_idx_on s12, gpr_idx(SRC0)
	v_mov_b32_e32 v52, v16
	s_set_gpr_idx_off
	s_set_gpr_idx_on s13, gpr_idx(SRC0)
	v_mov_b32_e32 v51, v16
	s_set_gpr_idx_off
	s_add_i32 s12, s11, -7
	s_add_i32 s13, s11, -8
	s_waitcnt lgkmcnt(2)
	v_fma_f64 v[46:47], v[51:52], v[55:56], v[46:47]
	s_set_gpr_idx_on s12, gpr_idx(SRC0)
	v_mov_b32_e32 v52, v16
	s_set_gpr_idx_off
	s_set_gpr_idx_on s13, gpr_idx(SRC0)
	v_mov_b32_e32 v51, v16
	s_set_gpr_idx_off
	s_add_i32 s12, s11, -5
	s_add_i32 s13, s11, -6
	v_fma_f64 v[46:47], v[51:52], v[57:58], v[46:47]
	s_set_gpr_idx_on s12, gpr_idx(SRC0)
	v_mov_b32_e32 v52, v16
	s_set_gpr_idx_off
	s_set_gpr_idx_on s13, gpr_idx(SRC0)
	v_mov_b32_e32 v51, v16
	s_set_gpr_idx_off
	s_add_i32 s12, s11, -3
	s_add_i32 s13, s11, -4
	s_waitcnt lgkmcnt(1)
	v_fma_f64 v[46:47], v[51:52], v[59:60], v[46:47]
	s_set_gpr_idx_on s12, gpr_idx(SRC0)
	v_mov_b32_e32 v52, v16
	s_set_gpr_idx_off
	s_set_gpr_idx_on s13, gpr_idx(SRC0)
	v_mov_b32_e32 v51, v16
	s_set_gpr_idx_off
	s_add_i32 s12, s11, -1
	s_add_i32 s13, s11, -2
	s_add_u32 s6, s6, 8
	s_addc_u32 s7, s7, 0
	s_add_i32 s10, s10, 64
	v_fma_f64 v[46:47], v[51:52], v[61:62], v[46:47]
	s_set_gpr_idx_on s12, gpr_idx(SRC0)
	v_mov_b32_e32 v52, v16
	s_set_gpr_idx_off
	s_set_gpr_idx_on s13, gpr_idx(SRC0)
	v_mov_b32_e32 v51, v16
	s_set_gpr_idx_off
	s_waitcnt lgkmcnt(0)
	v_fma_f64 v[46:47], v[51:52], v[63:64], v[46:47]
	s_set_gpr_idx_on s11, gpr_idx(SRC0)
	v_mov_b32_e32 v52, v17
	v_mov_b32_e32 v51, v16
	s_set_gpr_idx_off
	s_add_i32 s11, s6, -7
	v_fma_f64 v[46:47], v[51:52], v[65:66], v[46:47]
	v_add_u32_e32 v51, s6, v50
	v_cmp_eq_u32_e32 vcc, 9, v51
	s_or_b64 s[8:9], vcc, s[8:9]
	v_mov_b32_e32 v51, s11
	s_andn2_b64 exec, exec, s[8:9]
	s_cbranch_execnz .LBB6_57
; %bb.58:
	s_or_b64 exec, exec, s[8:9]
.LBB6_59:
	s_or_b64 exec, exec, s[0:1]
	v_and_b32_e32 v30, 7, v49
	v_cmp_ne_u32_e32 vcc, 0, v30
	s_and_saveexec_b64 s[6:7], vcc
	s_cbranch_execz .LBB6_63
; %bb.60:
	v_lshl_add_u32 v31, v51, 3, 64
	v_mov_b32_e32 v49, 0
	s_mov_b64 s[8:9], 0
.LBB6_61:                               ; =>This Inner Loop Header: Depth=1
	v_cmp_eq_u32_e32 vcc, 1, v51
	v_cndmask_b32_e32 v50, v17, v19, vcc
	v_cmp_eq_u32_e64 s[0:1], 2, v51
	v_cndmask_b32_e64 v50, v50, v21, s[0:1]
	v_cndmask_b32_e32 v54, v16, v18, vcc
	v_cmp_eq_u32_e32 vcc, 3, v51
	ds_read_b64 v[52:53], v31
	v_cndmask_b32_e32 v50, v50, v23, vcc
	v_cndmask_b32_e64 v54, v54, v20, s[0:1]
	v_cmp_eq_u32_e64 s[0:1], 4, v51
	v_cndmask_b32_e64 v50, v50, v25, s[0:1]
	v_cndmask_b32_e32 v54, v54, v22, vcc
	v_cmp_eq_u32_e32 vcc, 5, v51
	v_cndmask_b32_e32 v50, v50, v27, vcc
	v_cndmask_b32_e64 v54, v54, v24, s[0:1]
	v_cmp_eq_u32_e64 s[0:1], 6, v51
	v_cndmask_b32_e64 v55, v50, v29, s[0:1]
	v_cndmask_b32_e32 v50, v54, v26, vcc
	v_cndmask_b32_e64 v54, v50, v28, s[0:1]
	s_waitcnt lgkmcnt(0)
	v_fma_f64 v[46:47], v[54:55], v[52:53], v[46:47]
	v_add_u32_e32 v30, -1, v30
	v_cmp_eq_u32_e32 vcc, 0, v30
	s_or_b64 s[8:9], vcc, s[8:9]
	v_add_co_u32_e32 v51, vcc, 1, v51
	v_add_u32_e32 v31, 8, v31
	v_addc_co_u32_e32 v49, vcc, 0, v49, vcc
	s_andn2_b64 exec, exec, s[8:9]
	s_cbranch_execnz .LBB6_61
; %bb.62:
	s_or_b64 exec, exec, s[8:9]
.LBB6_63:
	s_or_b64 exec, exec, s[6:7]
.LBB6_64:
	s_or_b64 exec, exec, s[4:5]
	v_mov_b32_e32 v18, 0
	ds_read_b64 v[18:19], v18 offset:8
	s_waitcnt lgkmcnt(0)
	v_mul_f64 v[18:19], v[46:47], v[18:19]
.LBB6_65:
	s_or_b64 exec, exec, s[16:17]
	v_cmp_ne_u32_e32 vcc, 0, v0
	ds_write_b64 v48, v[16:17]
	s_waitcnt lgkmcnt(0)
	; wave barrier
	s_and_saveexec_b64 s[12:13], vcc
	s_cbranch_execz .LBB6_81
; %bb.66:
	s_andn2_b64 vcc, exec, s[14:15]
	s_cbranch_vccnz .LBB6_68
; %bb.67:
	v_cmp_eq_u32_e32 vcc, 1, v0
	v_cndmask_b32_e32 v46, v17, v19, vcc
	v_cmp_eq_u32_e64 s[0:1], 2, v0
	v_cndmask_b32_e64 v46, v46, v21, s[0:1]
	v_cmp_eq_u32_e64 s[4:5], 3, v0
	v_cndmask_b32_e64 v46, v46, v23, s[4:5]
	;; [unrolled: 2-line block ×5, first 2 shown]
	v_cndmask_b32_e32 v46, v16, v18, vcc
	v_cndmask_b32_e64 v46, v46, v20, s[0:1]
	ds_read_b64 v[49:50], v48
	v_cndmask_b32_e64 v46, v46, v22, s[4:5]
	v_cndmask_b32_e64 v46, v46, v24, s[6:7]
	;; [unrolled: 1-line block ×4, first 2 shown]
	s_waitcnt lgkmcnt(0)
	v_mul_f64 v[46:47], v[46:47], v[49:50]
	s_cbranch_execz .LBB6_69
	s_branch .LBB6_70
.LBB6_68:
                                        ; implicit-def: $vgpr46_vgpr47
.LBB6_69:
	ds_read_b64 v[46:47], v48
.LBB6_70:
	s_and_saveexec_b64 s[4:5], s[2:3]
	s_cbranch_execz .LBB6_80
; %bb.71:
	v_add_u32_e32 v50, -2, v0
	v_add_u32_e32 v49, -1, v0
	v_cmp_lt_u32_e32 vcc, 6, v50
	v_mov_b32_e32 v51, 1
	s_and_saveexec_b64 s[0:1], vcc
	s_cbranch_execz .LBB6_75
; %bb.72:
	v_and_b32_e32 v50, -8, v49
	v_sub_u32_e32 v50, 0, v50
	s_mov_b64 s[2:3], 8
	s_movk_i32 s8, 0x48
	s_mov_b64 s[6:7], 0
.LBB6_73:                               ; =>This Inner Loop Header: Depth=1
	s_lshl_b32 s9, s2, 1
	s_add_i32 s10, s9, -13
	v_mov_b32_e32 v57, s8
	s_add_i32 s11, s9, -14
	s_set_gpr_idx_on s10, gpr_idx(SRC0)
	v_mov_b32_e32 v56, v16
	s_set_gpr_idx_off
	s_set_gpr_idx_on s11, gpr_idx(SRC0)
	v_mov_b32_e32 v55, v16
	s_set_gpr_idx_off
	ds_read2_b64 v[51:54], v57 offset1:1
	s_add_i32 s10, s9, -11
	s_add_i32 s11, s9, -12
	;; [unrolled: 1-line block ×4, first 2 shown]
	s_waitcnt lgkmcnt(0)
	v_fma_f64 v[46:47], v[55:56], v[51:52], v[46:47]
	s_set_gpr_idx_on s10, gpr_idx(SRC0)
	v_mov_b32_e32 v52, v16
	s_set_gpr_idx_off
	s_set_gpr_idx_on s11, gpr_idx(SRC0)
	v_mov_b32_e32 v51, v16
	s_set_gpr_idx_off
	s_add_i32 s10, s9, -7
	s_add_i32 s11, s9, -8
	v_fma_f64 v[46:47], v[51:52], v[53:54], v[46:47]
	s_set_gpr_idx_on s16, gpr_idx(SRC0)
	v_mov_b32_e32 v56, v16
	s_set_gpr_idx_off
	s_set_gpr_idx_on s17, gpr_idx(SRC0)
	v_mov_b32_e32 v55, v16
	s_set_gpr_idx_off
	ds_read2_b64 v[51:54], v57 offset0:2 offset1:3
	s_add_i32 s16, s9, -5
	s_add_i32 s17, s9, -6
	s_waitcnt lgkmcnt(0)
	v_fma_f64 v[46:47], v[55:56], v[51:52], v[46:47]
	s_set_gpr_idx_on s10, gpr_idx(SRC0)
	v_mov_b32_e32 v52, v16
	s_set_gpr_idx_off
	s_set_gpr_idx_on s11, gpr_idx(SRC0)
	v_mov_b32_e32 v51, v16
	s_set_gpr_idx_off
	s_add_i32 s10, s9, -3
	s_add_i32 s11, s9, -4
	v_fma_f64 v[46:47], v[51:52], v[53:54], v[46:47]
	s_set_gpr_idx_on s16, gpr_idx(SRC0)
	v_mov_b32_e32 v56, v16
	s_set_gpr_idx_off
	s_set_gpr_idx_on s17, gpr_idx(SRC0)
	v_mov_b32_e32 v55, v16
	s_set_gpr_idx_off
	ds_read2_b64 v[51:54], v57 offset0:4 offset1:5
	s_add_i32 s16, s9, -1
	s_add_i32 s17, s9, -2
	s_add_u32 s2, s2, 8
	s_addc_u32 s3, s3, 0
	s_waitcnt lgkmcnt(0)
	v_fma_f64 v[46:47], v[55:56], v[51:52], v[46:47]
	s_set_gpr_idx_on s10, gpr_idx(SRC0)
	v_mov_b32_e32 v52, v16
	s_set_gpr_idx_off
	s_set_gpr_idx_on s11, gpr_idx(SRC0)
	v_mov_b32_e32 v51, v16
	s_set_gpr_idx_off
	s_add_i32 s8, s8, 64
	v_fma_f64 v[46:47], v[51:52], v[53:54], v[46:47]
	s_set_gpr_idx_on s16, gpr_idx(SRC0)
	v_mov_b32_e32 v56, v16
	s_set_gpr_idx_off
	s_set_gpr_idx_on s17, gpr_idx(SRC0)
	v_mov_b32_e32 v55, v16
	s_set_gpr_idx_off
	ds_read2_b64 v[51:54], v57 offset0:6 offset1:7
	s_waitcnt lgkmcnt(0)
	v_fma_f64 v[46:47], v[55:56], v[51:52], v[46:47]
	s_set_gpr_idx_on s9, gpr_idx(SRC0)
	v_mov_b32_e32 v52, v17
	v_mov_b32_e32 v51, v16
	s_set_gpr_idx_off
	s_add_i32 s9, s2, -7
	v_fma_f64 v[46:47], v[51:52], v[53:54], v[46:47]
	v_add_u32_e32 v51, s2, v50
	v_cmp_eq_u32_e32 vcc, 8, v51
	s_or_b64 s[6:7], vcc, s[6:7]
	v_mov_b32_e32 v51, s9
	s_andn2_b64 exec, exec, s[6:7]
	s_cbranch_execnz .LBB6_73
; %bb.74:
	s_or_b64 exec, exec, s[6:7]
.LBB6_75:
	s_or_b64 exec, exec, s[0:1]
	v_and_b32_e32 v30, 7, v49
	v_cmp_ne_u32_e32 vcc, 0, v30
	s_and_saveexec_b64 s[2:3], vcc
	s_cbranch_execz .LBB6_79
; %bb.76:
	v_lshl_add_u32 v31, v51, 3, 64
	v_mov_b32_e32 v49, 0
	s_mov_b64 s[6:7], 0
.LBB6_77:                               ; =>This Inner Loop Header: Depth=1
	v_cmp_eq_u32_e32 vcc, 1, v51
	v_cndmask_b32_e32 v50, v17, v19, vcc
	v_cmp_eq_u32_e64 s[0:1], 2, v51
	v_cndmask_b32_e64 v50, v50, v21, s[0:1]
	v_cndmask_b32_e32 v54, v16, v18, vcc
	v_cmp_eq_u32_e32 vcc, 3, v51
	ds_read_b64 v[52:53], v31
	v_cndmask_b32_e32 v50, v50, v23, vcc
	v_cndmask_b32_e64 v54, v54, v20, s[0:1]
	v_cmp_eq_u32_e64 s[0:1], 4, v51
	v_cndmask_b32_e64 v50, v50, v25, s[0:1]
	v_cndmask_b32_e32 v54, v54, v22, vcc
	v_cmp_eq_u32_e32 vcc, 5, v51
	v_cndmask_b32_e32 v50, v50, v27, vcc
	v_cndmask_b32_e64 v54, v54, v24, s[0:1]
	v_cmp_eq_u32_e64 s[0:1], 6, v51
	v_cndmask_b32_e64 v55, v50, v29, s[0:1]
	v_cndmask_b32_e32 v50, v54, v26, vcc
	v_cndmask_b32_e64 v54, v50, v28, s[0:1]
	s_waitcnt lgkmcnt(0)
	v_fma_f64 v[46:47], v[54:55], v[52:53], v[46:47]
	v_add_u32_e32 v30, -1, v30
	v_cmp_eq_u32_e32 vcc, 0, v30
	s_or_b64 s[6:7], vcc, s[6:7]
	v_add_co_u32_e32 v51, vcc, 1, v51
	v_add_u32_e32 v31, 8, v31
	v_addc_co_u32_e32 v49, vcc, 0, v49, vcc
	s_andn2_b64 exec, exec, s[6:7]
	s_cbranch_execnz .LBB6_77
; %bb.78:
	s_or_b64 exec, exec, s[6:7]
.LBB6_79:
	s_or_b64 exec, exec, s[2:3]
.LBB6_80:
	s_or_b64 exec, exec, s[4:5]
	v_mov_b32_e32 v16, 0
	ds_read_b64 v[16:17], v16
	s_waitcnt lgkmcnt(0)
	v_mul_f64 v[16:17], v[46:47], v[16:17]
.LBB6_81:
	s_or_b64 exec, exec, s[12:13]
	s_branch .LBB6_133
.LBB6_82:
	v_cmp_eq_u32_e64 s[2:3], 0, v0
	s_waitcnt vmcnt(6)
	ds_write_b64 v48, v[4:5]
	s_waitcnt lgkmcnt(0)
	; wave barrier
	s_and_saveexec_b64 s[12:13], s[2:3]
	s_cbranch_execz .LBB6_88
; %bb.83:
	s_and_b64 vcc, exec, s[14:15]
	s_cbranch_vccz .LBB6_85
; %bb.84:
	v_cmp_eq_u32_e32 vcc, 1, v0
	s_waitcnt vmcnt(2)
	v_cndmask_b32_e32 v5, v3, v5, vcc
	v_cmp_eq_u32_e64 s[0:1], 2, v0
	v_cndmask_b32_e32 v4, v2, v4, vcc
	v_cndmask_b32_e64 v5, v5, v7, s[0:1]
	v_cmp_eq_u32_e64 s[4:5], 3, v0
	v_cndmask_b32_e64 v4, v4, v6, s[0:1]
	ds_read_b64 v[16:17], v48
	v_cndmask_b32_e64 v5, v5, v9, s[4:5]
	v_cmp_eq_u32_e64 s[6:7], 4, v0
	v_cndmask_b32_e64 v4, v4, v8, s[4:5]
	v_cndmask_b32_e64 v5, v5, v11, s[6:7]
	v_cmp_eq_u32_e64 s[8:9], 5, v0
	v_cndmask_b32_e64 v4, v4, v10, s[6:7]
	s_waitcnt vmcnt(1)
	v_cndmask_b32_e64 v5, v5, v13, s[8:9]
	v_cmp_eq_u32_e64 s[10:11], 6, v0
	v_cndmask_b32_e64 v4, v4, v12, s[8:9]
	s_waitcnt vmcnt(0)
	v_cndmask_b32_e64 v5, v5, v15, s[10:11]
	v_cndmask_b32_e64 v4, v4, v14, s[10:11]
	s_waitcnt lgkmcnt(0)
	v_mul_f64 v[4:5], v[4:5], v[16:17]
	s_cbranch_execz .LBB6_86
	s_branch .LBB6_87
.LBB6_85:
                                        ; implicit-def: $vgpr4_vgpr5
.LBB6_86:
	ds_read_b64 v[4:5], v48
.LBB6_87:
	v_mov_b32_e32 v16, 0
	ds_read_b64 v[16:17], v16 offset:8
	s_waitcnt lgkmcnt(0)
	v_mul_f64 v[4:5], v[4:5], v[16:17]
.LBB6_88:
	s_or_b64 exec, exec, s[12:13]
	v_cndmask_b32_e64 v16, 0, 1, s[14:15]
	v_cmp_gt_u32_e32 vcc, 2, v0
	v_cmp_ne_u32_e64 s[0:1], 1, v16
	s_waitcnt vmcnt(5)
	ds_write_b64 v48, v[6:7]
	s_waitcnt lgkmcnt(0)
	; wave barrier
	s_and_saveexec_b64 s[14:15], vcc
	s_cbranch_execz .LBB6_94
; %bb.89:
	s_and_b64 vcc, exec, s[0:1]
	s_cbranch_vccnz .LBB6_91
; %bb.90:
	v_cmp_eq_u32_e32 vcc, 1, v0
	s_waitcnt vmcnt(2)
	v_cndmask_b32_e32 v16, v3, v5, vcc
	v_cmp_eq_u32_e64 s[4:5], 2, v0
	v_cndmask_b32_e64 v7, v16, v7, s[4:5]
	v_cndmask_b32_e32 v16, v2, v4, vcc
	v_cmp_eq_u32_e64 s[6:7], 3, v0
	v_cndmask_b32_e64 v6, v16, v6, s[4:5]
	ds_read_b64 v[16:17], v48
	v_cndmask_b32_e64 v7, v7, v9, s[6:7]
	v_cmp_eq_u32_e64 s[8:9], 4, v0
	v_cndmask_b32_e64 v6, v6, v8, s[6:7]
	v_cndmask_b32_e64 v7, v7, v11, s[8:9]
	v_cmp_eq_u32_e64 s[10:11], 5, v0
	v_cndmask_b32_e64 v6, v6, v10, s[8:9]
	s_waitcnt vmcnt(1)
	v_cndmask_b32_e64 v7, v7, v13, s[10:11]
	v_cmp_eq_u32_e64 s[12:13], 6, v0
	v_cndmask_b32_e64 v6, v6, v12, s[10:11]
	s_waitcnt vmcnt(0)
	v_cndmask_b32_e64 v7, v7, v15, s[12:13]
	v_cndmask_b32_e64 v6, v6, v14, s[12:13]
	s_waitcnt lgkmcnt(0)
	v_mul_f64 v[6:7], v[6:7], v[16:17]
	s_cbranch_execz .LBB6_92
	s_branch .LBB6_93
.LBB6_91:
                                        ; implicit-def: $vgpr6_vgpr7
.LBB6_92:
	ds_read_b64 v[6:7], v48
.LBB6_93:
	v_mov_b32_e32 v16, 0
	ds_read2_b64 v[16:19], v16 offset0:2 offset1:9
	s_waitcnt lgkmcnt(0)
	v_fma_f64 v[18:19], v[4:5], v[18:19], v[6:7]
	v_cndmask_b32_e64 v7, v7, v19, s[2:3]
	v_cndmask_b32_e64 v6, v6, v18, s[2:3]
	v_mul_f64 v[6:7], v[6:7], v[16:17]
.LBB6_94:
	s_or_b64 exec, exec, s[14:15]
	v_cmp_gt_u32_e32 vcc, 3, v0
	s_waitcnt vmcnt(4)
	ds_write_b64 v48, v[8:9]
	s_waitcnt lgkmcnt(0)
	; wave barrier
	s_and_saveexec_b64 s[14:15], vcc
	s_cbranch_execz .LBB6_102
; %bb.95:
	s_and_b64 vcc, exec, s[0:1]
	s_cbranch_vccnz .LBB6_97
; %bb.96:
	v_cmp_eq_u32_e32 vcc, 1, v0
	s_waitcnt vmcnt(2)
	v_cndmask_b32_e32 v16, v3, v5, vcc
	v_cmp_eq_u32_e64 s[4:5], 2, v0
	v_cndmask_b32_e64 v16, v16, v7, s[4:5]
	v_cmp_eq_u32_e64 s[6:7], 3, v0
	v_cndmask_b32_e64 v16, v16, v9, s[6:7]
	;; [unrolled: 2-line block ×3, first 2 shown]
	v_cmp_eq_u32_e64 s[10:11], 5, v0
	s_waitcnt vmcnt(1)
	v_cndmask_b32_e64 v16, v16, v13, s[10:11]
	v_cmp_eq_u32_e64 s[12:13], 6, v0
	s_waitcnt vmcnt(0)
	v_cndmask_b32_e64 v17, v16, v15, s[12:13]
	v_cndmask_b32_e32 v16, v2, v4, vcc
	v_cndmask_b32_e64 v16, v16, v6, s[4:5]
	ds_read_b64 v[18:19], v48
	v_cndmask_b32_e64 v16, v16, v8, s[6:7]
	v_cndmask_b32_e64 v16, v16, v10, s[8:9]
	;; [unrolled: 1-line block ×4, first 2 shown]
	s_waitcnt lgkmcnt(0)
	v_mul_f64 v[16:17], v[16:17], v[18:19]
	s_cbranch_execz .LBB6_98
	s_branch .LBB6_99
.LBB6_97:
                                        ; implicit-def: $vgpr16_vgpr17
.LBB6_98:
	ds_read_b64 v[16:17], v48
.LBB6_99:
	v_cmp_ne_u32_e32 vcc, 2, v0
	s_and_saveexec_b64 s[16:17], vcc
	s_cbranch_execz .LBB6_101
; %bb.100:
	v_add_u32_e32 v18, 1, v0
	v_cmp_eq_u32_e32 vcc, 1, v18
	s_waitcnt vmcnt(2)
	v_cndmask_b32_e32 v19, v3, v5, vcc
	v_cmp_eq_u32_e64 s[4:5], 2, v18
	v_cmp_eq_u32_e64 s[6:7], 3, v18
	;; [unrolled: 1-line block ×5, first 2 shown]
	v_cndmask_b32_e32 v18, v2, v4, vcc
	v_cndmask_b32_e64 v19, v19, v7, s[4:5]
	v_cndmask_b32_e64 v18, v18, v6, s[4:5]
	v_cndmask_b32_e64 v9, v19, v9, s[6:7]
	v_cndmask_b32_e64 v8, v18, v8, s[6:7]
	ds_read_b64 v[18:19], v48 offset:8
	v_cndmask_b32_e64 v9, v9, v11, s[8:9]
	v_cndmask_b32_e64 v8, v8, v10, s[8:9]
	s_waitcnt vmcnt(1)
	v_cndmask_b32_e64 v9, v9, v13, s[10:11]
	v_cndmask_b32_e64 v8, v8, v12, s[10:11]
	s_waitcnt vmcnt(0)
	v_cndmask_b32_e64 v9, v9, v15, s[12:13]
	v_cndmask_b32_e64 v8, v8, v14, s[12:13]
	v_mov_b32_e32 v20, 0
	ds_read_b64 v[20:21], v20 offset:80
	s_waitcnt lgkmcnt(1)
	v_fma_f64 v[8:9], v[8:9], v[18:19], v[16:17]
	s_waitcnt lgkmcnt(0)
	v_fma_f64 v[16:17], v[6:7], v[20:21], v[8:9]
	v_cndmask_b32_e64 v17, v9, v17, s[2:3]
	v_cndmask_b32_e64 v16, v8, v16, s[2:3]
.LBB6_101:
	s_or_b64 exec, exec, s[16:17]
	v_mov_b32_e32 v8, 0
	ds_read_b64 v[8:9], v8 offset:24
	s_waitcnt lgkmcnt(0)
	v_mul_f64 v[8:9], v[16:17], v[8:9]
.LBB6_102:
	s_or_b64 exec, exec, s[14:15]
	v_cmp_gt_u32_e32 vcc, 4, v0
	s_waitcnt vmcnt(3)
	ds_write_b64 v48, v[10:11]
	s_waitcnt lgkmcnt(0)
	; wave barrier
	s_and_saveexec_b64 s[12:13], vcc
	s_cbranch_execz .LBB6_112
; %bb.103:
	s_and_b64 vcc, exec, s[0:1]
	s_cbranch_vccnz .LBB6_105
; %bb.104:
	v_cmp_eq_u32_e32 vcc, 1, v0
	s_waitcnt vmcnt(2)
	v_cndmask_b32_e32 v16, v3, v5, vcc
	v_cmp_eq_u32_e64 s[2:3], 2, v0
	v_cndmask_b32_e64 v16, v16, v7, s[2:3]
	v_cmp_eq_u32_e64 s[4:5], 3, v0
	v_cndmask_b32_e64 v16, v16, v9, s[4:5]
	;; [unrolled: 2-line block ×3, first 2 shown]
	v_cmp_eq_u32_e64 s[8:9], 5, v0
	s_waitcnt vmcnt(1)
	v_cndmask_b32_e64 v16, v16, v13, s[8:9]
	v_cmp_eq_u32_e64 s[10:11], 6, v0
	s_waitcnt vmcnt(0)
	v_cndmask_b32_e64 v17, v16, v15, s[10:11]
	v_cndmask_b32_e32 v16, v2, v4, vcc
	v_cndmask_b32_e64 v16, v16, v6, s[2:3]
	ds_read_b64 v[18:19], v48
	v_cndmask_b32_e64 v16, v16, v8, s[4:5]
	v_cndmask_b32_e64 v16, v16, v10, s[6:7]
	;; [unrolled: 1-line block ×4, first 2 shown]
	s_waitcnt lgkmcnt(0)
	v_mul_f64 v[16:17], v[16:17], v[18:19]
	s_cbranch_execz .LBB6_106
	s_branch .LBB6_107
.LBB6_105:
                                        ; implicit-def: $vgpr16_vgpr17
.LBB6_106:
	ds_read_b64 v[16:17], v48
.LBB6_107:
	v_cmp_ne_u32_e32 vcc, 3, v0
	s_and_saveexec_b64 s[4:5], vcc
	s_cbranch_execz .LBB6_111
; %bb.108:
	v_mov_b32_e32 v18, 0x48
	v_lshl_add_u32 v20, v0, 3, v18
	v_mov_b32_e32 v19, v1
	s_mov_b64 s[6:7], 0
	v_mov_b32_e32 v18, v0
.LBB6_109:                              ; =>This Inner Loop Header: Depth=1
	v_add_co_u32_e32 v18, vcc, 1, v18
	v_addc_co_u32_e32 v19, vcc, 0, v19, vcc
	v_cmp_eq_u32_e32 vcc, 1, v18
	s_waitcnt vmcnt(2)
	v_cndmask_b32_e32 v23, v3, v5, vcc
	v_cmp_eq_u32_e64 s[2:3], 2, v18
	v_cndmask_b32_e64 v23, v23, v7, s[2:3]
	v_cndmask_b32_e32 v24, v2, v4, vcc
	v_cmp_eq_u32_e32 vcc, 3, v18
	ds_read_b64 v[21:22], v20
	v_cndmask_b32_e32 v23, v23, v9, vcc
	v_cndmask_b32_e64 v24, v24, v6, s[2:3]
	v_cmp_eq_u32_e64 s[2:3], 4, v18
	v_cndmask_b32_e64 v23, v23, v11, s[2:3]
	v_cndmask_b32_e32 v24, v24, v8, vcc
	v_cmp_eq_u32_e32 vcc, 5, v18
	s_waitcnt vmcnt(1)
	v_cndmask_b32_e32 v23, v23, v13, vcc
	v_cndmask_b32_e64 v25, v24, v10, s[2:3]
	v_cmp_eq_u32_e64 s[2:3], 6, v18
	s_waitcnt vmcnt(0)
	v_cndmask_b32_e64 v24, v23, v15, s[2:3]
	v_cndmask_b32_e32 v23, v25, v12, vcc
	v_cndmask_b32_e64 v23, v23, v14, s[2:3]
	s_waitcnt lgkmcnt(0)
	v_fma_f64 v[16:17], v[23:24], v[21:22], v[16:17]
	v_cmp_lt_u32_e32 vcc, 2, v18
	s_or_b64 s[6:7], vcc, s[6:7]
	v_add_u32_e32 v20, 8, v20
	s_andn2_b64 exec, exec, s[6:7]
	s_cbranch_execnz .LBB6_109
; %bb.110:
	s_or_b64 exec, exec, s[6:7]
.LBB6_111:
	s_or_b64 exec, exec, s[4:5]
	v_mov_b32_e32 v10, 0
	ds_read_b64 v[10:11], v10 offset:32
	s_waitcnt lgkmcnt(0)
	v_mul_f64 v[10:11], v[16:17], v[10:11]
.LBB6_112:
	s_or_b64 exec, exec, s[12:13]
	v_cmp_gt_u32_e64 s[2:3], 5, v0
	s_waitcnt vmcnt(1)
	ds_write_b64 v48, v[12:13]
	s_waitcnt lgkmcnt(0)
	; wave barrier
	s_and_saveexec_b64 s[14:15], s[2:3]
	s_cbranch_execz .LBB6_122
; %bb.113:
	s_and_b64 vcc, exec, s[0:1]
	s_cbranch_vccnz .LBB6_115
; %bb.114:
	v_cmp_eq_u32_e32 vcc, 1, v0
	v_cndmask_b32_e32 v16, v3, v5, vcc
	v_cmp_eq_u32_e64 s[4:5], 2, v0
	v_cndmask_b32_e64 v16, v16, v7, s[4:5]
	v_cmp_eq_u32_e64 s[6:7], 3, v0
	v_cndmask_b32_e64 v16, v16, v9, s[6:7]
	;; [unrolled: 2-line block ×4, first 2 shown]
	v_cmp_eq_u32_e64 s[12:13], 6, v0
	s_waitcnt vmcnt(0)
	v_cndmask_b32_e64 v17, v16, v15, s[12:13]
	v_cndmask_b32_e32 v16, v2, v4, vcc
	v_cndmask_b32_e64 v16, v16, v6, s[4:5]
	ds_read_b64 v[18:19], v48
	v_cndmask_b32_e64 v16, v16, v8, s[6:7]
	v_cndmask_b32_e64 v16, v16, v10, s[8:9]
	;; [unrolled: 1-line block ×4, first 2 shown]
	s_waitcnt lgkmcnt(0)
	v_mul_f64 v[16:17], v[16:17], v[18:19]
	s_cbranch_execz .LBB6_116
	s_branch .LBB6_117
.LBB6_115:
                                        ; implicit-def: $vgpr16_vgpr17
.LBB6_116:
	ds_read_b64 v[16:17], v48
.LBB6_117:
	v_cmp_ne_u32_e32 vcc, 4, v0
	s_and_saveexec_b64 s[6:7], vcc
	s_cbranch_execz .LBB6_121
; %bb.118:
	v_mov_b32_e32 v18, 0x48
	v_lshl_add_u32 v20, v0, 3, v18
	v_mov_b32_e32 v19, v1
	s_mov_b64 s[8:9], 0
	v_mov_b32_e32 v18, v0
.LBB6_119:                              ; =>This Inner Loop Header: Depth=1
	v_add_co_u32_e32 v18, vcc, 1, v18
	v_addc_co_u32_e32 v19, vcc, 0, v19, vcc
	v_cmp_eq_u32_e32 vcc, 1, v18
	v_cndmask_b32_e32 v23, v3, v5, vcc
	v_cmp_eq_u32_e64 s[4:5], 2, v18
	v_cndmask_b32_e64 v23, v23, v7, s[4:5]
	v_cndmask_b32_e32 v24, v2, v4, vcc
	v_cmp_eq_u32_e32 vcc, 3, v18
	ds_read_b64 v[21:22], v20
	v_cndmask_b32_e32 v23, v23, v9, vcc
	v_cndmask_b32_e64 v24, v24, v6, s[4:5]
	v_cmp_eq_u32_e64 s[4:5], 4, v18
	v_cndmask_b32_e64 v23, v23, v11, s[4:5]
	v_cndmask_b32_e32 v24, v24, v8, vcc
	v_cmp_eq_u32_e32 vcc, 5, v18
	v_cndmask_b32_e32 v23, v23, v13, vcc
	v_cndmask_b32_e64 v25, v24, v10, s[4:5]
	v_cmp_eq_u32_e64 s[4:5], 6, v18
	s_waitcnt vmcnt(0)
	v_cndmask_b32_e64 v24, v23, v15, s[4:5]
	v_cndmask_b32_e32 v23, v25, v12, vcc
	v_cndmask_b32_e64 v23, v23, v14, s[4:5]
	s_waitcnt lgkmcnt(0)
	v_fma_f64 v[16:17], v[23:24], v[21:22], v[16:17]
	v_cmp_lt_u32_e32 vcc, 3, v18
	s_or_b64 s[8:9], vcc, s[8:9]
	v_add_u32_e32 v20, 8, v20
	s_andn2_b64 exec, exec, s[8:9]
	s_cbranch_execnz .LBB6_119
; %bb.120:
	s_or_b64 exec, exec, s[8:9]
.LBB6_121:
	s_or_b64 exec, exec, s[6:7]
	v_mov_b32_e32 v12, 0
	ds_read_b64 v[12:13], v12 offset:40
	s_waitcnt lgkmcnt(0)
	v_mul_f64 v[12:13], v[16:17], v[12:13]
.LBB6_122:
	s_or_b64 exec, exec, s[14:15]
	v_cmp_ne_u32_e32 vcc, 6, v0
	s_waitcnt vmcnt(0)
	ds_write_b64 v48, v[14:15]
	s_waitcnt lgkmcnt(0)
	; wave barrier
	s_and_saveexec_b64 s[12:13], vcc
	s_cbranch_execz .LBB6_132
; %bb.123:
	s_and_b64 vcc, exec, s[0:1]
	s_cbranch_vccnz .LBB6_125
; %bb.124:
	v_cmp_eq_u32_e32 vcc, 1, v0
	v_cndmask_b32_e32 v16, v3, v5, vcc
	v_cmp_eq_u32_e64 s[0:1], 2, v0
	v_cndmask_b32_e64 v16, v16, v7, s[0:1]
	v_cmp_eq_u32_e64 s[4:5], 3, v0
	v_cndmask_b32_e64 v16, v16, v9, s[4:5]
	;; [unrolled: 2-line block ×5, first 2 shown]
	v_cndmask_b32_e32 v16, v2, v4, vcc
	v_cndmask_b32_e64 v16, v16, v6, s[0:1]
	ds_read_b64 v[18:19], v48
	v_cndmask_b32_e64 v16, v16, v8, s[4:5]
	v_cndmask_b32_e64 v16, v16, v10, s[6:7]
	;; [unrolled: 1-line block ×4, first 2 shown]
	s_waitcnt lgkmcnt(0)
	v_mul_f64 v[16:17], v[16:17], v[18:19]
	s_cbranch_execz .LBB6_126
	s_branch .LBB6_127
.LBB6_125:
                                        ; implicit-def: $vgpr16_vgpr17
.LBB6_126:
	ds_read_b64 v[16:17], v48
.LBB6_127:
	s_and_saveexec_b64 s[4:5], s[2:3]
	s_cbranch_execz .LBB6_131
; %bb.128:
	v_mov_b32_e32 v18, 0x48
	v_lshl_add_u32 v18, v0, 3, v18
	s_mov_b64 s[2:3], 0
.LBB6_129:                              ; =>This Inner Loop Header: Depth=1
	v_add_co_u32_e32 v0, vcc, 1, v0
	v_addc_co_u32_e32 v1, vcc, 0, v1, vcc
	v_cmp_eq_u32_e32 vcc, 1, v0
	v_cndmask_b32_e32 v21, v3, v5, vcc
	v_cmp_eq_u32_e64 s[0:1], 2, v0
	v_cndmask_b32_e64 v21, v21, v7, s[0:1]
	v_cndmask_b32_e32 v22, v2, v4, vcc
	v_cmp_eq_u32_e32 vcc, 3, v0
	ds_read_b64 v[19:20], v18
	v_cndmask_b32_e32 v21, v21, v9, vcc
	v_cndmask_b32_e64 v22, v22, v6, s[0:1]
	v_cmp_eq_u32_e64 s[0:1], 4, v0
	v_cndmask_b32_e64 v21, v21, v11, s[0:1]
	v_cndmask_b32_e32 v22, v22, v8, vcc
	v_cmp_eq_u32_e32 vcc, 5, v0
	v_cndmask_b32_e32 v21, v21, v13, vcc
	v_cndmask_b32_e64 v23, v22, v10, s[0:1]
	v_cmp_eq_u32_e64 s[0:1], 6, v0
	v_cndmask_b32_e64 v22, v21, v15, s[0:1]
	v_cndmask_b32_e32 v21, v23, v12, vcc
	v_cndmask_b32_e64 v21, v21, v14, s[0:1]
	s_waitcnt lgkmcnt(0)
	v_fma_f64 v[16:17], v[21:22], v[19:20], v[16:17]
	v_cmp_lt_u32_e32 vcc, 4, v0
	s_or_b64 s[2:3], vcc, s[2:3]
	v_add_u32_e32 v18, 8, v18
	s_andn2_b64 exec, exec, s[2:3]
	s_cbranch_execnz .LBB6_129
; %bb.130:
	s_or_b64 exec, exec, s[2:3]
.LBB6_131:
	s_or_b64 exec, exec, s[4:5]
	v_mov_b32_e32 v0, 0
	ds_read_b64 v[0:1], v0 offset:48
	s_waitcnt lgkmcnt(0)
	v_mul_f64 v[14:15], v[16:17], v[0:1]
.LBB6_132:
	s_or_b64 exec, exec, s[12:13]
	v_mov_b32_e32 v31, v17
	v_mov_b32_e32 v30, v16
	v_mov_b32_e32 v29, v15
	v_mov_b32_e32 v28, v14
	v_mov_b32_e32 v27, v13
	v_mov_b32_e32 v26, v12
	v_mov_b32_e32 v25, v11
	v_mov_b32_e32 v24, v10
	v_mov_b32_e32 v23, v9
	v_mov_b32_e32 v22, v8
	v_mov_b32_e32 v21, v7
	v_mov_b32_e32 v20, v6
	v_mov_b32_e32 v19, v5
	v_mov_b32_e32 v18, v4
	v_mov_b32_e32 v17, v3
	v_mov_b32_e32 v16, v2
.LBB6_133:
	global_store_dwordx2 v[32:33], v[16:17], off
	global_store_dwordx2 v[34:35], v[18:19], off
	;; [unrolled: 1-line block ×7, first 2 shown]
.LBB6_134:
	s_endpgm
	.section	.rodata,"a",@progbits
	.p2align	6, 0x0
	.amdhsa_kernel _ZN9rocsolver6v33100L18trti2_kernel_smallILi7EdPdEEv13rocblas_fill_17rocblas_diagonal_T1_iil
		.amdhsa_group_segment_fixed_size 120
		.amdhsa_private_segment_fixed_size 0
		.amdhsa_kernarg_size 32
		.amdhsa_user_sgpr_count 6
		.amdhsa_user_sgpr_private_segment_buffer 1
		.amdhsa_user_sgpr_dispatch_ptr 0
		.amdhsa_user_sgpr_queue_ptr 0
		.amdhsa_user_sgpr_kernarg_segment_ptr 1
		.amdhsa_user_sgpr_dispatch_id 0
		.amdhsa_user_sgpr_flat_scratch_init 0
		.amdhsa_user_sgpr_private_segment_size 0
		.amdhsa_uses_dynamic_stack 0
		.amdhsa_system_sgpr_private_segment_wavefront_offset 0
		.amdhsa_system_sgpr_workgroup_id_x 1
		.amdhsa_system_sgpr_workgroup_id_y 0
		.amdhsa_system_sgpr_workgroup_id_z 0
		.amdhsa_system_sgpr_workgroup_info 0
		.amdhsa_system_vgpr_workitem_id 0
		.amdhsa_next_free_vgpr 67
		.amdhsa_next_free_sgpr 20
		.amdhsa_reserve_vcc 1
		.amdhsa_reserve_flat_scratch 0
		.amdhsa_float_round_mode_32 0
		.amdhsa_float_round_mode_16_64 0
		.amdhsa_float_denorm_mode_32 3
		.amdhsa_float_denorm_mode_16_64 3
		.amdhsa_dx10_clamp 1
		.amdhsa_ieee_mode 1
		.amdhsa_fp16_overflow 0
		.amdhsa_exception_fp_ieee_invalid_op 0
		.amdhsa_exception_fp_denorm_src 0
		.amdhsa_exception_fp_ieee_div_zero 0
		.amdhsa_exception_fp_ieee_overflow 0
		.amdhsa_exception_fp_ieee_underflow 0
		.amdhsa_exception_fp_ieee_inexact 0
		.amdhsa_exception_int_div_zero 0
	.end_amdhsa_kernel
	.section	.text._ZN9rocsolver6v33100L18trti2_kernel_smallILi7EdPdEEv13rocblas_fill_17rocblas_diagonal_T1_iil,"axG",@progbits,_ZN9rocsolver6v33100L18trti2_kernel_smallILi7EdPdEEv13rocblas_fill_17rocblas_diagonal_T1_iil,comdat
.Lfunc_end6:
	.size	_ZN9rocsolver6v33100L18trti2_kernel_smallILi7EdPdEEv13rocblas_fill_17rocblas_diagonal_T1_iil, .Lfunc_end6-_ZN9rocsolver6v33100L18trti2_kernel_smallILi7EdPdEEv13rocblas_fill_17rocblas_diagonal_T1_iil
                                        ; -- End function
	.set _ZN9rocsolver6v33100L18trti2_kernel_smallILi7EdPdEEv13rocblas_fill_17rocblas_diagonal_T1_iil.num_vgpr, 67
	.set _ZN9rocsolver6v33100L18trti2_kernel_smallILi7EdPdEEv13rocblas_fill_17rocblas_diagonal_T1_iil.num_agpr, 0
	.set _ZN9rocsolver6v33100L18trti2_kernel_smallILi7EdPdEEv13rocblas_fill_17rocblas_diagonal_T1_iil.numbered_sgpr, 20
	.set _ZN9rocsolver6v33100L18trti2_kernel_smallILi7EdPdEEv13rocblas_fill_17rocblas_diagonal_T1_iil.num_named_barrier, 0
	.set _ZN9rocsolver6v33100L18trti2_kernel_smallILi7EdPdEEv13rocblas_fill_17rocblas_diagonal_T1_iil.private_seg_size, 0
	.set _ZN9rocsolver6v33100L18trti2_kernel_smallILi7EdPdEEv13rocblas_fill_17rocblas_diagonal_T1_iil.uses_vcc, 1
	.set _ZN9rocsolver6v33100L18trti2_kernel_smallILi7EdPdEEv13rocblas_fill_17rocblas_diagonal_T1_iil.uses_flat_scratch, 0
	.set _ZN9rocsolver6v33100L18trti2_kernel_smallILi7EdPdEEv13rocblas_fill_17rocblas_diagonal_T1_iil.has_dyn_sized_stack, 0
	.set _ZN9rocsolver6v33100L18trti2_kernel_smallILi7EdPdEEv13rocblas_fill_17rocblas_diagonal_T1_iil.has_recursion, 0
	.set _ZN9rocsolver6v33100L18trti2_kernel_smallILi7EdPdEEv13rocblas_fill_17rocblas_diagonal_T1_iil.has_indirect_call, 0
	.section	.AMDGPU.csdata,"",@progbits
; Kernel info:
; codeLenInByte = 7372
; TotalNumSgprs: 24
; NumVgprs: 67
; ScratchSize: 0
; MemoryBound: 0
; FloatMode: 240
; IeeeMode: 1
; LDSByteSize: 120 bytes/workgroup (compile time only)
; SGPRBlocks: 2
; VGPRBlocks: 16
; NumSGPRsForWavesPerEU: 24
; NumVGPRsForWavesPerEU: 67
; Occupancy: 3
; WaveLimiterHint : 0
; COMPUTE_PGM_RSRC2:SCRATCH_EN: 0
; COMPUTE_PGM_RSRC2:USER_SGPR: 6
; COMPUTE_PGM_RSRC2:TRAP_HANDLER: 0
; COMPUTE_PGM_RSRC2:TGID_X_EN: 1
; COMPUTE_PGM_RSRC2:TGID_Y_EN: 0
; COMPUTE_PGM_RSRC2:TGID_Z_EN: 0
; COMPUTE_PGM_RSRC2:TIDIG_COMP_CNT: 0
	.section	.text._ZN9rocsolver6v33100L18trti2_kernel_smallILi8EdPdEEv13rocblas_fill_17rocblas_diagonal_T1_iil,"axG",@progbits,_ZN9rocsolver6v33100L18trti2_kernel_smallILi8EdPdEEv13rocblas_fill_17rocblas_diagonal_T1_iil,comdat
	.globl	_ZN9rocsolver6v33100L18trti2_kernel_smallILi8EdPdEEv13rocblas_fill_17rocblas_diagonal_T1_iil ; -- Begin function _ZN9rocsolver6v33100L18trti2_kernel_smallILi8EdPdEEv13rocblas_fill_17rocblas_diagonal_T1_iil
	.p2align	8
	.type	_ZN9rocsolver6v33100L18trti2_kernel_smallILi8EdPdEEv13rocblas_fill_17rocblas_diagonal_T1_iil,@function
_ZN9rocsolver6v33100L18trti2_kernel_smallILi8EdPdEEv13rocblas_fill_17rocblas_diagonal_T1_iil: ; @_ZN9rocsolver6v33100L18trti2_kernel_smallILi8EdPdEEv13rocblas_fill_17rocblas_diagonal_T1_iil
; %bb.0:
	v_cmp_gt_u32_e32 vcc, 8, v0
	s_and_saveexec_b64 s[0:1], vcc
	s_cbranch_execz .LBB7_160
; %bb.1:
	s_load_dwordx8 s[16:23], s[4:5], 0x0
	s_ashr_i32 s2, s6, 31
	v_lshlrev_b32_e32 v20, 3, v0
	v_mov_b32_e32 v18, 0
	v_mov_b32_e32 v19, 0xbff00000
	s_waitcnt lgkmcnt(0)
	s_mul_hi_u32 s3, s22, s6
	s_mul_i32 s2, s22, s2
	s_add_i32 s2, s3, s2
	s_mul_i32 s3, s23, s6
	s_add_i32 s3, s2, s3
	s_mul_i32 s2, s22, s6
	s_ashr_i32 s1, s20, 31
	s_lshl_b64 s[2:3], s[2:3], 3
	s_mov_b32 s0, s20
	s_add_u32 s2, s18, s2
	s_addc_u32 s3, s19, s3
	s_lshl_b64 s[0:1], s[0:1], 3
	s_add_u32 s0, s2, s0
	s_addc_u32 s1, s3, s1
	v_mov_b32_e32 v1, s1
	v_add_co_u32_e32 v34, vcc, s0, v20
	s_add_i32 s4, s21, s21
	v_addc_co_u32_e32 v35, vcc, 0, v1, vcc
	v_add_u32_e32 v1, s4, v0
	v_ashrrev_i32_e32 v2, 31, v1
	v_lshlrev_b64 v[2:3], 3, v[1:2]
	v_add_u32_e32 v1, s21, v1
	v_mov_b32_e32 v4, s1
	v_add_co_u32_e32 v36, vcc, s0, v2
	v_ashrrev_i32_e32 v2, 31, v1
	v_addc_co_u32_e32 v37, vcc, v4, v3, vcc
	v_lshlrev_b64 v[2:3], 3, v[1:2]
	v_add_u32_e32 v1, s21, v1
	v_add_co_u32_e32 v38, vcc, s0, v2
	v_ashrrev_i32_e32 v2, 31, v1
	v_addc_co_u32_e32 v39, vcc, v4, v3, vcc
	v_lshlrev_b64 v[2:3], 3, v[1:2]
	v_add_u32_e32 v1, s21, v1
	;; [unrolled: 5-line block ×4, first 2 shown]
	v_add_co_u32_e32 v44, vcc, s0, v2
	v_ashrrev_i32_e32 v2, 31, v1
	v_lshlrev_b64 v[1:2], 3, v[1:2]
	v_addc_co_u32_e32 v45, vcc, v4, v3, vcc
	s_ashr_i32 s3, s21, 31
	s_mov_b32 s2, s21
	v_mov_b32_e32 v3, s1
	v_add_co_u32_e32 v46, vcc, s0, v1
	s_lshl_b64 s[2:3], s[2:3], 3
	v_addc_co_u32_e32 v47, vcc, v3, v2, vcc
	v_mov_b32_e32 v1, s3
	v_add_co_u32_e32 v48, vcc, s2, v34
	v_addc_co_u32_e32 v49, vcc, v35, v1, vcc
	global_load_dwordx2 v[4:5], v[48:49], off
	global_load_dwordx2 v[6:7], v[36:37], off
	;; [unrolled: 1-line block ×4, first 2 shown]
	global_load_dwordx2 v[2:3], v20, s[0:1]
	global_load_dwordx2 v[12:13], v[42:43], off
	global_load_dwordx2 v[14:15], v[44:45], off
	;; [unrolled: 1-line block ×3, first 2 shown]
	s_cmpk_lg_i32 s17, 0x84
	s_cselect_b64 s[18:19], -1, 0
	s_cmpk_eq_i32 s17, 0x84
	v_mov_b32_e32 v1, 0
	s_cbranch_scc1 .LBB7_3
; %bb.2:
	v_cmp_eq_u32_e64 s[0:1], 1, v0
	s_waitcnt vmcnt(3)
	v_cndmask_b32_e64 v18, v3, v5, s[0:1]
	v_cmp_eq_u32_e64 s[2:3], 2, v0
	v_cndmask_b32_e64 v18, v18, v7, s[2:3]
	v_cmp_eq_u32_e64 s[4:5], 3, v0
	;; [unrolled: 2-line block ×4, first 2 shown]
	s_waitcnt vmcnt(2)
	v_cndmask_b32_e64 v18, v18, v13, s[8:9]
	v_cmp_eq_u32_e64 s[10:11], 6, v0
	s_waitcnt vmcnt(1)
	v_cndmask_b32_e64 v18, v18, v15, s[10:11]
	v_cmp_eq_u32_e64 s[12:13], 7, v0
	s_waitcnt vmcnt(0)
	v_cndmask_b32_e64 v19, v18, v17, s[12:13]
	v_cndmask_b32_e64 v18, v2, v4, s[0:1]
	v_cndmask_b32_e64 v18, v18, v6, s[2:3]
	v_cndmask_b32_e64 v18, v18, v8, s[4:5]
	v_cndmask_b32_e64 v18, v18, v10, s[6:7]
	v_cndmask_b32_e64 v18, v18, v12, s[8:9]
	v_cndmask_b32_e64 v18, v18, v14, s[10:11]
	v_cndmask_b32_e64 v18, v18, v16, s[12:13]
	v_div_scale_f64 v[21:22], s[14:15], v[18:19], v[18:19], 1.0
	v_rcp_f64_e32 v[23:24], v[21:22]
	v_fma_f64 v[25:26], -v[21:22], v[23:24], 1.0
	v_fma_f64 v[23:24], v[23:24], v[25:26], v[23:24]
	v_div_scale_f64 v[25:26], vcc, 1.0, v[18:19], 1.0
	v_fma_f64 v[27:28], -v[21:22], v[23:24], 1.0
	v_fma_f64 v[23:24], v[23:24], v[27:28], v[23:24]
	v_mul_f64 v[27:28], v[25:26], v[23:24]
	v_fma_f64 v[21:22], -v[21:22], v[27:28], v[25:26]
	v_div_fmas_f64 v[21:22], v[21:22], v[23:24], v[27:28]
	v_cmp_eq_u32_e32 vcc, 0, v0
	v_div_fixup_f64 v[18:19], v[21:22], v[18:19], 1.0
	v_cndmask_b32_e64 v17, v17, v19, s[12:13]
	v_cndmask_b32_e64 v16, v16, v18, s[12:13]
	;; [unrolled: 1-line block ×14, first 2 shown]
	v_cndmask_b32_e32 v3, v3, v19, vcc
	v_cndmask_b32_e32 v2, v2, v18, vcc
	v_xor_b32_e32 v19, 0x80000000, v19
.LBB7_3:
	s_cmpk_eq_i32 s16, 0x79
	v_add_u32_e32 v52, 64, v20
	ds_write_b64 v20, v[18:19]
	s_cbranch_scc1 .LBB7_7
; %bb.4:
	s_waitcnt vmcnt(0)
	v_mov_b32_e32 v33, v17
	v_mov_b32_e32 v32, v16
	;; [unrolled: 1-line block ×16, first 2 shown]
	v_cmp_eq_u32_e64 s[0:1], 7, v0
	ds_write_b64 v52, v[14:15]
	s_waitcnt lgkmcnt(0)
	; wave barrier
	s_and_saveexec_b64 s[14:15], s[0:1]
	s_cbranch_execz .LBB7_11
; %bb.5:
	s_and_b64 vcc, exec, s[18:19]
	s_cbranch_vccz .LBB7_8
; %bb.6:
	v_cmp_eq_u32_e32 vcc, 1, v0
	v_cndmask_b32_e32 v18, v3, v5, vcc
	v_cmp_eq_u32_e64 s[2:3], 2, v0
	v_cndmask_b32_e64 v18, v18, v7, s[2:3]
	v_cmp_eq_u32_e64 s[4:5], 3, v0
	v_cndmask_b32_e64 v18, v18, v9, s[4:5]
	;; [unrolled: 2-line block ×6, first 2 shown]
	v_cndmask_b32_e32 v18, v2, v4, vcc
	v_cndmask_b32_e64 v18, v18, v6, s[2:3]
	v_cndmask_b32_e64 v18, v18, v8, s[4:5]
	ds_read_b64 v[20:21], v52
	v_cndmask_b32_e64 v18, v18, v10, s[6:7]
	v_cndmask_b32_e64 v18, v18, v12, s[8:9]
	;; [unrolled: 1-line block ×4, first 2 shown]
	s_waitcnt lgkmcnt(0)
	v_mul_f64 v[18:19], v[18:19], v[20:21]
	s_cbranch_execz .LBB7_9
	s_branch .LBB7_10
.LBB7_7:
                                        ; implicit-def: $vgpr18_vgpr19_vgpr20_vgpr21_vgpr22_vgpr23_vgpr24_vgpr25_vgpr26_vgpr27_vgpr28_vgpr29_vgpr30_vgpr31_vgpr32_vgpr33
	s_cbranch_execnz .LBB7_98
	s_branch .LBB7_159
.LBB7_8:
                                        ; implicit-def: $vgpr18_vgpr19
.LBB7_9:
	ds_read_b64 v[18:19], v52
.LBB7_10:
	v_mov_b32_e32 v20, 0
	ds_read_b64 v[20:21], v20 offset:48
	s_waitcnt lgkmcnt(0)
	v_mul_f64 v[50:51], v[18:19], v[20:21]
	v_mov_b32_e32 v33, v17
	v_mov_b32_e32 v31, v15
	v_mov_b32_e32 v30, v14
	v_mov_b32_e32 v32, v16
	v_mov_b32_e32 v29, v13
	v_mov_b32_e32 v28, v12
	v_mov_b32_e32 v27, v11
	v_mov_b32_e32 v26, v10
	v_mov_b32_e32 v25, v9
	v_mov_b32_e32 v24, v8
	v_mov_b32_e32 v23, v7
	v_mov_b32_e32 v22, v6
	v_mov_b32_e32 v21, v5
	v_mov_b32_e32 v20, v4
	v_mov_b32_e32 v19, v3
	v_mov_b32_e32 v18, v2
	v_mov_b32_e32 v30, v50
	v_mov_b32_e32 v31, v51
.LBB7_11:
	s_or_b64 exec, exec, s[14:15]
	v_cmp_lt_u32_e64 s[2:3], 5, v0
	ds_write_b64 v52, v[28:29]
	s_waitcnt lgkmcnt(0)
	; wave barrier
	s_and_saveexec_b64 s[16:17], s[2:3]
	s_cbranch_execz .LBB7_17
; %bb.12:
	s_andn2_b64 vcc, exec, s[18:19]
	s_cbranch_vccnz .LBB7_14
; %bb.13:
	v_cmp_eq_u32_e32 vcc, 1, v0
	v_cndmask_b32_e32 v50, v19, v21, vcc
	v_cmp_eq_u32_e64 s[4:5], 2, v0
	v_cndmask_b32_e64 v50, v50, v23, s[4:5]
	v_cmp_eq_u32_e64 s[6:7], 3, v0
	v_cndmask_b32_e64 v50, v50, v25, s[6:7]
	;; [unrolled: 2-line block ×4, first 2 shown]
	v_cndmask_b32_e32 v50, v18, v20, vcc
	v_cndmask_b32_e64 v50, v50, v22, s[4:5]
	v_cndmask_b32_e64 v53, v50, v24, s[6:7]
	ds_read_b64 v[50:51], v52
	v_cndmask_b32_e64 v53, v53, v26, s[8:9]
	v_cmp_eq_u32_e64 s[12:13], 6, v0
	v_cndmask_b32_e64 v28, v53, v28, s[10:11]
	v_cndmask_b32_e64 v29, v29, v31, s[12:13]
	v_cmp_eq_u32_e64 s[14:15], 7, v0
	v_cndmask_b32_e64 v28, v28, v30, s[12:13]
	v_cndmask_b32_e64 v29, v29, v33, s[14:15]
	;; [unrolled: 1-line block ×3, first 2 shown]
	s_waitcnt lgkmcnt(0)
	v_mul_f64 v[28:29], v[28:29], v[50:51]
	s_cbranch_execz .LBB7_15
	s_branch .LBB7_16
.LBB7_14:
                                        ; implicit-def: $vgpr28_vgpr29
.LBB7_15:
	ds_read_b64 v[28:29], v52
.LBB7_16:
	v_mov_b32_e32 v50, 0
	ds_read2_b64 v[53:56], v50 offset0:5 offset1:14
	s_waitcnt lgkmcnt(0)
	v_fma_f64 v[50:51], v[30:31], v[55:56], v[28:29]
	v_cndmask_b32_e64 v29, v29, v51, s[0:1]
	v_cndmask_b32_e64 v28, v28, v50, s[0:1]
	v_mul_f64 v[28:29], v[28:29], v[53:54]
.LBB7_17:
	s_or_b64 exec, exec, s[16:17]
	v_cmp_lt_u32_e64 s[0:1], 4, v0
	ds_write_b64 v52, v[26:27]
	s_waitcnt lgkmcnt(0)
	; wave barrier
	s_and_saveexec_b64 s[16:17], s[0:1]
	s_cbranch_execz .LBB7_33
; %bb.18:
	s_andn2_b64 vcc, exec, s[18:19]
	s_cbranch_vccnz .LBB7_20
; %bb.19:
	v_cmp_eq_u32_e32 vcc, 1, v0
	v_cndmask_b32_e32 v50, v19, v21, vcc
	v_cmp_eq_u32_e64 s[4:5], 2, v0
	v_cndmask_b32_e64 v50, v50, v23, s[4:5]
	v_cmp_eq_u32_e64 s[6:7], 3, v0
	v_cndmask_b32_e64 v50, v50, v25, s[6:7]
	;; [unrolled: 2-line block ×6, first 2 shown]
	v_cndmask_b32_e32 v50, v18, v20, vcc
	v_cndmask_b32_e64 v50, v50, v22, s[4:5]
	v_cndmask_b32_e64 v50, v50, v24, s[6:7]
	ds_read_b64 v[53:54], v52
	v_cndmask_b32_e64 v50, v50, v26, s[8:9]
	v_cndmask_b32_e64 v50, v50, v28, s[10:11]
	;; [unrolled: 1-line block ×4, first 2 shown]
	s_waitcnt lgkmcnt(0)
	v_mul_f64 v[50:51], v[50:51], v[53:54]
	s_cbranch_execz .LBB7_21
	s_branch .LBB7_22
.LBB7_20:
                                        ; implicit-def: $vgpr50_vgpr51
.LBB7_21:
	ds_read_b64 v[50:51], v52
.LBB7_22:
	s_and_saveexec_b64 s[4:5], s[2:3]
	s_cbranch_execz .LBB7_32
; %bb.23:
	v_add_u32_e32 v54, -6, v0
	v_add_u32_e32 v53, -5, v0
	v_cmp_lt_u32_e32 vcc, 6, v54
	v_mov_b32_e32 v55, 5
	s_and_saveexec_b64 s[2:3], vcc
	s_cbranch_execz .LBB7_27
; %bb.24:
	v_and_b32_e32 v54, -8, v53
	v_sub_u32_e32 v54, 0, v54
	s_mov_b64 s[6:7], 12
	s_movk_i32 s10, 0x68
	s_mov_b64 s[8:9], 0
.LBB7_25:                               ; =>This Inner Loop Header: Depth=1
	s_lshl_b32 s11, s6, 1
	s_add_i32 s12, s11, -13
	v_mov_b32_e32 v61, s10
	s_add_i32 s13, s11, -14
	s_set_gpr_idx_on s12, gpr_idx(SRC0)
	v_mov_b32_e32 v60, v18
	s_set_gpr_idx_off
	s_set_gpr_idx_on s13, gpr_idx(SRC0)
	v_mov_b32_e32 v59, v18
	s_set_gpr_idx_off
	ds_read2_b64 v[55:58], v61 offset1:1
	s_add_i32 s12, s11, -11
	s_add_i32 s13, s11, -12
	;; [unrolled: 1-line block ×4, first 2 shown]
	s_waitcnt lgkmcnt(0)
	v_fma_f64 v[50:51], v[59:60], v[55:56], v[50:51]
	s_set_gpr_idx_on s12, gpr_idx(SRC0)
	v_mov_b32_e32 v56, v18
	s_set_gpr_idx_off
	s_set_gpr_idx_on s13, gpr_idx(SRC0)
	v_mov_b32_e32 v55, v18
	s_set_gpr_idx_off
	s_add_i32 s12, s11, -7
	s_add_i32 s13, s11, -8
	v_fma_f64 v[50:51], v[55:56], v[57:58], v[50:51]
	s_set_gpr_idx_on s14, gpr_idx(SRC0)
	v_mov_b32_e32 v60, v18
	s_set_gpr_idx_off
	s_set_gpr_idx_on s15, gpr_idx(SRC0)
	v_mov_b32_e32 v59, v18
	s_set_gpr_idx_off
	ds_read2_b64 v[55:58], v61 offset0:2 offset1:3
	s_add_i32 s14, s11, -5
	s_add_i32 s15, s11, -6
	s_waitcnt lgkmcnt(0)
	v_fma_f64 v[50:51], v[59:60], v[55:56], v[50:51]
	s_set_gpr_idx_on s12, gpr_idx(SRC0)
	v_mov_b32_e32 v56, v18
	s_set_gpr_idx_off
	s_set_gpr_idx_on s13, gpr_idx(SRC0)
	v_mov_b32_e32 v55, v18
	s_set_gpr_idx_off
	s_add_i32 s12, s11, -3
	s_add_i32 s13, s11, -4
	v_fma_f64 v[50:51], v[55:56], v[57:58], v[50:51]
	s_set_gpr_idx_on s14, gpr_idx(SRC0)
	v_mov_b32_e32 v60, v18
	s_set_gpr_idx_off
	s_set_gpr_idx_on s15, gpr_idx(SRC0)
	v_mov_b32_e32 v59, v18
	s_set_gpr_idx_off
	ds_read2_b64 v[55:58], v61 offset0:4 offset1:5
	s_add_i32 s14, s11, -1
	s_add_i32 s15, s11, -2
	s_add_u32 s6, s6, 8
	s_addc_u32 s7, s7, 0
	s_waitcnt lgkmcnt(0)
	v_fma_f64 v[50:51], v[59:60], v[55:56], v[50:51]
	s_set_gpr_idx_on s12, gpr_idx(SRC0)
	v_mov_b32_e32 v56, v18
	s_set_gpr_idx_off
	s_set_gpr_idx_on s13, gpr_idx(SRC0)
	v_mov_b32_e32 v55, v18
	s_set_gpr_idx_off
	s_add_i32 s10, s10, 64
	v_fma_f64 v[50:51], v[55:56], v[57:58], v[50:51]
	s_set_gpr_idx_on s14, gpr_idx(SRC0)
	v_mov_b32_e32 v60, v18
	s_set_gpr_idx_off
	s_set_gpr_idx_on s15, gpr_idx(SRC0)
	v_mov_b32_e32 v59, v18
	s_set_gpr_idx_off
	ds_read2_b64 v[55:58], v61 offset0:6 offset1:7
	s_waitcnt lgkmcnt(0)
	v_fma_f64 v[50:51], v[59:60], v[55:56], v[50:51]
	s_set_gpr_idx_on s11, gpr_idx(SRC0)
	v_mov_b32_e32 v56, v19
	v_mov_b32_e32 v55, v18
	s_set_gpr_idx_off
	s_add_i32 s11, s6, -7
	v_fma_f64 v[50:51], v[55:56], v[57:58], v[50:51]
	v_add_u32_e32 v55, s6, v54
	v_cmp_eq_u32_e32 vcc, 12, v55
	s_or_b64 s[8:9], vcc, s[8:9]
	v_mov_b32_e32 v55, s11
	s_andn2_b64 exec, exec, s[8:9]
	s_cbranch_execnz .LBB7_25
; %bb.26:
	s_or_b64 exec, exec, s[8:9]
.LBB7_27:
	s_or_b64 exec, exec, s[2:3]
	v_and_b32_e32 v53, 7, v53
	v_cmp_ne_u32_e32 vcc, 0, v53
	s_and_saveexec_b64 s[6:7], vcc
	s_cbranch_execz .LBB7_31
; %bb.28:
	v_lshl_add_u32 v54, v55, 3, 64
	v_mov_b32_e32 v56, 0
	s_mov_b64 s[8:9], 0
.LBB7_29:                               ; =>This Inner Loop Header: Depth=1
	v_cmp_eq_u32_e32 vcc, 1, v55
	v_cndmask_b32_e32 v59, v19, v21, vcc
	v_cmp_eq_u32_e64 s[2:3], 2, v55
	v_cndmask_b32_e64 v59, v59, v23, s[2:3]
	v_cndmask_b32_e32 v60, v18, v20, vcc
	v_cmp_eq_u32_e32 vcc, 3, v55
	v_cndmask_b32_e32 v59, v59, v25, vcc
	v_cndmask_b32_e64 v60, v60, v22, s[2:3]
	v_cmp_eq_u32_e64 s[2:3], 4, v55
	ds_read_b64 v[57:58], v54
	v_cndmask_b32_e64 v59, v59, v27, s[2:3]
	v_cndmask_b32_e32 v60, v60, v24, vcc
	v_cmp_eq_u32_e32 vcc, 5, v55
	v_cndmask_b32_e32 v59, v59, v29, vcc
	v_cndmask_b32_e64 v60, v60, v26, s[2:3]
	v_cmp_eq_u32_e64 s[2:3], 6, v55
	v_cndmask_b32_e64 v59, v59, v31, s[2:3]
	v_cndmask_b32_e32 v61, v60, v28, vcc
	v_cmp_eq_u32_e32 vcc, 7, v55
	v_cndmask_b32_e32 v60, v59, v33, vcc
	v_cndmask_b32_e64 v59, v61, v30, s[2:3]
	v_cndmask_b32_e32 v59, v59, v32, vcc
	s_waitcnt lgkmcnt(0)
	v_fma_f64 v[50:51], v[59:60], v[57:58], v[50:51]
	v_add_u32_e32 v53, -1, v53
	v_cmp_eq_u32_e32 vcc, 0, v53
	s_or_b64 s[8:9], vcc, s[8:9]
	v_add_co_u32_e32 v55, vcc, 1, v55
	v_add_u32_e32 v54, 8, v54
	v_addc_co_u32_e32 v56, vcc, 0, v56, vcc
	s_andn2_b64 exec, exec, s[8:9]
	s_cbranch_execnz .LBB7_29
; %bb.30:
	s_or_b64 exec, exec, s[8:9]
.LBB7_31:
	s_or_b64 exec, exec, s[6:7]
.LBB7_32:
	s_or_b64 exec, exec, s[4:5]
	v_mov_b32_e32 v26, 0
	ds_read_b64 v[26:27], v26 offset:32
	s_waitcnt lgkmcnt(0)
	v_mul_f64 v[26:27], v[50:51], v[26:27]
.LBB7_33:
	s_or_b64 exec, exec, s[16:17]
	v_cmp_lt_u32_e64 s[2:3], 3, v0
	ds_write_b64 v52, v[24:25]
	s_waitcnt lgkmcnt(0)
	; wave barrier
	s_and_saveexec_b64 s[16:17], s[2:3]
	s_cbranch_execz .LBB7_49
; %bb.34:
	s_andn2_b64 vcc, exec, s[18:19]
	s_cbranch_vccnz .LBB7_36
; %bb.35:
	v_cmp_eq_u32_e32 vcc, 1, v0
	v_cndmask_b32_e32 v50, v19, v21, vcc
	v_cmp_eq_u32_e64 s[4:5], 2, v0
	v_cndmask_b32_e64 v50, v50, v23, s[4:5]
	v_cmp_eq_u32_e64 s[6:7], 3, v0
	v_cndmask_b32_e64 v50, v50, v25, s[6:7]
	;; [unrolled: 2-line block ×6, first 2 shown]
	v_cndmask_b32_e32 v50, v18, v20, vcc
	v_cndmask_b32_e64 v50, v50, v22, s[4:5]
	v_cndmask_b32_e64 v50, v50, v24, s[6:7]
	ds_read_b64 v[53:54], v52
	v_cndmask_b32_e64 v50, v50, v26, s[8:9]
	v_cndmask_b32_e64 v50, v50, v28, s[10:11]
	;; [unrolled: 1-line block ×4, first 2 shown]
	s_waitcnt lgkmcnt(0)
	v_mul_f64 v[50:51], v[50:51], v[53:54]
	s_cbranch_execz .LBB7_37
	s_branch .LBB7_38
.LBB7_36:
                                        ; implicit-def: $vgpr50_vgpr51
.LBB7_37:
	ds_read_b64 v[50:51], v52
.LBB7_38:
	s_and_saveexec_b64 s[4:5], s[0:1]
	s_cbranch_execz .LBB7_48
; %bb.39:
	v_add_u32_e32 v54, -5, v0
	v_add_u32_e32 v53, -4, v0
	v_cmp_lt_u32_e32 vcc, 6, v54
	v_mov_b32_e32 v55, 4
	s_and_saveexec_b64 s[0:1], vcc
	s_cbranch_execz .LBB7_43
; %bb.40:
	v_and_b32_e32 v54, -8, v53
	v_sub_u32_e32 v54, 0, v54
	s_mov_b64 s[6:7], 5
	s_movk_i32 s10, 0x60
	s_mov_b64 s[8:9], 0
.LBB7_41:                               ; =>This Inner Loop Header: Depth=1
	s_lshl_b32 s11, s6, 1
	s_add_i32 s12, s11, -1
	v_mov_b32_e32 v67, s10
	s_add_i32 s13, s11, -2
	s_set_gpr_idx_on s12, gpr_idx(SRC0)
	v_mov_b32_e32 v60, v18
	s_set_gpr_idx_off
	s_set_gpr_idx_on s13, gpr_idx(SRC0)
	v_mov_b32_e32 v59, v18
	s_set_gpr_idx_off
	ds_read_b128 v[55:58], v67
	s_add_i32 s12, s11, 3
	s_add_i32 s13, s11, 2
	s_waitcnt lgkmcnt(0)
	v_fma_f64 v[50:51], v[59:60], v[55:56], v[50:51]
	ds_read_b128 v[59:62], v67 offset:16
	ds_read_b128 v[63:66], v67 offset:32
	;; [unrolled: 1-line block ×3, first 2 shown]
	s_set_gpr_idx_on s11, gpr_idx(SRC0)
	v_mov_b32_e32 v56, v19
	v_mov_b32_e32 v55, v18
	s_set_gpr_idx_off
	v_fma_f64 v[50:51], v[55:56], v[57:58], v[50:51]
	s_set_gpr_idx_on s12, gpr_idx(SRC0)
	v_mov_b32_e32 v56, v18
	s_set_gpr_idx_off
	s_set_gpr_idx_on s13, gpr_idx(SRC0)
	v_mov_b32_e32 v55, v18
	s_set_gpr_idx_off
	s_add_i32 s12, s11, 5
	s_add_i32 s13, s11, 4
	s_waitcnt lgkmcnt(2)
	v_fma_f64 v[50:51], v[55:56], v[59:60], v[50:51]
	s_set_gpr_idx_on s12, gpr_idx(SRC0)
	v_mov_b32_e32 v56, v18
	s_set_gpr_idx_off
	s_set_gpr_idx_on s13, gpr_idx(SRC0)
	v_mov_b32_e32 v55, v18
	s_set_gpr_idx_off
	s_add_i32 s12, s11, 7
	s_add_i32 s13, s11, 6
	v_fma_f64 v[50:51], v[55:56], v[61:62], v[50:51]
	s_set_gpr_idx_on s12, gpr_idx(SRC0)
	v_mov_b32_e32 v56, v18
	s_set_gpr_idx_off
	s_set_gpr_idx_on s13, gpr_idx(SRC0)
	v_mov_b32_e32 v55, v18
	s_set_gpr_idx_off
	s_add_i32 s12, s11, 9
	s_add_i32 s13, s11, 8
	s_waitcnt lgkmcnt(1)
	v_fma_f64 v[50:51], v[55:56], v[63:64], v[50:51]
	s_set_gpr_idx_on s12, gpr_idx(SRC0)
	v_mov_b32_e32 v56, v18
	s_set_gpr_idx_off
	s_set_gpr_idx_on s13, gpr_idx(SRC0)
	v_mov_b32_e32 v55, v18
	s_set_gpr_idx_off
	s_add_i32 s12, s11, 11
	s_add_i32 s13, s11, 10
	v_fma_f64 v[50:51], v[55:56], v[65:66], v[50:51]
	s_set_gpr_idx_on s12, gpr_idx(SRC0)
	v_mov_b32_e32 v56, v18
	s_set_gpr_idx_off
	s_set_gpr_idx_on s13, gpr_idx(SRC0)
	v_mov_b32_e32 v55, v18
	s_set_gpr_idx_off
	s_add_i32 s12, s11, 13
	s_add_i32 s11, s11, 12
	s_add_u32 s6, s6, 8
	s_addc_u32 s7, s7, 0
	s_add_i32 s10, s10, 64
	s_waitcnt lgkmcnt(0)
	v_fma_f64 v[50:51], v[55:56], v[67:68], v[50:51]
	s_set_gpr_idx_on s12, gpr_idx(SRC0)
	v_mov_b32_e32 v56, v18
	s_set_gpr_idx_off
	s_set_gpr_idx_on s11, gpr_idx(SRC0)
	v_mov_b32_e32 v55, v18
	s_set_gpr_idx_off
	s_add_i32 s11, s6, -1
	v_fma_f64 v[50:51], v[55:56], v[69:70], v[50:51]
	v_add_u32_e32 v55, s6, v54
	v_cmp_eq_u32_e32 vcc, 5, v55
	s_or_b64 s[8:9], vcc, s[8:9]
	v_mov_b32_e32 v55, s11
	s_andn2_b64 exec, exec, s[8:9]
	s_cbranch_execnz .LBB7_41
; %bb.42:
	s_or_b64 exec, exec, s[8:9]
.LBB7_43:
	s_or_b64 exec, exec, s[0:1]
	v_and_b32_e32 v53, 7, v53
	v_cmp_ne_u32_e32 vcc, 0, v53
	s_and_saveexec_b64 s[6:7], vcc
	s_cbranch_execz .LBB7_47
; %bb.44:
	v_lshl_add_u32 v54, v55, 3, 64
	v_mov_b32_e32 v56, 0
	s_mov_b64 s[8:9], 0
.LBB7_45:                               ; =>This Inner Loop Header: Depth=1
	v_cmp_eq_u32_e32 vcc, 1, v55
	v_cndmask_b32_e32 v59, v19, v21, vcc
	v_cmp_eq_u32_e64 s[0:1], 2, v55
	v_cndmask_b32_e64 v59, v59, v23, s[0:1]
	v_cndmask_b32_e32 v60, v18, v20, vcc
	v_cmp_eq_u32_e32 vcc, 3, v55
	v_cndmask_b32_e32 v59, v59, v25, vcc
	v_cndmask_b32_e64 v60, v60, v22, s[0:1]
	v_cmp_eq_u32_e64 s[0:1], 4, v55
	ds_read_b64 v[57:58], v54
	v_cndmask_b32_e64 v59, v59, v27, s[0:1]
	v_cndmask_b32_e32 v60, v60, v24, vcc
	v_cmp_eq_u32_e32 vcc, 5, v55
	v_cndmask_b32_e32 v59, v59, v29, vcc
	v_cndmask_b32_e64 v60, v60, v26, s[0:1]
	v_cmp_eq_u32_e64 s[0:1], 6, v55
	v_cndmask_b32_e64 v59, v59, v31, s[0:1]
	v_cndmask_b32_e32 v61, v60, v28, vcc
	v_cmp_eq_u32_e32 vcc, 7, v55
	v_cndmask_b32_e32 v60, v59, v33, vcc
	v_cndmask_b32_e64 v59, v61, v30, s[0:1]
	v_cndmask_b32_e32 v59, v59, v32, vcc
	s_waitcnt lgkmcnt(0)
	v_fma_f64 v[50:51], v[59:60], v[57:58], v[50:51]
	v_add_u32_e32 v53, -1, v53
	v_cmp_eq_u32_e32 vcc, 0, v53
	s_or_b64 s[8:9], vcc, s[8:9]
	v_add_co_u32_e32 v55, vcc, 1, v55
	v_add_u32_e32 v54, 8, v54
	v_addc_co_u32_e32 v56, vcc, 0, v56, vcc
	s_andn2_b64 exec, exec, s[8:9]
	s_cbranch_execnz .LBB7_45
; %bb.46:
	s_or_b64 exec, exec, s[8:9]
.LBB7_47:
	s_or_b64 exec, exec, s[6:7]
.LBB7_48:
	s_or_b64 exec, exec, s[4:5]
	v_mov_b32_e32 v24, 0
	ds_read_b64 v[24:25], v24 offset:24
	s_waitcnt lgkmcnt(0)
	v_mul_f64 v[24:25], v[50:51], v[24:25]
.LBB7_49:
	s_or_b64 exec, exec, s[16:17]
	v_cmp_lt_u32_e64 s[0:1], 2, v0
	ds_write_b64 v52, v[22:23]
	s_waitcnt lgkmcnt(0)
	; wave barrier
	s_and_saveexec_b64 s[16:17], s[0:1]
	s_cbranch_execz .LBB7_65
; %bb.50:
	s_andn2_b64 vcc, exec, s[18:19]
	s_cbranch_vccnz .LBB7_52
; %bb.51:
	v_cmp_eq_u32_e32 vcc, 1, v0
	v_cndmask_b32_e32 v50, v19, v21, vcc
	v_cmp_eq_u32_e64 s[4:5], 2, v0
	v_cndmask_b32_e64 v50, v50, v23, s[4:5]
	v_cmp_eq_u32_e64 s[6:7], 3, v0
	v_cndmask_b32_e64 v50, v50, v25, s[6:7]
	;; [unrolled: 2-line block ×6, first 2 shown]
	v_cndmask_b32_e32 v50, v18, v20, vcc
	v_cndmask_b32_e64 v50, v50, v22, s[4:5]
	v_cndmask_b32_e64 v50, v50, v24, s[6:7]
	ds_read_b64 v[53:54], v52
	v_cndmask_b32_e64 v50, v50, v26, s[8:9]
	v_cndmask_b32_e64 v50, v50, v28, s[10:11]
	;; [unrolled: 1-line block ×4, first 2 shown]
	s_waitcnt lgkmcnt(0)
	v_mul_f64 v[50:51], v[50:51], v[53:54]
	s_cbranch_execz .LBB7_53
	s_branch .LBB7_54
.LBB7_52:
                                        ; implicit-def: $vgpr50_vgpr51
.LBB7_53:
	ds_read_b64 v[50:51], v52
.LBB7_54:
	s_and_saveexec_b64 s[4:5], s[2:3]
	s_cbranch_execz .LBB7_64
; %bb.55:
	v_add_u32_e32 v54, -4, v0
	v_add_u32_e32 v53, -3, v0
	v_cmp_lt_u32_e32 vcc, 6, v54
	v_mov_b32_e32 v55, 3
	s_and_saveexec_b64 s[2:3], vcc
	s_cbranch_execz .LBB7_59
; %bb.56:
	v_and_b32_e32 v54, -8, v53
	v_sub_u32_e32 v54, 0, v54
	s_mov_b64 s[6:7], 10
	s_movk_i32 s10, 0x58
	s_mov_b64 s[8:9], 0
.LBB7_57:                               ; =>This Inner Loop Header: Depth=1
	s_lshl_b32 s11, s6, 1
	s_add_i32 s12, s11, -13
	v_mov_b32_e32 v61, s10
	s_add_i32 s13, s11, -14
	s_set_gpr_idx_on s12, gpr_idx(SRC0)
	v_mov_b32_e32 v60, v18
	s_set_gpr_idx_off
	s_set_gpr_idx_on s13, gpr_idx(SRC0)
	v_mov_b32_e32 v59, v18
	s_set_gpr_idx_off
	ds_read2_b64 v[55:58], v61 offset1:1
	s_add_i32 s12, s11, -11
	s_add_i32 s13, s11, -12
	;; [unrolled: 1-line block ×4, first 2 shown]
	s_waitcnt lgkmcnt(0)
	v_fma_f64 v[50:51], v[59:60], v[55:56], v[50:51]
	s_set_gpr_idx_on s12, gpr_idx(SRC0)
	v_mov_b32_e32 v56, v18
	s_set_gpr_idx_off
	s_set_gpr_idx_on s13, gpr_idx(SRC0)
	v_mov_b32_e32 v55, v18
	s_set_gpr_idx_off
	s_add_i32 s12, s11, -7
	s_add_i32 s13, s11, -8
	v_fma_f64 v[50:51], v[55:56], v[57:58], v[50:51]
	s_set_gpr_idx_on s14, gpr_idx(SRC0)
	v_mov_b32_e32 v60, v18
	s_set_gpr_idx_off
	s_set_gpr_idx_on s15, gpr_idx(SRC0)
	v_mov_b32_e32 v59, v18
	s_set_gpr_idx_off
	ds_read2_b64 v[55:58], v61 offset0:2 offset1:3
	s_add_i32 s14, s11, -5
	s_add_i32 s15, s11, -6
	s_waitcnt lgkmcnt(0)
	v_fma_f64 v[50:51], v[59:60], v[55:56], v[50:51]
	s_set_gpr_idx_on s12, gpr_idx(SRC0)
	v_mov_b32_e32 v56, v18
	s_set_gpr_idx_off
	s_set_gpr_idx_on s13, gpr_idx(SRC0)
	v_mov_b32_e32 v55, v18
	s_set_gpr_idx_off
	s_add_i32 s12, s11, -3
	s_add_i32 s13, s11, -4
	v_fma_f64 v[50:51], v[55:56], v[57:58], v[50:51]
	s_set_gpr_idx_on s14, gpr_idx(SRC0)
	v_mov_b32_e32 v60, v18
	s_set_gpr_idx_off
	s_set_gpr_idx_on s15, gpr_idx(SRC0)
	v_mov_b32_e32 v59, v18
	s_set_gpr_idx_off
	ds_read2_b64 v[55:58], v61 offset0:4 offset1:5
	s_add_i32 s14, s11, -1
	s_add_i32 s15, s11, -2
	s_add_u32 s6, s6, 8
	s_addc_u32 s7, s7, 0
	s_waitcnt lgkmcnt(0)
	v_fma_f64 v[50:51], v[59:60], v[55:56], v[50:51]
	s_set_gpr_idx_on s12, gpr_idx(SRC0)
	v_mov_b32_e32 v56, v18
	s_set_gpr_idx_off
	s_set_gpr_idx_on s13, gpr_idx(SRC0)
	v_mov_b32_e32 v55, v18
	s_set_gpr_idx_off
	s_add_i32 s10, s10, 64
	v_fma_f64 v[50:51], v[55:56], v[57:58], v[50:51]
	s_set_gpr_idx_on s14, gpr_idx(SRC0)
	v_mov_b32_e32 v60, v18
	s_set_gpr_idx_off
	s_set_gpr_idx_on s15, gpr_idx(SRC0)
	v_mov_b32_e32 v59, v18
	s_set_gpr_idx_off
	ds_read2_b64 v[55:58], v61 offset0:6 offset1:7
	s_waitcnt lgkmcnt(0)
	v_fma_f64 v[50:51], v[59:60], v[55:56], v[50:51]
	s_set_gpr_idx_on s11, gpr_idx(SRC0)
	v_mov_b32_e32 v56, v19
	v_mov_b32_e32 v55, v18
	s_set_gpr_idx_off
	s_add_i32 s11, s6, -7
	v_fma_f64 v[50:51], v[55:56], v[57:58], v[50:51]
	v_add_u32_e32 v55, s6, v54
	v_cmp_eq_u32_e32 vcc, 10, v55
	s_or_b64 s[8:9], vcc, s[8:9]
	v_mov_b32_e32 v55, s11
	s_andn2_b64 exec, exec, s[8:9]
	s_cbranch_execnz .LBB7_57
; %bb.58:
	s_or_b64 exec, exec, s[8:9]
.LBB7_59:
	s_or_b64 exec, exec, s[2:3]
	v_and_b32_e32 v53, 7, v53
	v_cmp_ne_u32_e32 vcc, 0, v53
	s_and_saveexec_b64 s[6:7], vcc
	s_cbranch_execz .LBB7_63
; %bb.60:
	v_lshl_add_u32 v54, v55, 3, 64
	v_mov_b32_e32 v56, 0
	s_mov_b64 s[8:9], 0
.LBB7_61:                               ; =>This Inner Loop Header: Depth=1
	v_cmp_eq_u32_e32 vcc, 1, v55
	v_cndmask_b32_e32 v59, v19, v21, vcc
	v_cmp_eq_u32_e64 s[2:3], 2, v55
	v_cndmask_b32_e64 v59, v59, v23, s[2:3]
	v_cndmask_b32_e32 v60, v18, v20, vcc
	v_cmp_eq_u32_e32 vcc, 3, v55
	v_cndmask_b32_e32 v59, v59, v25, vcc
	v_cndmask_b32_e64 v60, v60, v22, s[2:3]
	v_cmp_eq_u32_e64 s[2:3], 4, v55
	ds_read_b64 v[57:58], v54
	v_cndmask_b32_e64 v59, v59, v27, s[2:3]
	v_cndmask_b32_e32 v60, v60, v24, vcc
	v_cmp_eq_u32_e32 vcc, 5, v55
	v_cndmask_b32_e32 v59, v59, v29, vcc
	v_cndmask_b32_e64 v60, v60, v26, s[2:3]
	v_cmp_eq_u32_e64 s[2:3], 6, v55
	v_cndmask_b32_e64 v59, v59, v31, s[2:3]
	v_cndmask_b32_e32 v61, v60, v28, vcc
	v_cmp_eq_u32_e32 vcc, 7, v55
	v_cndmask_b32_e32 v60, v59, v33, vcc
	v_cndmask_b32_e64 v59, v61, v30, s[2:3]
	v_cndmask_b32_e32 v59, v59, v32, vcc
	s_waitcnt lgkmcnt(0)
	v_fma_f64 v[50:51], v[59:60], v[57:58], v[50:51]
	v_add_u32_e32 v53, -1, v53
	v_cmp_eq_u32_e32 vcc, 0, v53
	s_or_b64 s[8:9], vcc, s[8:9]
	v_add_co_u32_e32 v55, vcc, 1, v55
	v_add_u32_e32 v54, 8, v54
	v_addc_co_u32_e32 v56, vcc, 0, v56, vcc
	s_andn2_b64 exec, exec, s[8:9]
	s_cbranch_execnz .LBB7_61
; %bb.62:
	s_or_b64 exec, exec, s[8:9]
.LBB7_63:
	s_or_b64 exec, exec, s[6:7]
.LBB7_64:
	s_or_b64 exec, exec, s[4:5]
	v_mov_b32_e32 v22, 0
	ds_read_b64 v[22:23], v22 offset:16
	s_waitcnt lgkmcnt(0)
	v_mul_f64 v[22:23], v[50:51], v[22:23]
.LBB7_65:
	s_or_b64 exec, exec, s[16:17]
	v_cmp_lt_u32_e64 s[2:3], 1, v0
	ds_write_b64 v52, v[20:21]
	s_waitcnt lgkmcnt(0)
	; wave barrier
	s_and_saveexec_b64 s[16:17], s[2:3]
	s_cbranch_execz .LBB7_81
; %bb.66:
	s_andn2_b64 vcc, exec, s[18:19]
	s_cbranch_vccnz .LBB7_68
; %bb.67:
	v_cmp_eq_u32_e32 vcc, 1, v0
	v_cndmask_b32_e32 v50, v19, v21, vcc
	v_cmp_eq_u32_e64 s[4:5], 2, v0
	v_cndmask_b32_e64 v50, v50, v23, s[4:5]
	v_cmp_eq_u32_e64 s[6:7], 3, v0
	v_cndmask_b32_e64 v50, v50, v25, s[6:7]
	;; [unrolled: 2-line block ×6, first 2 shown]
	v_cndmask_b32_e32 v50, v18, v20, vcc
	v_cndmask_b32_e64 v50, v50, v22, s[4:5]
	v_cndmask_b32_e64 v50, v50, v24, s[6:7]
	ds_read_b64 v[53:54], v52
	v_cndmask_b32_e64 v50, v50, v26, s[8:9]
	v_cndmask_b32_e64 v50, v50, v28, s[10:11]
	;; [unrolled: 1-line block ×4, first 2 shown]
	s_waitcnt lgkmcnt(0)
	v_mul_f64 v[50:51], v[50:51], v[53:54]
	s_cbranch_execz .LBB7_69
	s_branch .LBB7_70
.LBB7_68:
                                        ; implicit-def: $vgpr50_vgpr51
.LBB7_69:
	ds_read_b64 v[50:51], v52
.LBB7_70:
	s_and_saveexec_b64 s[4:5], s[0:1]
	s_cbranch_execz .LBB7_80
; %bb.71:
	v_add_u32_e32 v54, -3, v0
	v_add_u32_e32 v53, -2, v0
	v_cmp_lt_u32_e32 vcc, 6, v54
	v_mov_b32_e32 v55, 2
	s_and_saveexec_b64 s[0:1], vcc
	s_cbranch_execz .LBB7_75
; %bb.72:
	v_and_b32_e32 v54, -8, v53
	v_sub_u32_e32 v54, 0, v54
	s_mov_b64 s[6:7], 9
	s_movk_i32 s10, 0x50
	s_mov_b64 s[8:9], 0
.LBB7_73:                               ; =>This Inner Loop Header: Depth=1
	s_lshl_b32 s11, s6, 1
	s_add_i32 s12, s11, -13
	v_mov_b32_e32 v67, s10
	s_add_i32 s13, s11, -14
	s_set_gpr_idx_on s12, gpr_idx(SRC0)
	v_mov_b32_e32 v64, v18
	s_set_gpr_idx_off
	s_set_gpr_idx_on s13, gpr_idx(SRC0)
	v_mov_b32_e32 v63, v18
	s_set_gpr_idx_off
	ds_read_b128 v[55:58], v67
	ds_read_b128 v[59:62], v67 offset:16
	s_add_i32 s12, s11, -11
	s_add_i32 s13, s11, -12
	s_waitcnt lgkmcnt(1)
	v_fma_f64 v[50:51], v[63:64], v[55:56], v[50:51]
	ds_read_b128 v[63:66], v67 offset:32
	ds_read_b128 v[67:70], v67 offset:48
	s_set_gpr_idx_on s12, gpr_idx(SRC0)
	v_mov_b32_e32 v56, v18
	s_set_gpr_idx_off
	s_set_gpr_idx_on s13, gpr_idx(SRC0)
	v_mov_b32_e32 v55, v18
	s_set_gpr_idx_off
	s_add_i32 s12, s11, -9
	s_add_i32 s13, s11, -10
	v_fma_f64 v[50:51], v[55:56], v[57:58], v[50:51]
	s_set_gpr_idx_on s12, gpr_idx(SRC0)
	v_mov_b32_e32 v56, v18
	s_set_gpr_idx_off
	s_set_gpr_idx_on s13, gpr_idx(SRC0)
	v_mov_b32_e32 v55, v18
	s_set_gpr_idx_off
	s_add_i32 s12, s11, -7
	s_add_i32 s13, s11, -8
	s_waitcnt lgkmcnt(2)
	v_fma_f64 v[50:51], v[55:56], v[59:60], v[50:51]
	s_set_gpr_idx_on s12, gpr_idx(SRC0)
	v_mov_b32_e32 v56, v18
	s_set_gpr_idx_off
	s_set_gpr_idx_on s13, gpr_idx(SRC0)
	v_mov_b32_e32 v55, v18
	s_set_gpr_idx_off
	s_add_i32 s12, s11, -5
	s_add_i32 s13, s11, -6
	v_fma_f64 v[50:51], v[55:56], v[61:62], v[50:51]
	s_set_gpr_idx_on s12, gpr_idx(SRC0)
	v_mov_b32_e32 v56, v18
	s_set_gpr_idx_off
	s_set_gpr_idx_on s13, gpr_idx(SRC0)
	v_mov_b32_e32 v55, v18
	s_set_gpr_idx_off
	s_add_i32 s12, s11, -3
	s_add_i32 s13, s11, -4
	s_waitcnt lgkmcnt(1)
	v_fma_f64 v[50:51], v[55:56], v[63:64], v[50:51]
	s_set_gpr_idx_on s12, gpr_idx(SRC0)
	v_mov_b32_e32 v56, v18
	s_set_gpr_idx_off
	s_set_gpr_idx_on s13, gpr_idx(SRC0)
	v_mov_b32_e32 v55, v18
	s_set_gpr_idx_off
	s_add_i32 s12, s11, -1
	s_add_i32 s13, s11, -2
	s_add_u32 s6, s6, 8
	s_addc_u32 s7, s7, 0
	s_add_i32 s10, s10, 64
	v_fma_f64 v[50:51], v[55:56], v[65:66], v[50:51]
	s_set_gpr_idx_on s12, gpr_idx(SRC0)
	v_mov_b32_e32 v56, v18
	s_set_gpr_idx_off
	s_set_gpr_idx_on s13, gpr_idx(SRC0)
	v_mov_b32_e32 v55, v18
	s_set_gpr_idx_off
	s_waitcnt lgkmcnt(0)
	v_fma_f64 v[50:51], v[55:56], v[67:68], v[50:51]
	s_set_gpr_idx_on s11, gpr_idx(SRC0)
	v_mov_b32_e32 v56, v19
	v_mov_b32_e32 v55, v18
	s_set_gpr_idx_off
	s_add_i32 s11, s6, -7
	v_fma_f64 v[50:51], v[55:56], v[69:70], v[50:51]
	v_add_u32_e32 v55, s6, v54
	v_cmp_eq_u32_e32 vcc, 9, v55
	s_or_b64 s[8:9], vcc, s[8:9]
	v_mov_b32_e32 v55, s11
	s_andn2_b64 exec, exec, s[8:9]
	s_cbranch_execnz .LBB7_73
; %bb.74:
	s_or_b64 exec, exec, s[8:9]
.LBB7_75:
	s_or_b64 exec, exec, s[0:1]
	v_and_b32_e32 v53, 7, v53
	v_cmp_ne_u32_e32 vcc, 0, v53
	s_and_saveexec_b64 s[6:7], vcc
	s_cbranch_execz .LBB7_79
; %bb.76:
	v_lshl_add_u32 v54, v55, 3, 64
	v_mov_b32_e32 v56, 0
	s_mov_b64 s[8:9], 0
.LBB7_77:                               ; =>This Inner Loop Header: Depth=1
	v_cmp_eq_u32_e32 vcc, 1, v55
	v_cndmask_b32_e32 v59, v19, v21, vcc
	v_cmp_eq_u32_e64 s[0:1], 2, v55
	v_cndmask_b32_e64 v59, v59, v23, s[0:1]
	v_cndmask_b32_e32 v60, v18, v20, vcc
	v_cmp_eq_u32_e32 vcc, 3, v55
	v_cndmask_b32_e32 v59, v59, v25, vcc
	v_cndmask_b32_e64 v60, v60, v22, s[0:1]
	v_cmp_eq_u32_e64 s[0:1], 4, v55
	ds_read_b64 v[57:58], v54
	v_cndmask_b32_e64 v59, v59, v27, s[0:1]
	v_cndmask_b32_e32 v60, v60, v24, vcc
	v_cmp_eq_u32_e32 vcc, 5, v55
	v_cndmask_b32_e32 v59, v59, v29, vcc
	v_cndmask_b32_e64 v60, v60, v26, s[0:1]
	v_cmp_eq_u32_e64 s[0:1], 6, v55
	v_cndmask_b32_e64 v59, v59, v31, s[0:1]
	v_cndmask_b32_e32 v61, v60, v28, vcc
	v_cmp_eq_u32_e32 vcc, 7, v55
	v_cndmask_b32_e32 v60, v59, v33, vcc
	v_cndmask_b32_e64 v59, v61, v30, s[0:1]
	v_cndmask_b32_e32 v59, v59, v32, vcc
	s_waitcnt lgkmcnt(0)
	v_fma_f64 v[50:51], v[59:60], v[57:58], v[50:51]
	v_add_u32_e32 v53, -1, v53
	v_cmp_eq_u32_e32 vcc, 0, v53
	s_or_b64 s[8:9], vcc, s[8:9]
	v_add_co_u32_e32 v55, vcc, 1, v55
	v_add_u32_e32 v54, 8, v54
	v_addc_co_u32_e32 v56, vcc, 0, v56, vcc
	s_andn2_b64 exec, exec, s[8:9]
	s_cbranch_execnz .LBB7_77
; %bb.78:
	s_or_b64 exec, exec, s[8:9]
.LBB7_79:
	s_or_b64 exec, exec, s[6:7]
.LBB7_80:
	s_or_b64 exec, exec, s[4:5]
	v_mov_b32_e32 v20, 0
	ds_read_b64 v[20:21], v20 offset:8
	s_waitcnt lgkmcnt(0)
	v_mul_f64 v[20:21], v[50:51], v[20:21]
.LBB7_81:
	s_or_b64 exec, exec, s[16:17]
	v_cmp_ne_u32_e32 vcc, 0, v0
	ds_write_b64 v52, v[18:19]
	s_waitcnt lgkmcnt(0)
	; wave barrier
	s_and_saveexec_b64 s[14:15], vcc
	s_cbranch_execz .LBB7_97
; %bb.82:
	s_andn2_b64 vcc, exec, s[18:19]
	s_cbranch_vccnz .LBB7_84
; %bb.83:
	v_cmp_eq_u32_e32 vcc, 1, v0
	v_cndmask_b32_e32 v50, v19, v21, vcc
	v_cmp_eq_u32_e64 s[0:1], 2, v0
	v_cndmask_b32_e64 v50, v50, v23, s[0:1]
	v_cmp_eq_u32_e64 s[4:5], 3, v0
	v_cndmask_b32_e64 v50, v50, v25, s[4:5]
	;; [unrolled: 2-line block ×6, first 2 shown]
	v_cndmask_b32_e32 v50, v18, v20, vcc
	v_cndmask_b32_e64 v50, v50, v22, s[0:1]
	v_cndmask_b32_e64 v50, v50, v24, s[4:5]
	ds_read_b64 v[53:54], v52
	v_cndmask_b32_e64 v50, v50, v26, s[6:7]
	v_cndmask_b32_e64 v50, v50, v28, s[8:9]
	;; [unrolled: 1-line block ×4, first 2 shown]
	s_waitcnt lgkmcnt(0)
	v_mul_f64 v[50:51], v[50:51], v[53:54]
	s_cbranch_execz .LBB7_85
	s_branch .LBB7_86
.LBB7_84:
                                        ; implicit-def: $vgpr50_vgpr51
.LBB7_85:
	ds_read_b64 v[50:51], v52
.LBB7_86:
	s_and_saveexec_b64 s[4:5], s[2:3]
	s_cbranch_execz .LBB7_96
; %bb.87:
	v_add_u32_e32 v54, -2, v0
	v_add_u32_e32 v53, -1, v0
	v_cmp_lt_u32_e32 vcc, 6, v54
	v_mov_b32_e32 v55, 1
	s_and_saveexec_b64 s[0:1], vcc
	s_cbranch_execz .LBB7_91
; %bb.88:
	v_and_b32_e32 v54, -8, v53
	v_sub_u32_e32 v54, 0, v54
	s_mov_b64 s[2:3], 8
	s_movk_i32 s8, 0x48
	s_mov_b64 s[6:7], 0
.LBB7_89:                               ; =>This Inner Loop Header: Depth=1
	s_lshl_b32 s9, s2, 1
	s_add_i32 s10, s9, -13
	v_mov_b32_e32 v61, s8
	s_add_i32 s11, s9, -14
	s_set_gpr_idx_on s10, gpr_idx(SRC0)
	v_mov_b32_e32 v60, v18
	s_set_gpr_idx_off
	s_set_gpr_idx_on s11, gpr_idx(SRC0)
	v_mov_b32_e32 v59, v18
	s_set_gpr_idx_off
	ds_read2_b64 v[55:58], v61 offset1:1
	s_add_i32 s10, s9, -11
	s_add_i32 s11, s9, -12
	;; [unrolled: 1-line block ×4, first 2 shown]
	s_waitcnt lgkmcnt(0)
	v_fma_f64 v[50:51], v[59:60], v[55:56], v[50:51]
	s_set_gpr_idx_on s10, gpr_idx(SRC0)
	v_mov_b32_e32 v56, v18
	s_set_gpr_idx_off
	s_set_gpr_idx_on s11, gpr_idx(SRC0)
	v_mov_b32_e32 v55, v18
	s_set_gpr_idx_off
	s_add_i32 s10, s9, -7
	s_add_i32 s11, s9, -8
	v_fma_f64 v[50:51], v[55:56], v[57:58], v[50:51]
	s_set_gpr_idx_on s12, gpr_idx(SRC0)
	v_mov_b32_e32 v60, v18
	s_set_gpr_idx_off
	s_set_gpr_idx_on s13, gpr_idx(SRC0)
	v_mov_b32_e32 v59, v18
	s_set_gpr_idx_off
	ds_read2_b64 v[55:58], v61 offset0:2 offset1:3
	s_add_i32 s12, s9, -5
	s_add_i32 s13, s9, -6
	s_waitcnt lgkmcnt(0)
	v_fma_f64 v[50:51], v[59:60], v[55:56], v[50:51]
	s_set_gpr_idx_on s10, gpr_idx(SRC0)
	v_mov_b32_e32 v56, v18
	s_set_gpr_idx_off
	s_set_gpr_idx_on s11, gpr_idx(SRC0)
	v_mov_b32_e32 v55, v18
	s_set_gpr_idx_off
	s_add_i32 s10, s9, -3
	s_add_i32 s11, s9, -4
	v_fma_f64 v[50:51], v[55:56], v[57:58], v[50:51]
	s_set_gpr_idx_on s12, gpr_idx(SRC0)
	v_mov_b32_e32 v60, v18
	s_set_gpr_idx_off
	s_set_gpr_idx_on s13, gpr_idx(SRC0)
	v_mov_b32_e32 v59, v18
	s_set_gpr_idx_off
	ds_read2_b64 v[55:58], v61 offset0:4 offset1:5
	s_add_i32 s12, s9, -1
	s_add_i32 s13, s9, -2
	s_add_u32 s2, s2, 8
	s_addc_u32 s3, s3, 0
	s_waitcnt lgkmcnt(0)
	v_fma_f64 v[50:51], v[59:60], v[55:56], v[50:51]
	s_set_gpr_idx_on s10, gpr_idx(SRC0)
	v_mov_b32_e32 v56, v18
	s_set_gpr_idx_off
	s_set_gpr_idx_on s11, gpr_idx(SRC0)
	v_mov_b32_e32 v55, v18
	s_set_gpr_idx_off
	s_add_i32 s8, s8, 64
	v_fma_f64 v[50:51], v[55:56], v[57:58], v[50:51]
	s_set_gpr_idx_on s12, gpr_idx(SRC0)
	v_mov_b32_e32 v60, v18
	s_set_gpr_idx_off
	s_set_gpr_idx_on s13, gpr_idx(SRC0)
	v_mov_b32_e32 v59, v18
	s_set_gpr_idx_off
	ds_read2_b64 v[55:58], v61 offset0:6 offset1:7
	s_waitcnt lgkmcnt(0)
	v_fma_f64 v[50:51], v[59:60], v[55:56], v[50:51]
	s_set_gpr_idx_on s9, gpr_idx(SRC0)
	v_mov_b32_e32 v56, v19
	v_mov_b32_e32 v55, v18
	s_set_gpr_idx_off
	s_add_i32 s9, s2, -7
	v_fma_f64 v[50:51], v[55:56], v[57:58], v[50:51]
	v_add_u32_e32 v55, s2, v54
	v_cmp_eq_u32_e32 vcc, 8, v55
	s_or_b64 s[6:7], vcc, s[6:7]
	v_mov_b32_e32 v55, s9
	s_andn2_b64 exec, exec, s[6:7]
	s_cbranch_execnz .LBB7_89
; %bb.90:
	s_or_b64 exec, exec, s[6:7]
.LBB7_91:
	s_or_b64 exec, exec, s[0:1]
	v_and_b32_e32 v53, 7, v53
	v_cmp_ne_u32_e32 vcc, 0, v53
	s_and_saveexec_b64 s[2:3], vcc
	s_cbranch_execz .LBB7_95
; %bb.92:
	v_lshl_add_u32 v54, v55, 3, 64
	v_mov_b32_e32 v56, 0
	s_mov_b64 s[6:7], 0
.LBB7_93:                               ; =>This Inner Loop Header: Depth=1
	v_cmp_eq_u32_e32 vcc, 1, v55
	v_cndmask_b32_e32 v59, v19, v21, vcc
	v_cmp_eq_u32_e64 s[0:1], 2, v55
	v_cndmask_b32_e64 v59, v59, v23, s[0:1]
	v_cndmask_b32_e32 v60, v18, v20, vcc
	v_cmp_eq_u32_e32 vcc, 3, v55
	v_cndmask_b32_e32 v59, v59, v25, vcc
	v_cndmask_b32_e64 v60, v60, v22, s[0:1]
	v_cmp_eq_u32_e64 s[0:1], 4, v55
	ds_read_b64 v[57:58], v54
	v_cndmask_b32_e64 v59, v59, v27, s[0:1]
	v_cndmask_b32_e32 v60, v60, v24, vcc
	v_cmp_eq_u32_e32 vcc, 5, v55
	v_cndmask_b32_e32 v59, v59, v29, vcc
	v_cndmask_b32_e64 v60, v60, v26, s[0:1]
	v_cmp_eq_u32_e64 s[0:1], 6, v55
	v_cndmask_b32_e64 v59, v59, v31, s[0:1]
	v_cndmask_b32_e32 v61, v60, v28, vcc
	v_cmp_eq_u32_e32 vcc, 7, v55
	v_cndmask_b32_e32 v60, v59, v33, vcc
	v_cndmask_b32_e64 v59, v61, v30, s[0:1]
	v_cndmask_b32_e32 v59, v59, v32, vcc
	s_waitcnt lgkmcnt(0)
	v_fma_f64 v[50:51], v[59:60], v[57:58], v[50:51]
	v_add_u32_e32 v53, -1, v53
	v_cmp_eq_u32_e32 vcc, 0, v53
	s_or_b64 s[6:7], vcc, s[6:7]
	v_add_co_u32_e32 v55, vcc, 1, v55
	v_add_u32_e32 v54, 8, v54
	v_addc_co_u32_e32 v56, vcc, 0, v56, vcc
	s_andn2_b64 exec, exec, s[6:7]
	s_cbranch_execnz .LBB7_93
; %bb.94:
	s_or_b64 exec, exec, s[6:7]
.LBB7_95:
	s_or_b64 exec, exec, s[2:3]
.LBB7_96:
	s_or_b64 exec, exec, s[4:5]
	v_mov_b32_e32 v18, 0
	ds_read_b64 v[18:19], v18
	s_waitcnt lgkmcnt(0)
	v_mul_f64 v[18:19], v[50:51], v[18:19]
.LBB7_97:
	s_or_b64 exec, exec, s[14:15]
	s_branch .LBB7_159
.LBB7_98:
	v_cmp_eq_u32_e64 s[2:3], 0, v0
	s_waitcnt vmcnt(7)
	ds_write_b64 v52, v[4:5]
	s_waitcnt lgkmcnt(0)
	; wave barrier
	s_and_saveexec_b64 s[14:15], s[2:3]
	s_cbranch_execz .LBB7_104
; %bb.99:
	s_and_b64 vcc, exec, s[18:19]
	s_cbranch_vccz .LBB7_101
; %bb.100:
	v_cmp_eq_u32_e32 vcc, 1, v0
	s_waitcnt vmcnt(3)
	v_cndmask_b32_e32 v5, v3, v5, vcc
	v_cmp_eq_u32_e64 s[0:1], 2, v0
	v_cndmask_b32_e32 v4, v2, v4, vcc
	v_cndmask_b32_e64 v5, v5, v7, s[0:1]
	v_cmp_eq_u32_e64 s[4:5], 3, v0
	v_cndmask_b32_e64 v4, v4, v6, s[0:1]
	v_cndmask_b32_e64 v5, v5, v9, s[4:5]
	v_cmp_eq_u32_e64 s[6:7], 4, v0
	v_cndmask_b32_e64 v4, v4, v8, s[4:5]
	ds_read_b64 v[18:19], v52
	v_cndmask_b32_e64 v5, v5, v11, s[6:7]
	v_cmp_eq_u32_e64 s[8:9], 5, v0
	v_cndmask_b32_e64 v4, v4, v10, s[6:7]
	s_waitcnt vmcnt(2)
	v_cndmask_b32_e64 v5, v5, v13, s[8:9]
	v_cmp_eq_u32_e64 s[10:11], 6, v0
	v_cndmask_b32_e64 v4, v4, v12, s[8:9]
	s_waitcnt vmcnt(1)
	v_cndmask_b32_e64 v5, v5, v15, s[10:11]
	v_cmp_eq_u32_e64 s[12:13], 7, v0
	v_cndmask_b32_e64 v4, v4, v14, s[10:11]
	s_waitcnt vmcnt(0)
	v_cndmask_b32_e64 v5, v5, v17, s[12:13]
	v_cndmask_b32_e64 v4, v4, v16, s[12:13]
	s_waitcnt lgkmcnt(0)
	v_mul_f64 v[4:5], v[4:5], v[18:19]
	s_cbranch_execz .LBB7_102
	s_branch .LBB7_103
.LBB7_101:
                                        ; implicit-def: $vgpr4_vgpr5
.LBB7_102:
	ds_read_b64 v[4:5], v52
.LBB7_103:
	v_mov_b32_e32 v18, 0
	ds_read_b64 v[18:19], v18 offset:8
	s_waitcnt lgkmcnt(0)
	v_mul_f64 v[4:5], v[4:5], v[18:19]
.LBB7_104:
	s_or_b64 exec, exec, s[14:15]
	v_cndmask_b32_e64 v18, 0, 1, s[18:19]
	v_cmp_gt_u32_e32 vcc, 2, v0
	v_cmp_ne_u32_e64 s[0:1], 1, v18
	s_waitcnt vmcnt(6)
	ds_write_b64 v52, v[6:7]
	s_waitcnt lgkmcnt(0)
	; wave barrier
	s_and_saveexec_b64 s[16:17], vcc
	s_cbranch_execz .LBB7_110
; %bb.105:
	s_and_b64 vcc, exec, s[0:1]
	s_cbranch_vccnz .LBB7_107
; %bb.106:
	v_cmp_eq_u32_e32 vcc, 1, v0
	s_waitcnt vmcnt(3)
	v_cndmask_b32_e32 v18, v3, v5, vcc
	v_cmp_eq_u32_e64 s[4:5], 2, v0
	v_cndmask_b32_e64 v7, v18, v7, s[4:5]
	v_cndmask_b32_e32 v18, v2, v4, vcc
	v_cmp_eq_u32_e64 s[6:7], 3, v0
	v_cndmask_b32_e64 v6, v18, v6, s[4:5]
	v_cndmask_b32_e64 v7, v7, v9, s[6:7]
	v_cmp_eq_u32_e64 s[8:9], 4, v0
	v_cndmask_b32_e64 v6, v6, v8, s[6:7]
	ds_read_b64 v[18:19], v52
	v_cndmask_b32_e64 v7, v7, v11, s[8:9]
	v_cmp_eq_u32_e64 s[10:11], 5, v0
	v_cndmask_b32_e64 v6, v6, v10, s[8:9]
	s_waitcnt vmcnt(2)
	v_cndmask_b32_e64 v7, v7, v13, s[10:11]
	v_cmp_eq_u32_e64 s[12:13], 6, v0
	v_cndmask_b32_e64 v6, v6, v12, s[10:11]
	s_waitcnt vmcnt(1)
	;; [unrolled: 4-line block ×3, first 2 shown]
	v_cndmask_b32_e64 v7, v7, v17, s[14:15]
	v_cndmask_b32_e64 v6, v6, v16, s[14:15]
	s_waitcnt lgkmcnt(0)
	v_mul_f64 v[6:7], v[6:7], v[18:19]
	s_cbranch_execz .LBB7_108
	s_branch .LBB7_109
.LBB7_107:
                                        ; implicit-def: $vgpr6_vgpr7
.LBB7_108:
	ds_read_b64 v[6:7], v52
.LBB7_109:
	v_mov_b32_e32 v18, 0
	ds_read2_b64 v[18:21], v18 offset0:2 offset1:9
	s_waitcnt lgkmcnt(0)
	v_fma_f64 v[20:21], v[4:5], v[20:21], v[6:7]
	v_cndmask_b32_e64 v7, v7, v21, s[2:3]
	v_cndmask_b32_e64 v6, v6, v20, s[2:3]
	v_mul_f64 v[6:7], v[6:7], v[18:19]
.LBB7_110:
	s_or_b64 exec, exec, s[16:17]
	v_cmp_gt_u32_e32 vcc, 3, v0
	s_waitcnt vmcnt(5)
	ds_write_b64 v52, v[8:9]
	s_waitcnt lgkmcnt(0)
	; wave barrier
	s_and_saveexec_b64 s[16:17], vcc
	s_cbranch_execz .LBB7_118
; %bb.111:
	s_and_b64 vcc, exec, s[0:1]
	s_cbranch_vccnz .LBB7_113
; %bb.112:
	v_cmp_eq_u32_e32 vcc, 1, v0
	s_waitcnt vmcnt(3)
	v_cndmask_b32_e32 v18, v3, v5, vcc
	v_cmp_eq_u32_e64 s[4:5], 2, v0
	v_cndmask_b32_e64 v18, v18, v7, s[4:5]
	v_cmp_eq_u32_e64 s[6:7], 3, v0
	v_cndmask_b32_e64 v18, v18, v9, s[6:7]
	;; [unrolled: 2-line block ×3, first 2 shown]
	v_cmp_eq_u32_e64 s[10:11], 5, v0
	s_waitcnt vmcnt(2)
	v_cndmask_b32_e64 v18, v18, v13, s[10:11]
	v_cmp_eq_u32_e64 s[12:13], 6, v0
	s_waitcnt vmcnt(1)
	v_cndmask_b32_e64 v18, v18, v15, s[12:13]
	;; [unrolled: 3-line block ×3, first 2 shown]
	v_cndmask_b32_e32 v18, v2, v4, vcc
	v_cndmask_b32_e64 v18, v18, v6, s[4:5]
	v_cndmask_b32_e64 v18, v18, v8, s[6:7]
	ds_read_b64 v[20:21], v52
	v_cndmask_b32_e64 v18, v18, v10, s[8:9]
	v_cndmask_b32_e64 v18, v18, v12, s[10:11]
	;; [unrolled: 1-line block ×4, first 2 shown]
	s_waitcnt lgkmcnt(0)
	v_mul_f64 v[18:19], v[18:19], v[20:21]
	s_cbranch_execz .LBB7_114
	s_branch .LBB7_115
.LBB7_113:
                                        ; implicit-def: $vgpr18_vgpr19
.LBB7_114:
	ds_read_b64 v[18:19], v52
.LBB7_115:
	v_cmp_ne_u32_e32 vcc, 2, v0
	s_and_saveexec_b64 s[18:19], vcc
	s_cbranch_execz .LBB7_117
; %bb.116:
	v_add_u32_e32 v20, 1, v0
	v_cmp_eq_u32_e32 vcc, 1, v20
	s_waitcnt vmcnt(3)
	v_cndmask_b32_e32 v21, v3, v5, vcc
	v_cmp_eq_u32_e64 s[4:5], 2, v20
	v_cmp_eq_u32_e64 s[6:7], 3, v20
	;; [unrolled: 1-line block ×6, first 2 shown]
	v_cndmask_b32_e32 v20, v2, v4, vcc
	v_cndmask_b32_e64 v21, v21, v7, s[4:5]
	v_cndmask_b32_e64 v20, v20, v6, s[4:5]
	;; [unrolled: 1-line block ×4, first 2 shown]
	ds_read_b64 v[20:21], v52 offset:8
	v_cndmask_b32_e64 v9, v9, v11, s[8:9]
	v_cndmask_b32_e64 v8, v8, v10, s[8:9]
	s_waitcnt vmcnt(2)
	v_cndmask_b32_e64 v9, v9, v13, s[10:11]
	v_cndmask_b32_e64 v8, v8, v12, s[10:11]
	s_waitcnt vmcnt(1)
	;; [unrolled: 3-line block ×3, first 2 shown]
	v_cndmask_b32_e64 v9, v9, v17, s[14:15]
	v_cndmask_b32_e64 v8, v8, v16, s[14:15]
	v_mov_b32_e32 v22, 0
	ds_read_b64 v[22:23], v22 offset:80
	s_waitcnt lgkmcnt(1)
	v_fma_f64 v[8:9], v[8:9], v[20:21], v[18:19]
	s_waitcnt lgkmcnt(0)
	v_fma_f64 v[18:19], v[6:7], v[22:23], v[8:9]
	v_cndmask_b32_e64 v19, v9, v19, s[2:3]
	v_cndmask_b32_e64 v18, v8, v18, s[2:3]
.LBB7_117:
	s_or_b64 exec, exec, s[18:19]
	v_mov_b32_e32 v8, 0
	ds_read_b64 v[8:9], v8 offset:24
	s_waitcnt lgkmcnt(0)
	v_mul_f64 v[8:9], v[18:19], v[8:9]
.LBB7_118:
	s_or_b64 exec, exec, s[16:17]
	v_cmp_gt_u32_e32 vcc, 4, v0
	s_waitcnt vmcnt(4)
	ds_write_b64 v52, v[10:11]
	s_waitcnt lgkmcnt(0)
	; wave barrier
	s_and_saveexec_b64 s[14:15], vcc
	s_cbranch_execz .LBB7_128
; %bb.119:
	s_and_b64 vcc, exec, s[0:1]
	s_cbranch_vccnz .LBB7_121
; %bb.120:
	v_cmp_eq_u32_e32 vcc, 1, v0
	s_waitcnt vmcnt(3)
	v_cndmask_b32_e32 v18, v3, v5, vcc
	v_cmp_eq_u32_e64 s[2:3], 2, v0
	v_cndmask_b32_e64 v18, v18, v7, s[2:3]
	v_cmp_eq_u32_e64 s[4:5], 3, v0
	v_cndmask_b32_e64 v18, v18, v9, s[4:5]
	v_cmp_eq_u32_e64 s[6:7], 4, v0
	v_cndmask_b32_e64 v18, v18, v11, s[6:7]
	v_cmp_eq_u32_e64 s[8:9], 5, v0
	s_waitcnt vmcnt(2)
	v_cndmask_b32_e64 v18, v18, v13, s[8:9]
	v_cmp_eq_u32_e64 s[10:11], 6, v0
	s_waitcnt vmcnt(1)
	v_cndmask_b32_e64 v18, v18, v15, s[10:11]
	v_cmp_eq_u32_e64 s[12:13], 7, v0
	s_waitcnt vmcnt(0)
	v_cndmask_b32_e64 v19, v18, v17, s[12:13]
	v_cndmask_b32_e32 v18, v2, v4, vcc
	v_cndmask_b32_e64 v18, v18, v6, s[2:3]
	v_cndmask_b32_e64 v18, v18, v8, s[4:5]
	ds_read_b64 v[20:21], v52
	v_cndmask_b32_e64 v18, v18, v10, s[6:7]
	v_cndmask_b32_e64 v18, v18, v12, s[8:9]
	;; [unrolled: 1-line block ×4, first 2 shown]
	s_waitcnt lgkmcnt(0)
	v_mul_f64 v[18:19], v[18:19], v[20:21]
	s_cbranch_execz .LBB7_122
	s_branch .LBB7_123
.LBB7_121:
                                        ; implicit-def: $vgpr18_vgpr19
.LBB7_122:
	ds_read_b64 v[18:19], v52
.LBB7_123:
	v_cmp_ne_u32_e32 vcc, 3, v0
	s_and_saveexec_b64 s[4:5], vcc
	s_cbranch_execz .LBB7_127
; %bb.124:
	v_mov_b32_e32 v20, 0x48
	v_lshl_add_u32 v22, v0, 3, v20
	v_mov_b32_e32 v21, v1
	s_mov_b64 s[6:7], 0
	v_mov_b32_e32 v20, v0
.LBB7_125:                              ; =>This Inner Loop Header: Depth=1
	v_add_co_u32_e32 v20, vcc, 1, v20
	v_addc_co_u32_e32 v21, vcc, 0, v21, vcc
	v_cmp_eq_u32_e32 vcc, 1, v20
	s_waitcnt vmcnt(3)
	v_cndmask_b32_e32 v25, v3, v5, vcc
	v_cmp_eq_u32_e64 s[2:3], 2, v20
	v_cndmask_b32_e64 v25, v25, v7, s[2:3]
	v_cndmask_b32_e32 v26, v2, v4, vcc
	v_cmp_eq_u32_e32 vcc, 3, v20
	v_cndmask_b32_e32 v25, v25, v9, vcc
	v_cndmask_b32_e64 v26, v26, v6, s[2:3]
	v_cmp_eq_u32_e64 s[2:3], 4, v20
	ds_read_b64 v[23:24], v22
	v_cndmask_b32_e64 v25, v25, v11, s[2:3]
	v_cndmask_b32_e32 v26, v26, v8, vcc
	v_cmp_eq_u32_e32 vcc, 5, v20
	s_waitcnt vmcnt(2)
	v_cndmask_b32_e32 v25, v25, v13, vcc
	v_cndmask_b32_e64 v26, v26, v10, s[2:3]
	v_cmp_eq_u32_e64 s[2:3], 6, v20
	s_waitcnt vmcnt(1)
	v_cndmask_b32_e64 v25, v25, v15, s[2:3]
	v_cndmask_b32_e32 v27, v26, v12, vcc
	v_cmp_eq_u32_e32 vcc, 7, v20
	s_waitcnt vmcnt(0)
	v_cndmask_b32_e32 v26, v25, v17, vcc
	v_cndmask_b32_e64 v25, v27, v14, s[2:3]
	v_cndmask_b32_e32 v25, v25, v16, vcc
	s_waitcnt lgkmcnt(0)
	v_fma_f64 v[18:19], v[25:26], v[23:24], v[18:19]
	v_cmp_lt_u32_e32 vcc, 2, v20
	s_or_b64 s[6:7], vcc, s[6:7]
	v_add_u32_e32 v22, 8, v22
	s_andn2_b64 exec, exec, s[6:7]
	s_cbranch_execnz .LBB7_125
; %bb.126:
	s_or_b64 exec, exec, s[6:7]
.LBB7_127:
	s_or_b64 exec, exec, s[4:5]
	v_mov_b32_e32 v10, 0
	ds_read_b64 v[10:11], v10 offset:32
	s_waitcnt lgkmcnt(0)
	v_mul_f64 v[10:11], v[18:19], v[10:11]
.LBB7_128:
	s_or_b64 exec, exec, s[14:15]
	v_cmp_gt_u32_e32 vcc, 5, v0
	s_waitcnt vmcnt(2)
	ds_write_b64 v52, v[12:13]
	s_waitcnt lgkmcnt(0)
	; wave barrier
	s_and_saveexec_b64 s[14:15], vcc
	s_cbranch_execz .LBB7_138
; %bb.129:
	s_and_b64 vcc, exec, s[0:1]
	s_cbranch_vccnz .LBB7_131
; %bb.130:
	v_cmp_eq_u32_e32 vcc, 1, v0
	v_cndmask_b32_e32 v18, v3, v5, vcc
	v_cmp_eq_u32_e64 s[2:3], 2, v0
	v_cndmask_b32_e64 v18, v18, v7, s[2:3]
	v_cmp_eq_u32_e64 s[4:5], 3, v0
	v_cndmask_b32_e64 v18, v18, v9, s[4:5]
	;; [unrolled: 2-line block ×4, first 2 shown]
	v_cmp_eq_u32_e64 s[10:11], 6, v0
	s_waitcnt vmcnt(1)
	v_cndmask_b32_e64 v18, v18, v15, s[10:11]
	v_cmp_eq_u32_e64 s[12:13], 7, v0
	s_waitcnt vmcnt(0)
	v_cndmask_b32_e64 v19, v18, v17, s[12:13]
	v_cndmask_b32_e32 v18, v2, v4, vcc
	v_cndmask_b32_e64 v18, v18, v6, s[2:3]
	v_cndmask_b32_e64 v18, v18, v8, s[4:5]
	ds_read_b64 v[20:21], v52
	v_cndmask_b32_e64 v18, v18, v10, s[6:7]
	v_cndmask_b32_e64 v18, v18, v12, s[8:9]
	;; [unrolled: 1-line block ×4, first 2 shown]
	s_waitcnt lgkmcnt(0)
	v_mul_f64 v[18:19], v[18:19], v[20:21]
	s_cbranch_execz .LBB7_132
	s_branch .LBB7_133
.LBB7_131:
                                        ; implicit-def: $vgpr18_vgpr19
.LBB7_132:
	ds_read_b64 v[18:19], v52
.LBB7_133:
	v_cmp_ne_u32_e32 vcc, 4, v0
	s_and_saveexec_b64 s[4:5], vcc
	s_cbranch_execz .LBB7_137
; %bb.134:
	v_mov_b32_e32 v20, 0x48
	v_lshl_add_u32 v22, v0, 3, v20
	v_mov_b32_e32 v21, v1
	s_mov_b64 s[6:7], 0
	v_mov_b32_e32 v20, v0
.LBB7_135:                              ; =>This Inner Loop Header: Depth=1
	v_add_co_u32_e32 v20, vcc, 1, v20
	v_addc_co_u32_e32 v21, vcc, 0, v21, vcc
	v_cmp_eq_u32_e32 vcc, 1, v20
	v_cndmask_b32_e32 v25, v3, v5, vcc
	v_cmp_eq_u32_e64 s[2:3], 2, v20
	v_cndmask_b32_e64 v25, v25, v7, s[2:3]
	v_cndmask_b32_e32 v26, v2, v4, vcc
	v_cmp_eq_u32_e32 vcc, 3, v20
	v_cndmask_b32_e32 v25, v25, v9, vcc
	v_cndmask_b32_e64 v26, v26, v6, s[2:3]
	v_cmp_eq_u32_e64 s[2:3], 4, v20
	ds_read_b64 v[23:24], v22
	v_cndmask_b32_e64 v25, v25, v11, s[2:3]
	v_cndmask_b32_e32 v26, v26, v8, vcc
	v_cmp_eq_u32_e32 vcc, 5, v20
	v_cndmask_b32_e32 v25, v25, v13, vcc
	v_cndmask_b32_e64 v26, v26, v10, s[2:3]
	v_cmp_eq_u32_e64 s[2:3], 6, v20
	s_waitcnt vmcnt(1)
	v_cndmask_b32_e64 v25, v25, v15, s[2:3]
	v_cndmask_b32_e32 v27, v26, v12, vcc
	v_cmp_eq_u32_e32 vcc, 7, v20
	s_waitcnt vmcnt(0)
	v_cndmask_b32_e32 v26, v25, v17, vcc
	v_cndmask_b32_e64 v25, v27, v14, s[2:3]
	v_cndmask_b32_e32 v25, v25, v16, vcc
	s_waitcnt lgkmcnt(0)
	v_fma_f64 v[18:19], v[25:26], v[23:24], v[18:19]
	v_cmp_lt_u32_e32 vcc, 3, v20
	s_or_b64 s[6:7], vcc, s[6:7]
	v_add_u32_e32 v22, 8, v22
	s_andn2_b64 exec, exec, s[6:7]
	s_cbranch_execnz .LBB7_135
; %bb.136:
	s_or_b64 exec, exec, s[6:7]
.LBB7_137:
	s_or_b64 exec, exec, s[4:5]
	v_mov_b32_e32 v12, 0
	ds_read_b64 v[12:13], v12 offset:40
	s_waitcnt lgkmcnt(0)
	v_mul_f64 v[12:13], v[18:19], v[12:13]
.LBB7_138:
	s_or_b64 exec, exec, s[14:15]
	v_cmp_gt_u32_e64 s[2:3], 6, v0
	s_waitcnt vmcnt(1)
	ds_write_b64 v52, v[14:15]
	s_waitcnt lgkmcnt(0)
	; wave barrier
	s_and_saveexec_b64 s[16:17], s[2:3]
	s_cbranch_execz .LBB7_148
; %bb.139:
	s_and_b64 vcc, exec, s[0:1]
	s_cbranch_vccnz .LBB7_141
; %bb.140:
	v_cmp_eq_u32_e32 vcc, 1, v0
	v_cndmask_b32_e32 v18, v3, v5, vcc
	v_cmp_eq_u32_e64 s[4:5], 2, v0
	v_cndmask_b32_e64 v18, v18, v7, s[4:5]
	v_cmp_eq_u32_e64 s[6:7], 3, v0
	v_cndmask_b32_e64 v18, v18, v9, s[6:7]
	;; [unrolled: 2-line block ×5, first 2 shown]
	v_cmp_eq_u32_e64 s[14:15], 7, v0
	s_waitcnt vmcnt(0)
	v_cndmask_b32_e64 v19, v18, v17, s[14:15]
	v_cndmask_b32_e32 v18, v2, v4, vcc
	v_cndmask_b32_e64 v18, v18, v6, s[4:5]
	v_cndmask_b32_e64 v18, v18, v8, s[6:7]
	ds_read_b64 v[20:21], v52
	v_cndmask_b32_e64 v18, v18, v10, s[8:9]
	v_cndmask_b32_e64 v18, v18, v12, s[10:11]
	;; [unrolled: 1-line block ×4, first 2 shown]
	s_waitcnt lgkmcnt(0)
	v_mul_f64 v[18:19], v[18:19], v[20:21]
	s_cbranch_execz .LBB7_142
	s_branch .LBB7_143
.LBB7_141:
                                        ; implicit-def: $vgpr18_vgpr19
.LBB7_142:
	ds_read_b64 v[18:19], v52
.LBB7_143:
	v_cmp_ne_u32_e32 vcc, 5, v0
	s_and_saveexec_b64 s[6:7], vcc
	s_cbranch_execz .LBB7_147
; %bb.144:
	v_mov_b32_e32 v20, 0x48
	v_lshl_add_u32 v22, v0, 3, v20
	v_mov_b32_e32 v21, v1
	s_mov_b64 s[8:9], 0
	v_mov_b32_e32 v20, v0
.LBB7_145:                              ; =>This Inner Loop Header: Depth=1
	v_add_co_u32_e32 v20, vcc, 1, v20
	v_addc_co_u32_e32 v21, vcc, 0, v21, vcc
	v_cmp_eq_u32_e32 vcc, 1, v20
	v_cndmask_b32_e32 v25, v3, v5, vcc
	v_cmp_eq_u32_e64 s[4:5], 2, v20
	v_cndmask_b32_e64 v25, v25, v7, s[4:5]
	v_cndmask_b32_e32 v26, v2, v4, vcc
	v_cmp_eq_u32_e32 vcc, 3, v20
	v_cndmask_b32_e32 v25, v25, v9, vcc
	v_cndmask_b32_e64 v26, v26, v6, s[4:5]
	v_cmp_eq_u32_e64 s[4:5], 4, v20
	ds_read_b64 v[23:24], v22
	v_cndmask_b32_e64 v25, v25, v11, s[4:5]
	v_cndmask_b32_e32 v26, v26, v8, vcc
	v_cmp_eq_u32_e32 vcc, 5, v20
	v_cndmask_b32_e32 v25, v25, v13, vcc
	v_cndmask_b32_e64 v26, v26, v10, s[4:5]
	v_cmp_eq_u32_e64 s[4:5], 6, v20
	v_cndmask_b32_e64 v25, v25, v15, s[4:5]
	v_cndmask_b32_e32 v27, v26, v12, vcc
	v_cmp_eq_u32_e32 vcc, 7, v20
	s_waitcnt vmcnt(0)
	v_cndmask_b32_e32 v26, v25, v17, vcc
	v_cndmask_b32_e64 v25, v27, v14, s[4:5]
	v_cndmask_b32_e32 v25, v25, v16, vcc
	s_waitcnt lgkmcnt(0)
	v_fma_f64 v[18:19], v[25:26], v[23:24], v[18:19]
	v_cmp_lt_u32_e32 vcc, 4, v20
	s_or_b64 s[8:9], vcc, s[8:9]
	v_add_u32_e32 v22, 8, v22
	s_andn2_b64 exec, exec, s[8:9]
	s_cbranch_execnz .LBB7_145
; %bb.146:
	s_or_b64 exec, exec, s[8:9]
.LBB7_147:
	s_or_b64 exec, exec, s[6:7]
	v_mov_b32_e32 v14, 0
	ds_read_b64 v[14:15], v14 offset:48
	s_waitcnt lgkmcnt(0)
	v_mul_f64 v[14:15], v[18:19], v[14:15]
.LBB7_148:
	s_or_b64 exec, exec, s[16:17]
	v_cmp_ne_u32_e32 vcc, 7, v0
	s_waitcnt vmcnt(0)
	ds_write_b64 v52, v[16:17]
	s_waitcnt lgkmcnt(0)
	; wave barrier
	s_and_saveexec_b64 s[14:15], vcc
	s_cbranch_execz .LBB7_158
; %bb.149:
	s_and_b64 vcc, exec, s[0:1]
	s_cbranch_vccnz .LBB7_151
; %bb.150:
	v_cmp_eq_u32_e32 vcc, 1, v0
	v_cndmask_b32_e32 v18, v3, v5, vcc
	v_cmp_eq_u32_e64 s[0:1], 2, v0
	v_cndmask_b32_e64 v18, v18, v7, s[0:1]
	v_cmp_eq_u32_e64 s[4:5], 3, v0
	v_cndmask_b32_e64 v18, v18, v9, s[4:5]
	;; [unrolled: 2-line block ×6, first 2 shown]
	v_cndmask_b32_e32 v18, v2, v4, vcc
	v_cndmask_b32_e64 v18, v18, v6, s[0:1]
	v_cndmask_b32_e64 v18, v18, v8, s[4:5]
	ds_read_b64 v[20:21], v52
	v_cndmask_b32_e64 v18, v18, v10, s[6:7]
	v_cndmask_b32_e64 v18, v18, v12, s[8:9]
	;; [unrolled: 1-line block ×4, first 2 shown]
	s_waitcnt lgkmcnt(0)
	v_mul_f64 v[18:19], v[18:19], v[20:21]
	s_cbranch_execz .LBB7_152
	s_branch .LBB7_153
.LBB7_151:
                                        ; implicit-def: $vgpr18_vgpr19
.LBB7_152:
	ds_read_b64 v[18:19], v52
.LBB7_153:
	s_and_saveexec_b64 s[4:5], s[2:3]
	s_cbranch_execz .LBB7_157
; %bb.154:
	v_mov_b32_e32 v20, 0x48
	v_lshl_add_u32 v20, v0, 3, v20
	s_mov_b64 s[2:3], 0
.LBB7_155:                              ; =>This Inner Loop Header: Depth=1
	v_add_co_u32_e32 v0, vcc, 1, v0
	v_addc_co_u32_e32 v1, vcc, 0, v1, vcc
	v_cmp_eq_u32_e32 vcc, 1, v0
	v_cndmask_b32_e32 v23, v3, v5, vcc
	v_cmp_eq_u32_e64 s[0:1], 2, v0
	v_cndmask_b32_e64 v23, v23, v7, s[0:1]
	v_cndmask_b32_e32 v24, v2, v4, vcc
	v_cmp_eq_u32_e32 vcc, 3, v0
	v_cndmask_b32_e32 v23, v23, v9, vcc
	v_cndmask_b32_e64 v24, v24, v6, s[0:1]
	v_cmp_eq_u32_e64 s[0:1], 4, v0
	ds_read_b64 v[21:22], v20
	v_cndmask_b32_e64 v23, v23, v11, s[0:1]
	v_cndmask_b32_e32 v24, v24, v8, vcc
	v_cmp_eq_u32_e32 vcc, 5, v0
	v_cndmask_b32_e32 v23, v23, v13, vcc
	v_cndmask_b32_e64 v24, v24, v10, s[0:1]
	v_cmp_eq_u32_e64 s[0:1], 6, v0
	v_cndmask_b32_e64 v23, v23, v15, s[0:1]
	v_cndmask_b32_e32 v25, v24, v12, vcc
	v_cmp_eq_u32_e32 vcc, 7, v0
	v_cndmask_b32_e32 v24, v23, v17, vcc
	v_cndmask_b32_e64 v23, v25, v14, s[0:1]
	v_cndmask_b32_e32 v23, v23, v16, vcc
	s_waitcnt lgkmcnt(0)
	v_fma_f64 v[18:19], v[23:24], v[21:22], v[18:19]
	v_cmp_lt_u32_e32 vcc, 5, v0
	s_or_b64 s[2:3], vcc, s[2:3]
	v_add_u32_e32 v20, 8, v20
	s_andn2_b64 exec, exec, s[2:3]
	s_cbranch_execnz .LBB7_155
; %bb.156:
	s_or_b64 exec, exec, s[2:3]
.LBB7_157:
	s_or_b64 exec, exec, s[4:5]
	v_mov_b32_e32 v0, 0
	ds_read_b64 v[0:1], v0 offset:56
	s_waitcnt lgkmcnt(0)
	v_mul_f64 v[16:17], v[18:19], v[0:1]
.LBB7_158:
	s_or_b64 exec, exec, s[14:15]
	v_mov_b32_e32 v33, v17
	v_mov_b32_e32 v32, v16
	;; [unrolled: 1-line block ×16, first 2 shown]
.LBB7_159:
	global_store_dwordx2 v[34:35], v[18:19], off
	global_store_dwordx2 v[48:49], v[20:21], off
	;; [unrolled: 1-line block ×8, first 2 shown]
.LBB7_160:
	s_endpgm
	.section	.rodata,"a",@progbits
	.p2align	6, 0x0
	.amdhsa_kernel _ZN9rocsolver6v33100L18trti2_kernel_smallILi8EdPdEEv13rocblas_fill_17rocblas_diagonal_T1_iil
		.amdhsa_group_segment_fixed_size 128
		.amdhsa_private_segment_fixed_size 0
		.amdhsa_kernarg_size 32
		.amdhsa_user_sgpr_count 6
		.amdhsa_user_sgpr_private_segment_buffer 1
		.amdhsa_user_sgpr_dispatch_ptr 0
		.amdhsa_user_sgpr_queue_ptr 0
		.amdhsa_user_sgpr_kernarg_segment_ptr 1
		.amdhsa_user_sgpr_dispatch_id 0
		.amdhsa_user_sgpr_flat_scratch_init 0
		.amdhsa_user_sgpr_private_segment_size 0
		.amdhsa_uses_dynamic_stack 0
		.amdhsa_system_sgpr_private_segment_wavefront_offset 0
		.amdhsa_system_sgpr_workgroup_id_x 1
		.amdhsa_system_sgpr_workgroup_id_y 0
		.amdhsa_system_sgpr_workgroup_id_z 0
		.amdhsa_system_sgpr_workgroup_info 0
		.amdhsa_system_vgpr_workitem_id 0
		.amdhsa_next_free_vgpr 71
		.amdhsa_next_free_sgpr 24
		.amdhsa_reserve_vcc 1
		.amdhsa_reserve_flat_scratch 0
		.amdhsa_float_round_mode_32 0
		.amdhsa_float_round_mode_16_64 0
		.amdhsa_float_denorm_mode_32 3
		.amdhsa_float_denorm_mode_16_64 3
		.amdhsa_dx10_clamp 1
		.amdhsa_ieee_mode 1
		.amdhsa_fp16_overflow 0
		.amdhsa_exception_fp_ieee_invalid_op 0
		.amdhsa_exception_fp_denorm_src 0
		.amdhsa_exception_fp_ieee_div_zero 0
		.amdhsa_exception_fp_ieee_overflow 0
		.amdhsa_exception_fp_ieee_underflow 0
		.amdhsa_exception_fp_ieee_inexact 0
		.amdhsa_exception_int_div_zero 0
	.end_amdhsa_kernel
	.section	.text._ZN9rocsolver6v33100L18trti2_kernel_smallILi8EdPdEEv13rocblas_fill_17rocblas_diagonal_T1_iil,"axG",@progbits,_ZN9rocsolver6v33100L18trti2_kernel_smallILi8EdPdEEv13rocblas_fill_17rocblas_diagonal_T1_iil,comdat
.Lfunc_end7:
	.size	_ZN9rocsolver6v33100L18trti2_kernel_smallILi8EdPdEEv13rocblas_fill_17rocblas_diagonal_T1_iil, .Lfunc_end7-_ZN9rocsolver6v33100L18trti2_kernel_smallILi8EdPdEEv13rocblas_fill_17rocblas_diagonal_T1_iil
                                        ; -- End function
	.set _ZN9rocsolver6v33100L18trti2_kernel_smallILi8EdPdEEv13rocblas_fill_17rocblas_diagonal_T1_iil.num_vgpr, 71
	.set _ZN9rocsolver6v33100L18trti2_kernel_smallILi8EdPdEEv13rocblas_fill_17rocblas_diagonal_T1_iil.num_agpr, 0
	.set _ZN9rocsolver6v33100L18trti2_kernel_smallILi8EdPdEEv13rocblas_fill_17rocblas_diagonal_T1_iil.numbered_sgpr, 24
	.set _ZN9rocsolver6v33100L18trti2_kernel_smallILi8EdPdEEv13rocblas_fill_17rocblas_diagonal_T1_iil.num_named_barrier, 0
	.set _ZN9rocsolver6v33100L18trti2_kernel_smallILi8EdPdEEv13rocblas_fill_17rocblas_diagonal_T1_iil.private_seg_size, 0
	.set _ZN9rocsolver6v33100L18trti2_kernel_smallILi8EdPdEEv13rocblas_fill_17rocblas_diagonal_T1_iil.uses_vcc, 1
	.set _ZN9rocsolver6v33100L18trti2_kernel_smallILi8EdPdEEv13rocblas_fill_17rocblas_diagonal_T1_iil.uses_flat_scratch, 0
	.set _ZN9rocsolver6v33100L18trti2_kernel_smallILi8EdPdEEv13rocblas_fill_17rocblas_diagonal_T1_iil.has_dyn_sized_stack, 0
	.set _ZN9rocsolver6v33100L18trti2_kernel_smallILi8EdPdEEv13rocblas_fill_17rocblas_diagonal_T1_iil.has_recursion, 0
	.set _ZN9rocsolver6v33100L18trti2_kernel_smallILi8EdPdEEv13rocblas_fill_17rocblas_diagonal_T1_iil.has_indirect_call, 0
	.section	.AMDGPU.csdata,"",@progbits
; Kernel info:
; codeLenInByte = 9320
; TotalNumSgprs: 28
; NumVgprs: 71
; ScratchSize: 0
; MemoryBound: 0
; FloatMode: 240
; IeeeMode: 1
; LDSByteSize: 128 bytes/workgroup (compile time only)
; SGPRBlocks: 3
; VGPRBlocks: 17
; NumSGPRsForWavesPerEU: 28
; NumVGPRsForWavesPerEU: 71
; Occupancy: 3
; WaveLimiterHint : 0
; COMPUTE_PGM_RSRC2:SCRATCH_EN: 0
; COMPUTE_PGM_RSRC2:USER_SGPR: 6
; COMPUTE_PGM_RSRC2:TRAP_HANDLER: 0
; COMPUTE_PGM_RSRC2:TGID_X_EN: 1
; COMPUTE_PGM_RSRC2:TGID_Y_EN: 0
; COMPUTE_PGM_RSRC2:TGID_Z_EN: 0
; COMPUTE_PGM_RSRC2:TIDIG_COMP_CNT: 0
	.section	.text._ZN9rocsolver6v33100L18trti2_kernel_smallILi9EdPdEEv13rocblas_fill_17rocblas_diagonal_T1_iil,"axG",@progbits,_ZN9rocsolver6v33100L18trti2_kernel_smallILi9EdPdEEv13rocblas_fill_17rocblas_diagonal_T1_iil,comdat
	.globl	_ZN9rocsolver6v33100L18trti2_kernel_smallILi9EdPdEEv13rocblas_fill_17rocblas_diagonal_T1_iil ; -- Begin function _ZN9rocsolver6v33100L18trti2_kernel_smallILi9EdPdEEv13rocblas_fill_17rocblas_diagonal_T1_iil
	.p2align	8
	.type	_ZN9rocsolver6v33100L18trti2_kernel_smallILi9EdPdEEv13rocblas_fill_17rocblas_diagonal_T1_iil,@function
_ZN9rocsolver6v33100L18trti2_kernel_smallILi9EdPdEEv13rocblas_fill_17rocblas_diagonal_T1_iil: ; @_ZN9rocsolver6v33100L18trti2_kernel_smallILi9EdPdEEv13rocblas_fill_17rocblas_diagonal_T1_iil
; %bb.0:
	v_cmp_gt_u32_e32 vcc, 9, v0
	s_and_saveexec_b64 s[0:1], vcc
	s_cbranch_execz .LBB8_186
; %bb.1:
	s_load_dwordx8 s[16:23], s[4:5], 0x0
	s_ashr_i32 s2, s6, 31
	v_lshlrev_b32_e32 v22, 3, v0
	v_mov_b32_e32 v20, 0
	v_mov_b32_e32 v21, 0xbff00000
	s_waitcnt lgkmcnt(0)
	s_mul_hi_u32 s3, s22, s6
	s_mul_i32 s2, s22, s2
	s_add_i32 s2, s3, s2
	s_mul_i32 s3, s23, s6
	s_add_i32 s3, s2, s3
	s_mul_i32 s2, s22, s6
	s_ashr_i32 s1, s20, 31
	s_lshl_b64 s[2:3], s[2:3], 3
	s_mov_b32 s0, s20
	s_add_u32 s2, s18, s2
	s_addc_u32 s3, s19, s3
	s_lshl_b64 s[0:1], s[0:1], 3
	s_add_u32 s0, s2, s0
	s_addc_u32 s1, s3, s1
	s_add_i32 s2, s21, s21
	v_add_u32_e32 v1, s2, v0
	v_ashrrev_i32_e32 v2, 31, v1
	v_lshlrev_b64 v[2:3], 3, v[1:2]
	v_add_u32_e32 v1, s21, v1
	v_mov_b32_e32 v4, s1
	v_add_co_u32_e32 v52, vcc, s0, v2
	v_ashrrev_i32_e32 v2, 31, v1
	v_addc_co_u32_e32 v53, vcc, v4, v3, vcc
	v_lshlrev_b64 v[2:3], 3, v[1:2]
	v_add_u32_e32 v1, s21, v1
	v_add_co_u32_e32 v54, vcc, s0, v2
	v_ashrrev_i32_e32 v2, 31, v1
	v_addc_co_u32_e32 v55, vcc, v4, v3, vcc
	v_lshlrev_b64 v[2:3], 3, v[1:2]
	v_add_u32_e32 v1, s21, v1
	;; [unrolled: 5-line block ×5, first 2 shown]
	v_add_co_u32_e32 v62, vcc, s0, v2
	v_ashrrev_i32_e32 v2, 31, v1
	v_lshlrev_b64 v[1:2], 3, v[1:2]
	v_addc_co_u32_e32 v63, vcc, v4, v3, vcc
	v_mov_b32_e32 v3, s1
	v_add_co_u32_e32 v64, vcc, s0, v1
	v_addc_co_u32_e32 v65, vcc, v3, v2, vcc
	v_mov_b32_e32 v1, s1
	v_add_co_u32_e32 v66, vcc, s0, v22
	s_ashr_i32 s3, s21, 31
	s_mov_b32 s2, s21
	v_addc_co_u32_e32 v67, vcc, 0, v1, vcc
	s_lshl_b64 s[2:3], s[2:3], 3
	v_mov_b32_e32 v1, s3
	v_add_co_u32_e32 v68, vcc, s2, v66
	v_addc_co_u32_e32 v69, vcc, v67, v1, vcc
	global_load_dwordx2 v[2:3], v22, s[0:1]
	global_load_dwordx2 v[4:5], v[68:69], off
	global_load_dwordx2 v[6:7], v[52:53], off
	global_load_dwordx2 v[8:9], v[54:55], off
	global_load_dwordx2 v[10:11], v[56:57], off
	global_load_dwordx2 v[12:13], v[58:59], off
	global_load_dwordx2 v[14:15], v[60:61], off
	global_load_dwordx2 v[16:17], v[62:63], off
	global_load_dwordx2 v[18:19], v[64:65], off
	s_cmpk_lg_i32 s17, 0x84
	s_cselect_b64 s[18:19], -1, 0
	s_cmpk_eq_i32 s17, 0x84
	v_mov_b32_e32 v1, 0
	s_cbranch_scc1 .LBB8_3
; %bb.2:
	v_cmp_eq_u32_e64 s[0:1], 1, v0
	s_waitcnt vmcnt(7)
	v_cndmask_b32_e64 v20, v3, v5, s[0:1]
	v_cmp_eq_u32_e64 s[2:3], 2, v0
	s_waitcnt vmcnt(6)
	v_cndmask_b32_e64 v20, v20, v7, s[2:3]
	;; [unrolled: 3-line block ×8, first 2 shown]
	v_cndmask_b32_e64 v20, v2, v4, s[0:1]
	v_cndmask_b32_e64 v20, v20, v6, s[2:3]
	;; [unrolled: 1-line block ×8, first 2 shown]
	v_div_scale_f64 v[23:24], s[20:21], v[20:21], v[20:21], 1.0
	v_rcp_f64_e32 v[25:26], v[23:24]
	v_fma_f64 v[27:28], -v[23:24], v[25:26], 1.0
	v_fma_f64 v[25:26], v[25:26], v[27:28], v[25:26]
	v_div_scale_f64 v[27:28], vcc, 1.0, v[20:21], 1.0
	v_fma_f64 v[29:30], -v[23:24], v[25:26], 1.0
	v_fma_f64 v[25:26], v[25:26], v[29:30], v[25:26]
	v_mul_f64 v[29:30], v[27:28], v[25:26]
	v_fma_f64 v[23:24], -v[23:24], v[29:30], v[27:28]
	v_div_fmas_f64 v[23:24], v[23:24], v[25:26], v[29:30]
	v_cmp_eq_u32_e32 vcc, 0, v0
	v_div_fixup_f64 v[20:21], v[23:24], v[20:21], 1.0
	v_cndmask_b32_e64 v19, v19, v21, s[14:15]
	v_cndmask_b32_e64 v18, v18, v20, s[14:15]
	;; [unrolled: 1-line block ×16, first 2 shown]
	v_cndmask_b32_e32 v3, v3, v21, vcc
	v_cndmask_b32_e32 v2, v2, v20, vcc
	v_xor_b32_e32 v21, 0x80000000, v21
.LBB8_3:
	s_cmpk_eq_i32 s16, 0x79
	v_add_u32_e32 v72, 0x50, v22
	ds_write_b64 v22, v[20:21]
	s_cbranch_scc1 .LBB8_7
; %bb.4:
	s_waitcnt vmcnt(0)
	v_mov_b32_e32 v51, v33
	v_mov_b32_e32 v50, v32
	;; [unrolled: 1-line block ×32, first 2 shown]
	v_cmp_eq_u32_e64 s[2:3], 8, v0
	ds_write_b64 v72, v[16:17]
	s_waitcnt lgkmcnt(0)
	; wave barrier
	s_and_saveexec_b64 s[16:17], s[2:3]
	s_cbranch_execz .LBB8_11
; %bb.5:
	s_and_b64 vcc, exec, s[18:19]
	s_cbranch_vccz .LBB8_8
; %bb.6:
	v_cmp_eq_u32_e32 vcc, 1, v0
	v_cndmask_b32_e32 v20, v3, v5, vcc
	v_cmp_eq_u32_e64 s[0:1], 2, v0
	v_cndmask_b32_e64 v20, v20, v7, s[0:1]
	v_cmp_eq_u32_e64 s[4:5], 3, v0
	v_cndmask_b32_e64 v20, v20, v9, s[4:5]
	;; [unrolled: 2-line block ×7, first 2 shown]
	v_cndmask_b32_e32 v20, v2, v4, vcc
	v_cndmask_b32_e64 v20, v20, v6, s[0:1]
	v_cndmask_b32_e64 v20, v20, v8, s[4:5]
	v_cndmask_b32_e64 v20, v20, v10, s[6:7]
	ds_read_b64 v[22:23], v72
	v_cndmask_b32_e64 v20, v20, v12, s[8:9]
	v_cndmask_b32_e64 v20, v20, v14, s[10:11]
	;; [unrolled: 1-line block ×4, first 2 shown]
	s_waitcnt lgkmcnt(0)
	v_mul_f64 v[24:25], v[20:21], v[22:23]
	s_cbranch_execz .LBB8_9
	s_branch .LBB8_10
.LBB8_7:
                                        ; implicit-def: $vgpr20_vgpr21_vgpr22_vgpr23_vgpr24_vgpr25_vgpr26_vgpr27_vgpr28_vgpr29_vgpr30_vgpr31_vgpr32_vgpr33_vgpr34_vgpr35_vgpr36_vgpr37_vgpr38_vgpr39_vgpr40_vgpr41_vgpr42_vgpr43_vgpr44_vgpr45_vgpr46_vgpr47_vgpr48_vgpr49_vgpr50_vgpr51
	s_cbranch_execnz .LBB8_114
	s_branch .LBB8_185
.LBB8_8:
                                        ; implicit-def: $vgpr24_vgpr25
.LBB8_9:
	ds_read_b64 v[24:25], v72
.LBB8_10:
	v_mov_b32_e32 v20, 0
	ds_read_b64 v[26:27], v20 offset:56
	v_mov_b32_e32 v20, v2
	v_mov_b32_e32 v21, v3
	v_mov_b32_e32 v22, v4
	v_mov_b32_e32 v23, v5
	s_waitcnt lgkmcnt(0)
	v_mul_f64 v[34:35], v[24:25], v[26:27]
	v_mov_b32_e32 v24, v6
	v_mov_b32_e32 v25, v7
	;; [unrolled: 1-line block ×12, first 2 shown]
.LBB8_11:
	s_or_b64 exec, exec, s[16:17]
	v_cmp_lt_u32_e64 s[0:1], 6, v0
	ds_write_b64 v72, v[32:33]
	s_waitcnt lgkmcnt(0)
	; wave barrier
	s_and_saveexec_b64 s[20:21], s[0:1]
	s_cbranch_execz .LBB8_17
; %bb.12:
	s_andn2_b64 vcc, exec, s[18:19]
	s_cbranch_vccnz .LBB8_14
; %bb.13:
	v_cmp_eq_u32_e32 vcc, 1, v0
	v_cndmask_b32_e32 v38, v21, v23, vcc
	v_cmp_eq_u32_e64 s[4:5], 2, v0
	v_cndmask_b32_e64 v38, v38, v25, s[4:5]
	v_cmp_eq_u32_e64 s[6:7], 3, v0
	v_cndmask_b32_e64 v38, v38, v27, s[6:7]
	v_cmp_eq_u32_e64 s[8:9], 4, v0
	v_cndmask_b32_e64 v38, v38, v29, s[8:9]
	v_cmp_eq_u32_e64 s[10:11], 5, v0
	v_cndmask_b32_e64 v38, v38, v31, s[10:11]
	v_cmp_eq_u32_e64 s[12:13], 6, v0
	v_cndmask_b32_e64 v33, v38, v33, s[12:13]
	v_cndmask_b32_e32 v38, v20, v22, vcc
	v_cndmask_b32_e64 v38, v38, v24, s[4:5]
	v_cndmask_b32_e64 v38, v38, v26, s[6:7]
	v_cndmask_b32_e64 v40, v38, v28, s[8:9]
	ds_read_b64 v[38:39], v72
	v_cndmask_b32_e64 v40, v40, v30, s[10:11]
	v_cmp_eq_u32_e64 s[14:15], 7, v0
	v_cndmask_b32_e64 v32, v40, v32, s[12:13]
	v_cndmask_b32_e64 v33, v33, v35, s[14:15]
	v_cmp_eq_u32_e64 s[16:17], 8, v0
	v_cndmask_b32_e64 v32, v32, v34, s[14:15]
	v_cndmask_b32_e64 v33, v33, v37, s[16:17]
	;; [unrolled: 1-line block ×3, first 2 shown]
	s_waitcnt lgkmcnt(0)
	v_mul_f64 v[32:33], v[32:33], v[38:39]
	s_cbranch_execz .LBB8_15
	s_branch .LBB8_16
.LBB8_14:
                                        ; implicit-def: $vgpr32_vgpr33
.LBB8_15:
	ds_read_b64 v[32:33], v72
.LBB8_16:
	v_mov_b32_e32 v38, 0
	ds_read2_b64 v[38:41], v38 offset0:6 offset1:17
	s_waitcnt lgkmcnt(0)
	v_fma_f64 v[40:41], v[34:35], v[40:41], v[32:33]
	v_cndmask_b32_e64 v33, v33, v41, s[2:3]
	v_cndmask_b32_e64 v32, v32, v40, s[2:3]
	v_mul_f64 v[32:33], v[32:33], v[38:39]
.LBB8_17:
	s_or_b64 exec, exec, s[20:21]
	v_cmp_lt_u32_e64 s[2:3], 5, v0
	ds_write_b64 v72, v[30:31]
	s_waitcnt lgkmcnt(0)
	; wave barrier
	s_and_saveexec_b64 s[20:21], s[2:3]
	s_cbranch_execz .LBB8_33
; %bb.18:
	s_andn2_b64 vcc, exec, s[18:19]
	s_cbranch_vccnz .LBB8_20
; %bb.19:
	v_cmp_eq_u32_e32 vcc, 1, v0
	v_cndmask_b32_e32 v70, v21, v23, vcc
	v_cmp_eq_u32_e64 s[4:5], 2, v0
	v_cndmask_b32_e64 v70, v70, v25, s[4:5]
	v_cmp_eq_u32_e64 s[6:7], 3, v0
	v_cndmask_b32_e64 v70, v70, v27, s[6:7]
	;; [unrolled: 2-line block ×7, first 2 shown]
	v_cndmask_b32_e32 v70, v20, v22, vcc
	v_cndmask_b32_e64 v70, v70, v24, s[4:5]
	v_cndmask_b32_e64 v70, v70, v26, s[6:7]
	;; [unrolled: 1-line block ×3, first 2 shown]
	ds_read_b64 v[73:74], v72
	v_cndmask_b32_e64 v70, v70, v30, s[10:11]
	v_cndmask_b32_e64 v70, v70, v32, s[12:13]
	v_cndmask_b32_e64 v70, v70, v34, s[14:15]
	v_cndmask_b32_e64 v70, v70, v36, s[16:17]
	s_waitcnt lgkmcnt(0)
	v_mul_f64 v[70:71], v[70:71], v[73:74]
	s_cbranch_execz .LBB8_21
	s_branch .LBB8_22
.LBB8_20:
                                        ; implicit-def: $vgpr70_vgpr71
.LBB8_21:
	ds_read_b64 v[70:71], v72
.LBB8_22:
	s_and_saveexec_b64 s[4:5], s[0:1]
	s_cbranch_execz .LBB8_32
; %bb.23:
	v_add_u32_e32 v75, -7, v0
	v_add_u32_e32 v73, -6, v0
	v_mov_b32_e32 v74, 6
	v_cmp_lt_u32_e32 vcc, 6, v75
	s_and_saveexec_b64 s[0:1], vcc
	s_cbranch_execz .LBB8_27
; %bb.24:
	v_and_b32_e32 v74, -8, v73
	v_sub_u32_e32 v75, 0, v74
	s_mov_b64 s[6:7], 13
	s_movk_i32 s10, 0x80
	s_mov_b64 s[8:9], 0
.LBB8_25:                               ; =>This Inner Loop Header: Depth=1
	s_lshl_b32 s11, s6, 1
	s_add_i32 s12, s11, -13
	v_mov_b32_e32 v74, s10
	s_add_i32 s13, s11, -14
	s_set_gpr_idx_on s12, gpr_idx(SRC0)
	v_mov_b32_e32 v85, v20
	s_set_gpr_idx_off
	s_set_gpr_idx_on s13, gpr_idx(SRC0)
	v_mov_b32_e32 v84, v20
	s_set_gpr_idx_off
	ds_read_b128 v[76:79], v74
	ds_read_b128 v[80:83], v74 offset:16
	s_add_i32 s12, s11, -11
	s_add_i32 s13, s11, -12
	s_waitcnt lgkmcnt(1)
	v_fma_f64 v[70:71], v[84:85], v[76:77], v[70:71]
	ds_read_b128 v[84:87], v74 offset:32
	ds_read_b128 v[88:91], v74 offset:48
	s_set_gpr_idx_on s12, gpr_idx(SRC0)
	v_mov_b32_e32 v77, v20
	s_set_gpr_idx_off
	s_set_gpr_idx_on s13, gpr_idx(SRC0)
	v_mov_b32_e32 v76, v20
	s_set_gpr_idx_off
	s_add_i32 s12, s11, -9
	s_add_i32 s13, s11, -10
	v_fma_f64 v[70:71], v[76:77], v[78:79], v[70:71]
	s_set_gpr_idx_on s12, gpr_idx(SRC0)
	v_mov_b32_e32 v77, v20
	s_set_gpr_idx_off
	s_set_gpr_idx_on s13, gpr_idx(SRC0)
	v_mov_b32_e32 v76, v20
	s_set_gpr_idx_off
	s_add_i32 s12, s11, -7
	s_add_i32 s13, s11, -8
	s_waitcnt lgkmcnt(2)
	v_fma_f64 v[70:71], v[76:77], v[80:81], v[70:71]
	s_set_gpr_idx_on s12, gpr_idx(SRC0)
	v_mov_b32_e32 v77, v20
	s_set_gpr_idx_off
	s_set_gpr_idx_on s13, gpr_idx(SRC0)
	v_mov_b32_e32 v76, v20
	s_set_gpr_idx_off
	s_add_i32 s12, s11, -5
	s_add_i32 s13, s11, -6
	v_fma_f64 v[70:71], v[76:77], v[82:83], v[70:71]
	s_set_gpr_idx_on s12, gpr_idx(SRC0)
	v_mov_b32_e32 v77, v20
	s_set_gpr_idx_off
	s_set_gpr_idx_on s13, gpr_idx(SRC0)
	v_mov_b32_e32 v76, v20
	s_set_gpr_idx_off
	s_add_i32 s12, s11, -3
	s_add_i32 s13, s11, -4
	s_waitcnt lgkmcnt(1)
	v_fma_f64 v[70:71], v[76:77], v[84:85], v[70:71]
	s_set_gpr_idx_on s12, gpr_idx(SRC0)
	v_mov_b32_e32 v77, v20
	s_set_gpr_idx_off
	s_set_gpr_idx_on s13, gpr_idx(SRC0)
	v_mov_b32_e32 v76, v20
	s_set_gpr_idx_off
	s_add_i32 s12, s11, -1
	s_add_i32 s13, s11, -2
	s_add_u32 s6, s6, 8
	v_add_u32_e32 v74, s6, v75
	s_addc_u32 s7, s7, 0
	v_fma_f64 v[70:71], v[76:77], v[86:87], v[70:71]
	s_set_gpr_idx_on s12, gpr_idx(SRC0)
	v_mov_b32_e32 v77, v20
	s_set_gpr_idx_off
	s_set_gpr_idx_on s13, gpr_idx(SRC0)
	v_mov_b32_e32 v76, v20
	s_set_gpr_idx_off
	s_add_i32 s10, s10, 64
	v_cmp_eq_u32_e32 vcc, 13, v74
	s_waitcnt lgkmcnt(0)
	v_fma_f64 v[70:71], v[76:77], v[88:89], v[70:71]
	s_set_gpr_idx_on s11, gpr_idx(SRC0)
	v_mov_b32_e32 v77, v21
	v_mov_b32_e32 v76, v20
	s_set_gpr_idx_off
	s_add_i32 s11, s6, -7
	s_or_b64 s[8:9], vcc, s[8:9]
	v_mov_b32_e32 v74, s11
	v_fma_f64 v[70:71], v[76:77], v[90:91], v[70:71]
	s_andn2_b64 exec, exec, s[8:9]
	s_cbranch_execnz .LBB8_25
; %bb.26:
	s_or_b64 exec, exec, s[8:9]
.LBB8_27:
	s_or_b64 exec, exec, s[0:1]
	v_and_b32_e32 v38, 7, v73
	v_cmp_ne_u32_e32 vcc, 0, v38
	s_and_saveexec_b64 s[6:7], vcc
	s_cbranch_execz .LBB8_31
; %bb.28:
	v_mov_b32_e32 v39, 0x50
	v_lshl_add_u32 v39, v74, 3, v39
	v_mov_b32_e32 v40, 0
	s_mov_b64 s[8:9], 0
.LBB8_29:                               ; =>This Inner Loop Header: Depth=1
	v_cmp_eq_u32_e32 vcc, 1, v74
	v_cndmask_b32_e32 v43, v21, v23, vcc
	v_cmp_eq_u32_e64 s[0:1], 2, v74
	v_cndmask_b32_e64 v43, v43, v25, s[0:1]
	v_cndmask_b32_e32 v44, v20, v22, vcc
	v_cmp_eq_u32_e32 vcc, 3, v74
	v_cndmask_b32_e32 v43, v43, v27, vcc
	v_cndmask_b32_e64 v44, v44, v24, s[0:1]
	v_cmp_eq_u32_e64 s[0:1], 4, v74
	v_cndmask_b32_e64 v43, v43, v29, s[0:1]
	v_cndmask_b32_e32 v44, v44, v26, vcc
	v_cmp_eq_u32_e32 vcc, 5, v74
	ds_read_b64 v[41:42], v39
	v_cndmask_b32_e32 v43, v43, v31, vcc
	v_cndmask_b32_e64 v44, v44, v28, s[0:1]
	v_cmp_eq_u32_e64 s[0:1], 6, v74
	v_cndmask_b32_e64 v43, v43, v33, s[0:1]
	v_cndmask_b32_e32 v44, v44, v30, vcc
	v_cmp_eq_u32_e32 vcc, 7, v74
	v_cndmask_b32_e32 v43, v43, v35, vcc
	v_cndmask_b32_e64 v45, v44, v32, s[0:1]
	v_cmp_eq_u32_e64 s[0:1], 8, v74
	v_cndmask_b32_e64 v44, v43, v37, s[0:1]
	v_cndmask_b32_e32 v43, v45, v34, vcc
	v_cndmask_b32_e64 v43, v43, v36, s[0:1]
	s_waitcnt lgkmcnt(0)
	v_fma_f64 v[70:71], v[43:44], v[41:42], v[70:71]
	v_add_u32_e32 v38, -1, v38
	v_cmp_eq_u32_e32 vcc, 0, v38
	s_or_b64 s[8:9], vcc, s[8:9]
	v_add_co_u32_e32 v74, vcc, 1, v74
	v_add_u32_e32 v39, 8, v39
	v_addc_co_u32_e32 v40, vcc, 0, v40, vcc
	s_andn2_b64 exec, exec, s[8:9]
	s_cbranch_execnz .LBB8_29
; %bb.30:
	s_or_b64 exec, exec, s[8:9]
.LBB8_31:
	s_or_b64 exec, exec, s[6:7]
.LBB8_32:
	s_or_b64 exec, exec, s[4:5]
	v_mov_b32_e32 v30, 0
	ds_read_b64 v[30:31], v30 offset:40
	s_waitcnt lgkmcnt(0)
	v_mul_f64 v[30:31], v[70:71], v[30:31]
.LBB8_33:
	s_or_b64 exec, exec, s[20:21]
	v_cmp_lt_u32_e64 s[0:1], 4, v0
	ds_write_b64 v72, v[28:29]
	s_waitcnt lgkmcnt(0)
	; wave barrier
	s_and_saveexec_b64 s[20:21], s[0:1]
	s_cbranch_execz .LBB8_49
; %bb.34:
	s_andn2_b64 vcc, exec, s[18:19]
	s_cbranch_vccnz .LBB8_36
; %bb.35:
	v_cmp_eq_u32_e32 vcc, 1, v0
	v_cndmask_b32_e32 v70, v21, v23, vcc
	v_cmp_eq_u32_e64 s[4:5], 2, v0
	v_cndmask_b32_e64 v70, v70, v25, s[4:5]
	v_cmp_eq_u32_e64 s[6:7], 3, v0
	v_cndmask_b32_e64 v70, v70, v27, s[6:7]
	;; [unrolled: 2-line block ×7, first 2 shown]
	v_cndmask_b32_e32 v70, v20, v22, vcc
	v_cndmask_b32_e64 v70, v70, v24, s[4:5]
	v_cndmask_b32_e64 v70, v70, v26, s[6:7]
	;; [unrolled: 1-line block ×3, first 2 shown]
	ds_read_b64 v[73:74], v72
	v_cndmask_b32_e64 v70, v70, v30, s[10:11]
	v_cndmask_b32_e64 v70, v70, v32, s[12:13]
	;; [unrolled: 1-line block ×4, first 2 shown]
	s_waitcnt lgkmcnt(0)
	v_mul_f64 v[70:71], v[70:71], v[73:74]
	s_cbranch_execz .LBB8_37
	s_branch .LBB8_38
.LBB8_36:
                                        ; implicit-def: $vgpr70_vgpr71
.LBB8_37:
	ds_read_b64 v[70:71], v72
.LBB8_38:
	s_and_saveexec_b64 s[4:5], s[2:3]
	s_cbranch_execz .LBB8_48
; %bb.39:
	v_add_u32_e32 v74, -6, v0
	v_add_u32_e32 v73, -5, v0
	v_cmp_lt_u32_e32 vcc, 6, v74
	v_mov_b32_e32 v75, 5
	s_and_saveexec_b64 s[2:3], vcc
	s_cbranch_execz .LBB8_43
; %bb.40:
	v_and_b32_e32 v74, -8, v73
	v_sub_u32_e32 v74, 0, v74
	s_mov_b64 s[6:7], 12
	s_movk_i32 s10, 0x78
	s_mov_b64 s[8:9], 0
.LBB8_41:                               ; =>This Inner Loop Header: Depth=1
	s_lshl_b32 s11, s6, 1
	s_add_i32 s12, s11, -13
	v_mov_b32_e32 v81, s10
	s_add_i32 s13, s11, -14
	s_set_gpr_idx_on s12, gpr_idx(SRC0)
	v_mov_b32_e32 v80, v20
	s_set_gpr_idx_off
	s_set_gpr_idx_on s13, gpr_idx(SRC0)
	v_mov_b32_e32 v79, v20
	s_set_gpr_idx_off
	ds_read2_b64 v[75:78], v81 offset1:1
	s_add_i32 s12, s11, -11
	s_add_i32 s13, s11, -12
	;; [unrolled: 1-line block ×4, first 2 shown]
	s_waitcnt lgkmcnt(0)
	v_fma_f64 v[70:71], v[79:80], v[75:76], v[70:71]
	s_set_gpr_idx_on s12, gpr_idx(SRC0)
	v_mov_b32_e32 v76, v20
	s_set_gpr_idx_off
	s_set_gpr_idx_on s13, gpr_idx(SRC0)
	v_mov_b32_e32 v75, v20
	s_set_gpr_idx_off
	s_add_i32 s12, s11, -7
	s_add_i32 s13, s11, -8
	v_fma_f64 v[70:71], v[75:76], v[77:78], v[70:71]
	s_set_gpr_idx_on s14, gpr_idx(SRC0)
	v_mov_b32_e32 v80, v20
	s_set_gpr_idx_off
	s_set_gpr_idx_on s15, gpr_idx(SRC0)
	v_mov_b32_e32 v79, v20
	s_set_gpr_idx_off
	ds_read2_b64 v[75:78], v81 offset0:2 offset1:3
	s_add_i32 s14, s11, -5
	s_add_i32 s15, s11, -6
	s_waitcnt lgkmcnt(0)
	v_fma_f64 v[70:71], v[79:80], v[75:76], v[70:71]
	s_set_gpr_idx_on s12, gpr_idx(SRC0)
	v_mov_b32_e32 v76, v20
	s_set_gpr_idx_off
	s_set_gpr_idx_on s13, gpr_idx(SRC0)
	v_mov_b32_e32 v75, v20
	s_set_gpr_idx_off
	s_add_i32 s12, s11, -3
	s_add_i32 s13, s11, -4
	v_fma_f64 v[70:71], v[75:76], v[77:78], v[70:71]
	s_set_gpr_idx_on s14, gpr_idx(SRC0)
	v_mov_b32_e32 v80, v20
	s_set_gpr_idx_off
	s_set_gpr_idx_on s15, gpr_idx(SRC0)
	v_mov_b32_e32 v79, v20
	s_set_gpr_idx_off
	ds_read2_b64 v[75:78], v81 offset0:4 offset1:5
	s_add_i32 s14, s11, -1
	s_add_i32 s15, s11, -2
	s_add_u32 s6, s6, 8
	s_addc_u32 s7, s7, 0
	s_waitcnt lgkmcnt(0)
	v_fma_f64 v[70:71], v[79:80], v[75:76], v[70:71]
	s_set_gpr_idx_on s12, gpr_idx(SRC0)
	v_mov_b32_e32 v76, v20
	s_set_gpr_idx_off
	s_set_gpr_idx_on s13, gpr_idx(SRC0)
	v_mov_b32_e32 v75, v20
	s_set_gpr_idx_off
	s_add_i32 s10, s10, 64
	v_fma_f64 v[70:71], v[75:76], v[77:78], v[70:71]
	s_set_gpr_idx_on s14, gpr_idx(SRC0)
	v_mov_b32_e32 v80, v20
	s_set_gpr_idx_off
	s_set_gpr_idx_on s15, gpr_idx(SRC0)
	v_mov_b32_e32 v79, v20
	s_set_gpr_idx_off
	ds_read2_b64 v[75:78], v81 offset0:6 offset1:7
	s_waitcnt lgkmcnt(0)
	v_fma_f64 v[70:71], v[79:80], v[75:76], v[70:71]
	s_set_gpr_idx_on s11, gpr_idx(SRC0)
	v_mov_b32_e32 v76, v21
	v_mov_b32_e32 v75, v20
	s_set_gpr_idx_off
	s_add_i32 s11, s6, -7
	v_fma_f64 v[70:71], v[75:76], v[77:78], v[70:71]
	v_add_u32_e32 v75, s6, v74
	v_cmp_eq_u32_e32 vcc, 12, v75
	s_or_b64 s[8:9], vcc, s[8:9]
	v_mov_b32_e32 v75, s11
	s_andn2_b64 exec, exec, s[8:9]
	s_cbranch_execnz .LBB8_41
; %bb.42:
	s_or_b64 exec, exec, s[8:9]
.LBB8_43:
	s_or_b64 exec, exec, s[2:3]
	v_and_b32_e32 v38, 7, v73
	v_cmp_ne_u32_e32 vcc, 0, v38
	s_and_saveexec_b64 s[6:7], vcc
	s_cbranch_execz .LBB8_47
; %bb.44:
	v_mov_b32_e32 v39, 0x50
	v_lshl_add_u32 v39, v75, 3, v39
	v_mov_b32_e32 v40, 0
	s_mov_b64 s[8:9], 0
.LBB8_45:                               ; =>This Inner Loop Header: Depth=1
	v_cmp_eq_u32_e32 vcc, 1, v75
	v_cndmask_b32_e32 v43, v21, v23, vcc
	v_cmp_eq_u32_e64 s[2:3], 2, v75
	v_cndmask_b32_e64 v43, v43, v25, s[2:3]
	v_cndmask_b32_e32 v44, v20, v22, vcc
	v_cmp_eq_u32_e32 vcc, 3, v75
	v_cndmask_b32_e32 v43, v43, v27, vcc
	v_cndmask_b32_e64 v44, v44, v24, s[2:3]
	v_cmp_eq_u32_e64 s[2:3], 4, v75
	v_cndmask_b32_e64 v43, v43, v29, s[2:3]
	v_cndmask_b32_e32 v44, v44, v26, vcc
	v_cmp_eq_u32_e32 vcc, 5, v75
	ds_read_b64 v[41:42], v39
	v_cndmask_b32_e32 v43, v43, v31, vcc
	v_cndmask_b32_e64 v44, v44, v28, s[2:3]
	v_cmp_eq_u32_e64 s[2:3], 6, v75
	v_cndmask_b32_e64 v43, v43, v33, s[2:3]
	v_cndmask_b32_e32 v44, v44, v30, vcc
	v_cmp_eq_u32_e32 vcc, 7, v75
	v_cndmask_b32_e32 v43, v43, v35, vcc
	v_cndmask_b32_e64 v45, v44, v32, s[2:3]
	v_cmp_eq_u32_e64 s[2:3], 8, v75
	v_cndmask_b32_e64 v44, v43, v37, s[2:3]
	v_cndmask_b32_e32 v43, v45, v34, vcc
	v_cndmask_b32_e64 v43, v43, v36, s[2:3]
	s_waitcnt lgkmcnt(0)
	v_fma_f64 v[70:71], v[43:44], v[41:42], v[70:71]
	v_add_u32_e32 v38, -1, v38
	v_cmp_eq_u32_e32 vcc, 0, v38
	s_or_b64 s[8:9], vcc, s[8:9]
	v_add_co_u32_e32 v75, vcc, 1, v75
	v_add_u32_e32 v39, 8, v39
	v_addc_co_u32_e32 v40, vcc, 0, v40, vcc
	s_andn2_b64 exec, exec, s[8:9]
	s_cbranch_execnz .LBB8_45
; %bb.46:
	s_or_b64 exec, exec, s[8:9]
.LBB8_47:
	s_or_b64 exec, exec, s[6:7]
.LBB8_48:
	s_or_b64 exec, exec, s[4:5]
	v_mov_b32_e32 v28, 0
	ds_read_b64 v[28:29], v28 offset:32
	s_waitcnt lgkmcnt(0)
	v_mul_f64 v[28:29], v[70:71], v[28:29]
.LBB8_49:
	s_or_b64 exec, exec, s[20:21]
	v_cmp_lt_u32_e64 s[2:3], 3, v0
	ds_write_b64 v72, v[26:27]
	s_waitcnt lgkmcnt(0)
	; wave barrier
	s_and_saveexec_b64 s[20:21], s[2:3]
	s_cbranch_execz .LBB8_65
; %bb.50:
	s_andn2_b64 vcc, exec, s[18:19]
	s_cbranch_vccnz .LBB8_52
; %bb.51:
	v_cmp_eq_u32_e32 vcc, 1, v0
	v_cndmask_b32_e32 v70, v21, v23, vcc
	v_cmp_eq_u32_e64 s[4:5], 2, v0
	v_cndmask_b32_e64 v70, v70, v25, s[4:5]
	v_cmp_eq_u32_e64 s[6:7], 3, v0
	v_cndmask_b32_e64 v70, v70, v27, s[6:7]
	v_cmp_eq_u32_e64 s[8:9], 4, v0
	v_cndmask_b32_e64 v70, v70, v29, s[8:9]
	v_cmp_eq_u32_e64 s[10:11], 5, v0
	v_cndmask_b32_e64 v70, v70, v31, s[10:11]
	v_cmp_eq_u32_e64 s[12:13], 6, v0
	v_cndmask_b32_e64 v70, v70, v33, s[12:13]
	v_cmp_eq_u32_e64 s[14:15], 7, v0
	v_cndmask_b32_e64 v70, v70, v35, s[14:15]
	v_cmp_eq_u32_e64 s[16:17], 8, v0
	v_cndmask_b32_e64 v71, v70, v37, s[16:17]
	v_cndmask_b32_e32 v70, v20, v22, vcc
	v_cndmask_b32_e64 v70, v70, v24, s[4:5]
	v_cndmask_b32_e64 v70, v70, v26, s[6:7]
	;; [unrolled: 1-line block ×3, first 2 shown]
	ds_read_b64 v[73:74], v72
	v_cndmask_b32_e64 v70, v70, v30, s[10:11]
	v_cndmask_b32_e64 v70, v70, v32, s[12:13]
	;; [unrolled: 1-line block ×4, first 2 shown]
	s_waitcnt lgkmcnt(0)
	v_mul_f64 v[70:71], v[70:71], v[73:74]
	s_cbranch_execz .LBB8_53
	s_branch .LBB8_54
.LBB8_52:
                                        ; implicit-def: $vgpr70_vgpr71
.LBB8_53:
	ds_read_b64 v[70:71], v72
.LBB8_54:
	s_and_saveexec_b64 s[4:5], s[0:1]
	s_cbranch_execz .LBB8_64
; %bb.55:
	v_add_u32_e32 v74, -5, v0
	v_add_u32_e32 v73, -4, v0
	v_cmp_lt_u32_e32 vcc, 6, v74
	v_mov_b32_e32 v74, 4
	s_and_saveexec_b64 s[0:1], vcc
	s_cbranch_execz .LBB8_59
; %bb.56:
	v_and_b32_e32 v74, -8, v73
	v_sub_u32_e32 v75, 0, v74
	s_mov_b64 s[6:7], 5
	s_movk_i32 s10, 0x70
	s_mov_b64 s[8:9], 0
.LBB8_57:                               ; =>This Inner Loop Header: Depth=1
	s_lshl_b32 s11, s6, 1
	s_add_i32 s12, s11, -1
	v_mov_b32_e32 v74, s10
	s_add_i32 s13, s11, -2
	s_set_gpr_idx_on s12, gpr_idx(SRC0)
	v_mov_b32_e32 v85, v20
	s_set_gpr_idx_off
	s_set_gpr_idx_on s13, gpr_idx(SRC0)
	v_mov_b32_e32 v84, v20
	s_set_gpr_idx_off
	ds_read_b128 v[76:79], v74
	ds_read_b128 v[80:83], v74 offset:16
	s_add_i32 s12, s11, 3
	s_add_i32 s13, s11, 2
	s_waitcnt lgkmcnt(1)
	v_fma_f64 v[70:71], v[84:85], v[76:77], v[70:71]
	ds_read_b128 v[84:87], v74 offset:32
	ds_read_b128 v[88:91], v74 offset:48
	s_set_gpr_idx_on s11, gpr_idx(SRC0)
	v_mov_b32_e32 v77, v21
	v_mov_b32_e32 v76, v20
	s_set_gpr_idx_off
	v_fma_f64 v[70:71], v[76:77], v[78:79], v[70:71]
	s_set_gpr_idx_on s12, gpr_idx(SRC0)
	v_mov_b32_e32 v77, v20
	s_set_gpr_idx_off
	s_set_gpr_idx_on s13, gpr_idx(SRC0)
	v_mov_b32_e32 v76, v20
	s_set_gpr_idx_off
	s_add_i32 s12, s11, 5
	s_add_i32 s13, s11, 4
	s_waitcnt lgkmcnt(2)
	v_fma_f64 v[70:71], v[76:77], v[80:81], v[70:71]
	s_set_gpr_idx_on s12, gpr_idx(SRC0)
	v_mov_b32_e32 v77, v20
	s_set_gpr_idx_off
	s_set_gpr_idx_on s13, gpr_idx(SRC0)
	v_mov_b32_e32 v76, v20
	s_set_gpr_idx_off
	s_add_i32 s12, s11, 7
	s_add_i32 s13, s11, 6
	v_fma_f64 v[70:71], v[76:77], v[82:83], v[70:71]
	s_set_gpr_idx_on s12, gpr_idx(SRC0)
	v_mov_b32_e32 v77, v20
	s_set_gpr_idx_off
	s_set_gpr_idx_on s13, gpr_idx(SRC0)
	v_mov_b32_e32 v76, v20
	s_set_gpr_idx_off
	s_add_i32 s12, s11, 9
	s_add_i32 s13, s11, 8
	s_waitcnt lgkmcnt(1)
	v_fma_f64 v[70:71], v[76:77], v[84:85], v[70:71]
	s_set_gpr_idx_on s12, gpr_idx(SRC0)
	v_mov_b32_e32 v77, v20
	s_set_gpr_idx_off
	s_set_gpr_idx_on s13, gpr_idx(SRC0)
	v_mov_b32_e32 v76, v20
	s_set_gpr_idx_off
	s_add_i32 s12, s11, 11
	s_add_i32 s13, s11, 10
	v_fma_f64 v[70:71], v[76:77], v[86:87], v[70:71]
	s_set_gpr_idx_on s12, gpr_idx(SRC0)
	v_mov_b32_e32 v77, v20
	s_set_gpr_idx_off
	s_set_gpr_idx_on s13, gpr_idx(SRC0)
	v_mov_b32_e32 v76, v20
	s_set_gpr_idx_off
	s_add_i32 s12, s11, 13
	s_add_i32 s11, s11, 12
	s_add_u32 s6, s6, 8
	v_add_u32_e32 v74, s6, v75
	s_addc_u32 s7, s7, 0
	s_waitcnt lgkmcnt(0)
	v_fma_f64 v[70:71], v[76:77], v[88:89], v[70:71]
	s_set_gpr_idx_on s12, gpr_idx(SRC0)
	v_mov_b32_e32 v77, v20
	s_set_gpr_idx_off
	s_set_gpr_idx_on s11, gpr_idx(SRC0)
	v_mov_b32_e32 v76, v20
	s_set_gpr_idx_off
	s_add_i32 s10, s10, 64
	s_add_i32 s11, s6, -1
	v_cmp_eq_u32_e32 vcc, 5, v74
	s_or_b64 s[8:9], vcc, s[8:9]
	v_mov_b32_e32 v74, s11
	v_fma_f64 v[70:71], v[76:77], v[90:91], v[70:71]
	s_andn2_b64 exec, exec, s[8:9]
	s_cbranch_execnz .LBB8_57
; %bb.58:
	s_or_b64 exec, exec, s[8:9]
.LBB8_59:
	s_or_b64 exec, exec, s[0:1]
	v_and_b32_e32 v38, 7, v73
	v_cmp_ne_u32_e32 vcc, 0, v38
	s_and_saveexec_b64 s[6:7], vcc
	s_cbranch_execz .LBB8_63
; %bb.60:
	v_mov_b32_e32 v39, 0x50
	v_lshl_add_u32 v39, v74, 3, v39
	v_mov_b32_e32 v40, 0
	s_mov_b64 s[8:9], 0
.LBB8_61:                               ; =>This Inner Loop Header: Depth=1
	v_cmp_eq_u32_e32 vcc, 1, v74
	v_cndmask_b32_e32 v43, v21, v23, vcc
	v_cmp_eq_u32_e64 s[0:1], 2, v74
	v_cndmask_b32_e64 v43, v43, v25, s[0:1]
	v_cndmask_b32_e32 v44, v20, v22, vcc
	v_cmp_eq_u32_e32 vcc, 3, v74
	v_cndmask_b32_e32 v43, v43, v27, vcc
	v_cndmask_b32_e64 v44, v44, v24, s[0:1]
	v_cmp_eq_u32_e64 s[0:1], 4, v74
	v_cndmask_b32_e64 v43, v43, v29, s[0:1]
	v_cndmask_b32_e32 v44, v44, v26, vcc
	v_cmp_eq_u32_e32 vcc, 5, v74
	ds_read_b64 v[41:42], v39
	v_cndmask_b32_e32 v43, v43, v31, vcc
	v_cndmask_b32_e64 v44, v44, v28, s[0:1]
	v_cmp_eq_u32_e64 s[0:1], 6, v74
	v_cndmask_b32_e64 v43, v43, v33, s[0:1]
	v_cndmask_b32_e32 v44, v44, v30, vcc
	v_cmp_eq_u32_e32 vcc, 7, v74
	v_cndmask_b32_e32 v43, v43, v35, vcc
	v_cndmask_b32_e64 v45, v44, v32, s[0:1]
	v_cmp_eq_u32_e64 s[0:1], 8, v74
	v_cndmask_b32_e64 v44, v43, v37, s[0:1]
	v_cndmask_b32_e32 v43, v45, v34, vcc
	v_cndmask_b32_e64 v43, v43, v36, s[0:1]
	s_waitcnt lgkmcnt(0)
	v_fma_f64 v[70:71], v[43:44], v[41:42], v[70:71]
	v_add_u32_e32 v38, -1, v38
	v_cmp_eq_u32_e32 vcc, 0, v38
	s_or_b64 s[8:9], vcc, s[8:9]
	v_add_co_u32_e32 v74, vcc, 1, v74
	v_add_u32_e32 v39, 8, v39
	v_addc_co_u32_e32 v40, vcc, 0, v40, vcc
	s_andn2_b64 exec, exec, s[8:9]
	s_cbranch_execnz .LBB8_61
; %bb.62:
	s_or_b64 exec, exec, s[8:9]
.LBB8_63:
	s_or_b64 exec, exec, s[6:7]
.LBB8_64:
	s_or_b64 exec, exec, s[4:5]
	v_mov_b32_e32 v26, 0
	ds_read_b64 v[26:27], v26 offset:24
	s_waitcnt lgkmcnt(0)
	v_mul_f64 v[26:27], v[70:71], v[26:27]
.LBB8_65:
	s_or_b64 exec, exec, s[20:21]
	v_cmp_lt_u32_e64 s[0:1], 2, v0
	ds_write_b64 v72, v[24:25]
	s_waitcnt lgkmcnt(0)
	; wave barrier
	s_and_saveexec_b64 s[20:21], s[0:1]
	s_cbranch_execz .LBB8_81
; %bb.66:
	s_andn2_b64 vcc, exec, s[18:19]
	s_cbranch_vccnz .LBB8_68
; %bb.67:
	v_cmp_eq_u32_e32 vcc, 1, v0
	v_cndmask_b32_e32 v70, v21, v23, vcc
	v_cmp_eq_u32_e64 s[4:5], 2, v0
	v_cndmask_b32_e64 v70, v70, v25, s[4:5]
	v_cmp_eq_u32_e64 s[6:7], 3, v0
	v_cndmask_b32_e64 v70, v70, v27, s[6:7]
	;; [unrolled: 2-line block ×7, first 2 shown]
	v_cndmask_b32_e32 v70, v20, v22, vcc
	v_cndmask_b32_e64 v70, v70, v24, s[4:5]
	v_cndmask_b32_e64 v70, v70, v26, s[6:7]
	;; [unrolled: 1-line block ×3, first 2 shown]
	ds_read_b64 v[73:74], v72
	v_cndmask_b32_e64 v70, v70, v30, s[10:11]
	v_cndmask_b32_e64 v70, v70, v32, s[12:13]
	;; [unrolled: 1-line block ×4, first 2 shown]
	s_waitcnt lgkmcnt(0)
	v_mul_f64 v[70:71], v[70:71], v[73:74]
	s_cbranch_execz .LBB8_69
	s_branch .LBB8_70
.LBB8_68:
                                        ; implicit-def: $vgpr70_vgpr71
.LBB8_69:
	ds_read_b64 v[70:71], v72
.LBB8_70:
	s_and_saveexec_b64 s[4:5], s[2:3]
	s_cbranch_execz .LBB8_80
; %bb.71:
	v_add_u32_e32 v74, -4, v0
	v_add_u32_e32 v73, -3, v0
	v_cmp_lt_u32_e32 vcc, 6, v74
	v_mov_b32_e32 v75, 3
	s_and_saveexec_b64 s[2:3], vcc
	s_cbranch_execz .LBB8_75
; %bb.72:
	v_and_b32_e32 v74, -8, v73
	v_sub_u32_e32 v74, 0, v74
	s_mov_b64 s[6:7], 10
	s_movk_i32 s10, 0x68
	s_mov_b64 s[8:9], 0
.LBB8_73:                               ; =>This Inner Loop Header: Depth=1
	s_lshl_b32 s11, s6, 1
	s_add_i32 s12, s11, -13
	v_mov_b32_e32 v81, s10
	s_add_i32 s13, s11, -14
	s_set_gpr_idx_on s12, gpr_idx(SRC0)
	v_mov_b32_e32 v80, v20
	s_set_gpr_idx_off
	s_set_gpr_idx_on s13, gpr_idx(SRC0)
	v_mov_b32_e32 v79, v20
	s_set_gpr_idx_off
	ds_read2_b64 v[75:78], v81 offset1:1
	s_add_i32 s12, s11, -11
	s_add_i32 s13, s11, -12
	;; [unrolled: 1-line block ×4, first 2 shown]
	s_waitcnt lgkmcnt(0)
	v_fma_f64 v[70:71], v[79:80], v[75:76], v[70:71]
	s_set_gpr_idx_on s12, gpr_idx(SRC0)
	v_mov_b32_e32 v76, v20
	s_set_gpr_idx_off
	s_set_gpr_idx_on s13, gpr_idx(SRC0)
	v_mov_b32_e32 v75, v20
	s_set_gpr_idx_off
	s_add_i32 s12, s11, -7
	s_add_i32 s13, s11, -8
	v_fma_f64 v[70:71], v[75:76], v[77:78], v[70:71]
	s_set_gpr_idx_on s14, gpr_idx(SRC0)
	v_mov_b32_e32 v80, v20
	s_set_gpr_idx_off
	s_set_gpr_idx_on s15, gpr_idx(SRC0)
	v_mov_b32_e32 v79, v20
	s_set_gpr_idx_off
	ds_read2_b64 v[75:78], v81 offset0:2 offset1:3
	s_add_i32 s14, s11, -5
	s_add_i32 s15, s11, -6
	s_waitcnt lgkmcnt(0)
	v_fma_f64 v[70:71], v[79:80], v[75:76], v[70:71]
	s_set_gpr_idx_on s12, gpr_idx(SRC0)
	v_mov_b32_e32 v76, v20
	s_set_gpr_idx_off
	s_set_gpr_idx_on s13, gpr_idx(SRC0)
	v_mov_b32_e32 v75, v20
	s_set_gpr_idx_off
	s_add_i32 s12, s11, -3
	s_add_i32 s13, s11, -4
	v_fma_f64 v[70:71], v[75:76], v[77:78], v[70:71]
	s_set_gpr_idx_on s14, gpr_idx(SRC0)
	v_mov_b32_e32 v80, v20
	s_set_gpr_idx_off
	s_set_gpr_idx_on s15, gpr_idx(SRC0)
	v_mov_b32_e32 v79, v20
	s_set_gpr_idx_off
	ds_read2_b64 v[75:78], v81 offset0:4 offset1:5
	s_add_i32 s14, s11, -1
	s_add_i32 s15, s11, -2
	s_add_u32 s6, s6, 8
	s_addc_u32 s7, s7, 0
	s_waitcnt lgkmcnt(0)
	v_fma_f64 v[70:71], v[79:80], v[75:76], v[70:71]
	s_set_gpr_idx_on s12, gpr_idx(SRC0)
	v_mov_b32_e32 v76, v20
	s_set_gpr_idx_off
	s_set_gpr_idx_on s13, gpr_idx(SRC0)
	v_mov_b32_e32 v75, v20
	s_set_gpr_idx_off
	s_add_i32 s10, s10, 64
	v_fma_f64 v[70:71], v[75:76], v[77:78], v[70:71]
	s_set_gpr_idx_on s14, gpr_idx(SRC0)
	v_mov_b32_e32 v80, v20
	s_set_gpr_idx_off
	s_set_gpr_idx_on s15, gpr_idx(SRC0)
	v_mov_b32_e32 v79, v20
	s_set_gpr_idx_off
	ds_read2_b64 v[75:78], v81 offset0:6 offset1:7
	s_waitcnt lgkmcnt(0)
	v_fma_f64 v[70:71], v[79:80], v[75:76], v[70:71]
	s_set_gpr_idx_on s11, gpr_idx(SRC0)
	v_mov_b32_e32 v76, v21
	v_mov_b32_e32 v75, v20
	s_set_gpr_idx_off
	s_add_i32 s11, s6, -7
	v_fma_f64 v[70:71], v[75:76], v[77:78], v[70:71]
	v_add_u32_e32 v75, s6, v74
	v_cmp_eq_u32_e32 vcc, 10, v75
	s_or_b64 s[8:9], vcc, s[8:9]
	v_mov_b32_e32 v75, s11
	s_andn2_b64 exec, exec, s[8:9]
	s_cbranch_execnz .LBB8_73
; %bb.74:
	s_or_b64 exec, exec, s[8:9]
.LBB8_75:
	s_or_b64 exec, exec, s[2:3]
	v_and_b32_e32 v38, 7, v73
	v_cmp_ne_u32_e32 vcc, 0, v38
	s_and_saveexec_b64 s[6:7], vcc
	s_cbranch_execz .LBB8_79
; %bb.76:
	v_mov_b32_e32 v39, 0x50
	v_lshl_add_u32 v39, v75, 3, v39
	v_mov_b32_e32 v40, 0
	s_mov_b64 s[8:9], 0
.LBB8_77:                               ; =>This Inner Loop Header: Depth=1
	v_cmp_eq_u32_e32 vcc, 1, v75
	v_cndmask_b32_e32 v43, v21, v23, vcc
	v_cmp_eq_u32_e64 s[2:3], 2, v75
	v_cndmask_b32_e64 v43, v43, v25, s[2:3]
	v_cndmask_b32_e32 v44, v20, v22, vcc
	v_cmp_eq_u32_e32 vcc, 3, v75
	v_cndmask_b32_e32 v43, v43, v27, vcc
	v_cndmask_b32_e64 v44, v44, v24, s[2:3]
	v_cmp_eq_u32_e64 s[2:3], 4, v75
	v_cndmask_b32_e64 v43, v43, v29, s[2:3]
	v_cndmask_b32_e32 v44, v44, v26, vcc
	v_cmp_eq_u32_e32 vcc, 5, v75
	ds_read_b64 v[41:42], v39
	v_cndmask_b32_e32 v43, v43, v31, vcc
	v_cndmask_b32_e64 v44, v44, v28, s[2:3]
	v_cmp_eq_u32_e64 s[2:3], 6, v75
	v_cndmask_b32_e64 v43, v43, v33, s[2:3]
	v_cndmask_b32_e32 v44, v44, v30, vcc
	v_cmp_eq_u32_e32 vcc, 7, v75
	v_cndmask_b32_e32 v43, v43, v35, vcc
	v_cndmask_b32_e64 v45, v44, v32, s[2:3]
	v_cmp_eq_u32_e64 s[2:3], 8, v75
	v_cndmask_b32_e64 v44, v43, v37, s[2:3]
	v_cndmask_b32_e32 v43, v45, v34, vcc
	v_cndmask_b32_e64 v43, v43, v36, s[2:3]
	s_waitcnt lgkmcnt(0)
	v_fma_f64 v[70:71], v[43:44], v[41:42], v[70:71]
	v_add_u32_e32 v38, -1, v38
	v_cmp_eq_u32_e32 vcc, 0, v38
	s_or_b64 s[8:9], vcc, s[8:9]
	v_add_co_u32_e32 v75, vcc, 1, v75
	v_add_u32_e32 v39, 8, v39
	v_addc_co_u32_e32 v40, vcc, 0, v40, vcc
	s_andn2_b64 exec, exec, s[8:9]
	s_cbranch_execnz .LBB8_77
; %bb.78:
	s_or_b64 exec, exec, s[8:9]
.LBB8_79:
	s_or_b64 exec, exec, s[6:7]
.LBB8_80:
	s_or_b64 exec, exec, s[4:5]
	v_mov_b32_e32 v24, 0
	ds_read_b64 v[24:25], v24 offset:16
	s_waitcnt lgkmcnt(0)
	v_mul_f64 v[24:25], v[70:71], v[24:25]
.LBB8_81:
	s_or_b64 exec, exec, s[20:21]
	v_cmp_lt_u32_e64 s[2:3], 1, v0
	ds_write_b64 v72, v[22:23]
	s_waitcnt lgkmcnt(0)
	; wave barrier
	s_and_saveexec_b64 s[20:21], s[2:3]
	s_cbranch_execz .LBB8_97
; %bb.82:
	s_andn2_b64 vcc, exec, s[18:19]
	s_cbranch_vccnz .LBB8_84
; %bb.83:
	v_cmp_eq_u32_e32 vcc, 1, v0
	v_cndmask_b32_e32 v70, v21, v23, vcc
	v_cmp_eq_u32_e64 s[4:5], 2, v0
	v_cndmask_b32_e64 v70, v70, v25, s[4:5]
	v_cmp_eq_u32_e64 s[6:7], 3, v0
	v_cndmask_b32_e64 v70, v70, v27, s[6:7]
	;; [unrolled: 2-line block ×7, first 2 shown]
	v_cndmask_b32_e32 v70, v20, v22, vcc
	v_cndmask_b32_e64 v70, v70, v24, s[4:5]
	v_cndmask_b32_e64 v70, v70, v26, s[6:7]
	;; [unrolled: 1-line block ×3, first 2 shown]
	ds_read_b64 v[73:74], v72
	v_cndmask_b32_e64 v70, v70, v30, s[10:11]
	v_cndmask_b32_e64 v70, v70, v32, s[12:13]
	;; [unrolled: 1-line block ×4, first 2 shown]
	s_waitcnt lgkmcnt(0)
	v_mul_f64 v[70:71], v[70:71], v[73:74]
	s_cbranch_execz .LBB8_85
	s_branch .LBB8_86
.LBB8_84:
                                        ; implicit-def: $vgpr70_vgpr71
.LBB8_85:
	ds_read_b64 v[70:71], v72
.LBB8_86:
	s_and_saveexec_b64 s[4:5], s[0:1]
	s_cbranch_execz .LBB8_96
; %bb.87:
	v_add_u32_e32 v74, -3, v0
	v_add_u32_e32 v73, -2, v0
	v_cmp_lt_u32_e32 vcc, 6, v74
	v_mov_b32_e32 v74, 2
	s_and_saveexec_b64 s[0:1], vcc
	s_cbranch_execz .LBB8_91
; %bb.88:
	v_and_b32_e32 v74, -8, v73
	v_sub_u32_e32 v75, 0, v74
	s_mov_b64 s[6:7], 9
	s_movk_i32 s10, 0x60
	s_mov_b64 s[8:9], 0
.LBB8_89:                               ; =>This Inner Loop Header: Depth=1
	s_lshl_b32 s11, s6, 1
	s_add_i32 s12, s11, -13
	v_mov_b32_e32 v74, s10
	s_add_i32 s13, s11, -14
	s_set_gpr_idx_on s12, gpr_idx(SRC0)
	v_mov_b32_e32 v85, v20
	s_set_gpr_idx_off
	s_set_gpr_idx_on s13, gpr_idx(SRC0)
	v_mov_b32_e32 v84, v20
	s_set_gpr_idx_off
	ds_read_b128 v[76:79], v74
	ds_read_b128 v[80:83], v74 offset:16
	s_add_i32 s12, s11, -11
	s_add_i32 s13, s11, -12
	s_waitcnt lgkmcnt(1)
	v_fma_f64 v[70:71], v[84:85], v[76:77], v[70:71]
	ds_read_b128 v[84:87], v74 offset:32
	ds_read_b128 v[88:91], v74 offset:48
	s_set_gpr_idx_on s12, gpr_idx(SRC0)
	v_mov_b32_e32 v77, v20
	s_set_gpr_idx_off
	s_set_gpr_idx_on s13, gpr_idx(SRC0)
	v_mov_b32_e32 v76, v20
	s_set_gpr_idx_off
	s_add_i32 s12, s11, -9
	s_add_i32 s13, s11, -10
	v_fma_f64 v[70:71], v[76:77], v[78:79], v[70:71]
	s_set_gpr_idx_on s12, gpr_idx(SRC0)
	v_mov_b32_e32 v77, v20
	s_set_gpr_idx_off
	s_set_gpr_idx_on s13, gpr_idx(SRC0)
	v_mov_b32_e32 v76, v20
	s_set_gpr_idx_off
	s_add_i32 s12, s11, -7
	s_add_i32 s13, s11, -8
	s_waitcnt lgkmcnt(2)
	v_fma_f64 v[70:71], v[76:77], v[80:81], v[70:71]
	s_set_gpr_idx_on s12, gpr_idx(SRC0)
	v_mov_b32_e32 v77, v20
	s_set_gpr_idx_off
	s_set_gpr_idx_on s13, gpr_idx(SRC0)
	v_mov_b32_e32 v76, v20
	s_set_gpr_idx_off
	s_add_i32 s12, s11, -5
	s_add_i32 s13, s11, -6
	v_fma_f64 v[70:71], v[76:77], v[82:83], v[70:71]
	s_set_gpr_idx_on s12, gpr_idx(SRC0)
	v_mov_b32_e32 v77, v20
	s_set_gpr_idx_off
	s_set_gpr_idx_on s13, gpr_idx(SRC0)
	v_mov_b32_e32 v76, v20
	s_set_gpr_idx_off
	s_add_i32 s12, s11, -3
	s_add_i32 s13, s11, -4
	s_waitcnt lgkmcnt(1)
	v_fma_f64 v[70:71], v[76:77], v[84:85], v[70:71]
	s_set_gpr_idx_on s12, gpr_idx(SRC0)
	v_mov_b32_e32 v77, v20
	s_set_gpr_idx_off
	s_set_gpr_idx_on s13, gpr_idx(SRC0)
	v_mov_b32_e32 v76, v20
	s_set_gpr_idx_off
	s_add_i32 s12, s11, -1
	s_add_i32 s13, s11, -2
	s_add_u32 s6, s6, 8
	v_add_u32_e32 v74, s6, v75
	s_addc_u32 s7, s7, 0
	v_fma_f64 v[70:71], v[76:77], v[86:87], v[70:71]
	s_set_gpr_idx_on s12, gpr_idx(SRC0)
	v_mov_b32_e32 v77, v20
	s_set_gpr_idx_off
	s_set_gpr_idx_on s13, gpr_idx(SRC0)
	v_mov_b32_e32 v76, v20
	s_set_gpr_idx_off
	s_add_i32 s10, s10, 64
	v_cmp_eq_u32_e32 vcc, 9, v74
	s_waitcnt lgkmcnt(0)
	v_fma_f64 v[70:71], v[76:77], v[88:89], v[70:71]
	s_set_gpr_idx_on s11, gpr_idx(SRC0)
	v_mov_b32_e32 v77, v21
	v_mov_b32_e32 v76, v20
	s_set_gpr_idx_off
	s_add_i32 s11, s6, -7
	s_or_b64 s[8:9], vcc, s[8:9]
	v_mov_b32_e32 v74, s11
	v_fma_f64 v[70:71], v[76:77], v[90:91], v[70:71]
	s_andn2_b64 exec, exec, s[8:9]
	s_cbranch_execnz .LBB8_89
; %bb.90:
	s_or_b64 exec, exec, s[8:9]
.LBB8_91:
	s_or_b64 exec, exec, s[0:1]
	v_and_b32_e32 v38, 7, v73
	v_cmp_ne_u32_e32 vcc, 0, v38
	s_and_saveexec_b64 s[6:7], vcc
	s_cbranch_execz .LBB8_95
; %bb.92:
	v_mov_b32_e32 v39, 0x50
	v_lshl_add_u32 v39, v74, 3, v39
	v_mov_b32_e32 v40, 0
	s_mov_b64 s[8:9], 0
.LBB8_93:                               ; =>This Inner Loop Header: Depth=1
	v_cmp_eq_u32_e32 vcc, 1, v74
	v_cndmask_b32_e32 v43, v21, v23, vcc
	v_cmp_eq_u32_e64 s[0:1], 2, v74
	v_cndmask_b32_e64 v43, v43, v25, s[0:1]
	v_cndmask_b32_e32 v44, v20, v22, vcc
	v_cmp_eq_u32_e32 vcc, 3, v74
	v_cndmask_b32_e32 v43, v43, v27, vcc
	v_cndmask_b32_e64 v44, v44, v24, s[0:1]
	v_cmp_eq_u32_e64 s[0:1], 4, v74
	v_cndmask_b32_e64 v43, v43, v29, s[0:1]
	v_cndmask_b32_e32 v44, v44, v26, vcc
	v_cmp_eq_u32_e32 vcc, 5, v74
	ds_read_b64 v[41:42], v39
	v_cndmask_b32_e32 v43, v43, v31, vcc
	v_cndmask_b32_e64 v44, v44, v28, s[0:1]
	v_cmp_eq_u32_e64 s[0:1], 6, v74
	v_cndmask_b32_e64 v43, v43, v33, s[0:1]
	v_cndmask_b32_e32 v44, v44, v30, vcc
	v_cmp_eq_u32_e32 vcc, 7, v74
	v_cndmask_b32_e32 v43, v43, v35, vcc
	v_cndmask_b32_e64 v45, v44, v32, s[0:1]
	v_cmp_eq_u32_e64 s[0:1], 8, v74
	v_cndmask_b32_e64 v44, v43, v37, s[0:1]
	v_cndmask_b32_e32 v43, v45, v34, vcc
	v_cndmask_b32_e64 v43, v43, v36, s[0:1]
	s_waitcnt lgkmcnt(0)
	v_fma_f64 v[70:71], v[43:44], v[41:42], v[70:71]
	v_add_u32_e32 v38, -1, v38
	v_cmp_eq_u32_e32 vcc, 0, v38
	s_or_b64 s[8:9], vcc, s[8:9]
	v_add_co_u32_e32 v74, vcc, 1, v74
	v_add_u32_e32 v39, 8, v39
	v_addc_co_u32_e32 v40, vcc, 0, v40, vcc
	s_andn2_b64 exec, exec, s[8:9]
	s_cbranch_execnz .LBB8_93
; %bb.94:
	s_or_b64 exec, exec, s[8:9]
.LBB8_95:
	s_or_b64 exec, exec, s[6:7]
.LBB8_96:
	s_or_b64 exec, exec, s[4:5]
	v_mov_b32_e32 v22, 0
	ds_read_b64 v[22:23], v22 offset:8
	s_waitcnt lgkmcnt(0)
	v_mul_f64 v[22:23], v[70:71], v[22:23]
.LBB8_97:
	s_or_b64 exec, exec, s[20:21]
	v_cmp_ne_u32_e32 vcc, 0, v0
	ds_write_b64 v72, v[20:21]
	s_waitcnt lgkmcnt(0)
	; wave barrier
	s_and_saveexec_b64 s[16:17], vcc
	s_cbranch_execz .LBB8_113
; %bb.98:
	s_andn2_b64 vcc, exec, s[18:19]
	s_cbranch_vccnz .LBB8_100
; %bb.99:
	v_cmp_eq_u32_e32 vcc, 1, v0
	v_cndmask_b32_e32 v70, v21, v23, vcc
	v_cmp_eq_u32_e64 s[0:1], 2, v0
	v_cndmask_b32_e64 v70, v70, v25, s[0:1]
	v_cmp_eq_u32_e64 s[4:5], 3, v0
	v_cndmask_b32_e64 v70, v70, v27, s[4:5]
	;; [unrolled: 2-line block ×7, first 2 shown]
	v_cndmask_b32_e32 v70, v20, v22, vcc
	v_cndmask_b32_e64 v70, v70, v24, s[0:1]
	v_cndmask_b32_e64 v70, v70, v26, s[4:5]
	;; [unrolled: 1-line block ×3, first 2 shown]
	ds_read_b64 v[73:74], v72
	v_cndmask_b32_e64 v70, v70, v30, s[8:9]
	v_cndmask_b32_e64 v70, v70, v32, s[10:11]
	;; [unrolled: 1-line block ×4, first 2 shown]
	s_waitcnt lgkmcnt(0)
	v_mul_f64 v[70:71], v[70:71], v[73:74]
	s_cbranch_execz .LBB8_101
	s_branch .LBB8_102
.LBB8_100:
                                        ; implicit-def: $vgpr70_vgpr71
.LBB8_101:
	ds_read_b64 v[70:71], v72
.LBB8_102:
	s_and_saveexec_b64 s[4:5], s[2:3]
	s_cbranch_execz .LBB8_112
; %bb.103:
	v_add_u32_e32 v74, -2, v0
	v_add_u32_e32 v73, -1, v0
	v_cmp_lt_u32_e32 vcc, 6, v74
	v_mov_b32_e32 v75, 1
	s_and_saveexec_b64 s[0:1], vcc
	s_cbranch_execz .LBB8_107
; %bb.104:
	v_and_b32_e32 v74, -8, v73
	v_sub_u32_e32 v74, 0, v74
	s_mov_b64 s[2:3], 8
	s_movk_i32 s8, 0x58
	s_mov_b64 s[6:7], 0
.LBB8_105:                              ; =>This Inner Loop Header: Depth=1
	s_lshl_b32 s9, s2, 1
	s_add_i32 s10, s9, -13
	v_mov_b32_e32 v81, s8
	s_add_i32 s11, s9, -14
	s_set_gpr_idx_on s10, gpr_idx(SRC0)
	v_mov_b32_e32 v80, v20
	s_set_gpr_idx_off
	s_set_gpr_idx_on s11, gpr_idx(SRC0)
	v_mov_b32_e32 v79, v20
	s_set_gpr_idx_off
	ds_read2_b64 v[75:78], v81 offset1:1
	s_add_i32 s10, s9, -11
	s_add_i32 s11, s9, -12
	;; [unrolled: 1-line block ×4, first 2 shown]
	s_waitcnt lgkmcnt(0)
	v_fma_f64 v[70:71], v[79:80], v[75:76], v[70:71]
	s_set_gpr_idx_on s10, gpr_idx(SRC0)
	v_mov_b32_e32 v76, v20
	s_set_gpr_idx_off
	s_set_gpr_idx_on s11, gpr_idx(SRC0)
	v_mov_b32_e32 v75, v20
	s_set_gpr_idx_off
	s_add_i32 s10, s9, -7
	s_add_i32 s11, s9, -8
	v_fma_f64 v[70:71], v[75:76], v[77:78], v[70:71]
	s_set_gpr_idx_on s12, gpr_idx(SRC0)
	v_mov_b32_e32 v80, v20
	s_set_gpr_idx_off
	s_set_gpr_idx_on s13, gpr_idx(SRC0)
	v_mov_b32_e32 v79, v20
	s_set_gpr_idx_off
	ds_read2_b64 v[75:78], v81 offset0:2 offset1:3
	s_add_i32 s12, s9, -5
	s_add_i32 s13, s9, -6
	s_waitcnt lgkmcnt(0)
	v_fma_f64 v[70:71], v[79:80], v[75:76], v[70:71]
	s_set_gpr_idx_on s10, gpr_idx(SRC0)
	v_mov_b32_e32 v76, v20
	s_set_gpr_idx_off
	s_set_gpr_idx_on s11, gpr_idx(SRC0)
	v_mov_b32_e32 v75, v20
	s_set_gpr_idx_off
	s_add_i32 s10, s9, -3
	s_add_i32 s11, s9, -4
	v_fma_f64 v[70:71], v[75:76], v[77:78], v[70:71]
	s_set_gpr_idx_on s12, gpr_idx(SRC0)
	v_mov_b32_e32 v80, v20
	s_set_gpr_idx_off
	s_set_gpr_idx_on s13, gpr_idx(SRC0)
	v_mov_b32_e32 v79, v20
	s_set_gpr_idx_off
	ds_read2_b64 v[75:78], v81 offset0:4 offset1:5
	s_add_i32 s12, s9, -1
	s_add_i32 s13, s9, -2
	s_add_u32 s2, s2, 8
	s_addc_u32 s3, s3, 0
	s_waitcnt lgkmcnt(0)
	v_fma_f64 v[70:71], v[79:80], v[75:76], v[70:71]
	s_set_gpr_idx_on s10, gpr_idx(SRC0)
	v_mov_b32_e32 v76, v20
	s_set_gpr_idx_off
	s_set_gpr_idx_on s11, gpr_idx(SRC0)
	v_mov_b32_e32 v75, v20
	s_set_gpr_idx_off
	s_add_i32 s8, s8, 64
	v_fma_f64 v[70:71], v[75:76], v[77:78], v[70:71]
	s_set_gpr_idx_on s12, gpr_idx(SRC0)
	v_mov_b32_e32 v80, v20
	s_set_gpr_idx_off
	s_set_gpr_idx_on s13, gpr_idx(SRC0)
	v_mov_b32_e32 v79, v20
	s_set_gpr_idx_off
	ds_read2_b64 v[75:78], v81 offset0:6 offset1:7
	s_waitcnt lgkmcnt(0)
	v_fma_f64 v[70:71], v[79:80], v[75:76], v[70:71]
	s_set_gpr_idx_on s9, gpr_idx(SRC0)
	v_mov_b32_e32 v76, v21
	v_mov_b32_e32 v75, v20
	s_set_gpr_idx_off
	s_add_i32 s9, s2, -7
	v_fma_f64 v[70:71], v[75:76], v[77:78], v[70:71]
	v_add_u32_e32 v75, s2, v74
	v_cmp_eq_u32_e32 vcc, 8, v75
	s_or_b64 s[6:7], vcc, s[6:7]
	v_mov_b32_e32 v75, s9
	s_andn2_b64 exec, exec, s[6:7]
	s_cbranch_execnz .LBB8_105
; %bb.106:
	s_or_b64 exec, exec, s[6:7]
.LBB8_107:
	s_or_b64 exec, exec, s[0:1]
	v_and_b32_e32 v38, 7, v73
	v_cmp_ne_u32_e32 vcc, 0, v38
	s_and_saveexec_b64 s[2:3], vcc
	s_cbranch_execz .LBB8_111
; %bb.108:
	v_mov_b32_e32 v39, 0x50
	v_lshl_add_u32 v39, v75, 3, v39
	v_mov_b32_e32 v40, 0
	s_mov_b64 s[6:7], 0
.LBB8_109:                              ; =>This Inner Loop Header: Depth=1
	v_cmp_eq_u32_e32 vcc, 1, v75
	v_cndmask_b32_e32 v43, v21, v23, vcc
	v_cmp_eq_u32_e64 s[0:1], 2, v75
	v_cndmask_b32_e64 v43, v43, v25, s[0:1]
	v_cndmask_b32_e32 v44, v20, v22, vcc
	v_cmp_eq_u32_e32 vcc, 3, v75
	v_cndmask_b32_e32 v43, v43, v27, vcc
	v_cndmask_b32_e64 v44, v44, v24, s[0:1]
	v_cmp_eq_u32_e64 s[0:1], 4, v75
	v_cndmask_b32_e64 v43, v43, v29, s[0:1]
	v_cndmask_b32_e32 v44, v44, v26, vcc
	v_cmp_eq_u32_e32 vcc, 5, v75
	ds_read_b64 v[41:42], v39
	v_cndmask_b32_e32 v43, v43, v31, vcc
	v_cndmask_b32_e64 v44, v44, v28, s[0:1]
	v_cmp_eq_u32_e64 s[0:1], 6, v75
	v_cndmask_b32_e64 v43, v43, v33, s[0:1]
	v_cndmask_b32_e32 v44, v44, v30, vcc
	v_cmp_eq_u32_e32 vcc, 7, v75
	v_cndmask_b32_e32 v43, v43, v35, vcc
	v_cndmask_b32_e64 v45, v44, v32, s[0:1]
	v_cmp_eq_u32_e64 s[0:1], 8, v75
	v_cndmask_b32_e64 v44, v43, v37, s[0:1]
	v_cndmask_b32_e32 v43, v45, v34, vcc
	v_cndmask_b32_e64 v43, v43, v36, s[0:1]
	s_waitcnt lgkmcnt(0)
	v_fma_f64 v[70:71], v[43:44], v[41:42], v[70:71]
	v_add_u32_e32 v38, -1, v38
	v_cmp_eq_u32_e32 vcc, 0, v38
	s_or_b64 s[6:7], vcc, s[6:7]
	v_add_co_u32_e32 v75, vcc, 1, v75
	v_add_u32_e32 v39, 8, v39
	v_addc_co_u32_e32 v40, vcc, 0, v40, vcc
	s_andn2_b64 exec, exec, s[6:7]
	s_cbranch_execnz .LBB8_109
; %bb.110:
	s_or_b64 exec, exec, s[6:7]
.LBB8_111:
	s_or_b64 exec, exec, s[2:3]
.LBB8_112:
	s_or_b64 exec, exec, s[4:5]
	v_mov_b32_e32 v20, 0
	ds_read_b64 v[20:21], v20
	s_waitcnt lgkmcnt(0)
	v_mul_f64 v[20:21], v[70:71], v[20:21]
.LBB8_113:
	s_or_b64 exec, exec, s[16:17]
	s_branch .LBB8_185
.LBB8_114:
	v_cmp_eq_u32_e64 s[2:3], 0, v0
	s_waitcnt vmcnt(7)
	ds_write_b64 v72, v[4:5]
	s_waitcnt lgkmcnt(0)
	; wave barrier
	s_and_saveexec_b64 s[16:17], s[2:3]
	s_cbranch_execz .LBB8_120
; %bb.115:
	s_and_b64 vcc, exec, s[18:19]
	s_cbranch_vccz .LBB8_117
; %bb.116:
	v_cmp_eq_u32_e32 vcc, 1, v0
	v_cndmask_b32_e32 v5, v3, v5, vcc
	v_cmp_eq_u32_e64 s[0:1], 2, v0
	v_cndmask_b32_e32 v4, v2, v4, vcc
	s_waitcnt vmcnt(6)
	v_cndmask_b32_e64 v5, v5, v7, s[0:1]
	v_cmp_eq_u32_e64 s[4:5], 3, v0
	v_cndmask_b32_e64 v4, v4, v6, s[0:1]
	s_waitcnt vmcnt(5)
	v_cndmask_b32_e64 v5, v5, v9, s[4:5]
	v_cmp_eq_u32_e64 s[6:7], 4, v0
	v_cndmask_b32_e64 v4, v4, v8, s[4:5]
	;; [unrolled: 4-line block ×3, first 2 shown]
	ds_read_b64 v[20:21], v72
	s_waitcnt vmcnt(3)
	v_cndmask_b32_e64 v5, v5, v13, s[8:9]
	v_cmp_eq_u32_e64 s[10:11], 6, v0
	v_cndmask_b32_e64 v4, v4, v12, s[8:9]
	s_waitcnt vmcnt(2)
	v_cndmask_b32_e64 v5, v5, v15, s[10:11]
	v_cmp_eq_u32_e64 s[12:13], 7, v0
	v_cndmask_b32_e64 v4, v4, v14, s[10:11]
	;; [unrolled: 4-line block ×3, first 2 shown]
	s_waitcnt vmcnt(0)
	v_cndmask_b32_e64 v5, v5, v19, s[14:15]
	v_cndmask_b32_e64 v4, v4, v18, s[14:15]
	s_waitcnt lgkmcnt(0)
	v_mul_f64 v[4:5], v[4:5], v[20:21]
	s_cbranch_execz .LBB8_118
	s_branch .LBB8_119
.LBB8_117:
                                        ; implicit-def: $vgpr4_vgpr5
.LBB8_118:
	ds_read_b64 v[4:5], v72
.LBB8_119:
	v_mov_b32_e32 v20, 0
	ds_read_b64 v[20:21], v20 offset:8
	s_waitcnt lgkmcnt(0)
	v_mul_f64 v[4:5], v[4:5], v[20:21]
.LBB8_120:
	s_or_b64 exec, exec, s[16:17]
	v_cndmask_b32_e64 v20, 0, 1, s[18:19]
	v_cmp_gt_u32_e32 vcc, 2, v0
	v_cmp_ne_u32_e64 s[0:1], 1, v20
	s_waitcnt vmcnt(6)
	ds_write_b64 v72, v[6:7]
	s_waitcnt lgkmcnt(0)
	; wave barrier
	s_and_saveexec_b64 s[18:19], vcc
	s_cbranch_execz .LBB8_126
; %bb.121:
	s_and_b64 vcc, exec, s[0:1]
	s_cbranch_vccnz .LBB8_123
; %bb.122:
	v_cmp_eq_u32_e32 vcc, 1, v0
	v_cndmask_b32_e32 v20, v3, v5, vcc
	v_cmp_eq_u32_e64 s[4:5], 2, v0
	v_cndmask_b32_e64 v7, v20, v7, s[4:5]
	v_cndmask_b32_e32 v20, v2, v4, vcc
	v_cmp_eq_u32_e64 s[6:7], 3, v0
	v_cndmask_b32_e64 v6, v20, v6, s[4:5]
	s_waitcnt vmcnt(5)
	v_cndmask_b32_e64 v7, v7, v9, s[6:7]
	v_cmp_eq_u32_e64 s[8:9], 4, v0
	v_cndmask_b32_e64 v6, v6, v8, s[6:7]
	s_waitcnt vmcnt(4)
	v_cndmask_b32_e64 v7, v7, v11, s[8:9]
	v_cmp_eq_u32_e64 s[10:11], 5, v0
	v_cndmask_b32_e64 v6, v6, v10, s[8:9]
	ds_read_b64 v[20:21], v72
	s_waitcnt vmcnt(3)
	v_cndmask_b32_e64 v7, v7, v13, s[10:11]
	v_cmp_eq_u32_e64 s[12:13], 6, v0
	v_cndmask_b32_e64 v6, v6, v12, s[10:11]
	s_waitcnt vmcnt(2)
	v_cndmask_b32_e64 v7, v7, v15, s[12:13]
	v_cmp_eq_u32_e64 s[14:15], 7, v0
	v_cndmask_b32_e64 v6, v6, v14, s[12:13]
	;; [unrolled: 4-line block ×3, first 2 shown]
	s_waitcnt vmcnt(0)
	v_cndmask_b32_e64 v7, v7, v19, s[16:17]
	v_cndmask_b32_e64 v6, v6, v18, s[16:17]
	s_waitcnt lgkmcnt(0)
	v_mul_f64 v[6:7], v[6:7], v[20:21]
	s_cbranch_execz .LBB8_124
	s_branch .LBB8_125
.LBB8_123:
                                        ; implicit-def: $vgpr6_vgpr7
.LBB8_124:
	ds_read_b64 v[6:7], v72
.LBB8_125:
	v_mov_b32_e32 v20, 0
	ds_read2_b64 v[20:23], v20 offset0:2 offset1:11
	s_waitcnt lgkmcnt(0)
	v_fma_f64 v[22:23], v[4:5], v[22:23], v[6:7]
	v_cndmask_b32_e64 v7, v7, v23, s[2:3]
	v_cndmask_b32_e64 v6, v6, v22, s[2:3]
	v_mul_f64 v[6:7], v[6:7], v[20:21]
.LBB8_126:
	s_or_b64 exec, exec, s[18:19]
	v_cmp_gt_u32_e32 vcc, 3, v0
	s_waitcnt vmcnt(5)
	ds_write_b64 v72, v[8:9]
	s_waitcnt lgkmcnt(0)
	; wave barrier
	s_and_saveexec_b64 s[18:19], vcc
	s_cbranch_execz .LBB8_134
; %bb.127:
	s_and_b64 vcc, exec, s[0:1]
	s_cbranch_vccnz .LBB8_129
; %bb.128:
	v_cmp_eq_u32_e32 vcc, 1, v0
	v_cndmask_b32_e32 v20, v3, v5, vcc
	v_cmp_eq_u32_e64 s[4:5], 2, v0
	v_cndmask_b32_e64 v20, v20, v7, s[4:5]
	v_cmp_eq_u32_e64 s[6:7], 3, v0
	v_cndmask_b32_e64 v20, v20, v9, s[6:7]
	v_cmp_eq_u32_e64 s[8:9], 4, v0
	s_waitcnt vmcnt(4)
	v_cndmask_b32_e64 v20, v20, v11, s[8:9]
	v_cmp_eq_u32_e64 s[10:11], 5, v0
	s_waitcnt vmcnt(3)
	;; [unrolled: 3-line block ×5, first 2 shown]
	v_cndmask_b32_e64 v21, v20, v19, s[16:17]
	v_cndmask_b32_e32 v20, v2, v4, vcc
	v_cndmask_b32_e64 v20, v20, v6, s[4:5]
	v_cndmask_b32_e64 v20, v20, v8, s[6:7]
	v_cndmask_b32_e64 v20, v20, v10, s[8:9]
	ds_read_b64 v[22:23], v72
	v_cndmask_b32_e64 v20, v20, v12, s[10:11]
	v_cndmask_b32_e64 v20, v20, v14, s[12:13]
	;; [unrolled: 1-line block ×4, first 2 shown]
	s_waitcnt lgkmcnt(0)
	v_mul_f64 v[20:21], v[20:21], v[22:23]
	s_cbranch_execz .LBB8_130
	s_branch .LBB8_131
.LBB8_129:
                                        ; implicit-def: $vgpr20_vgpr21
.LBB8_130:
	ds_read_b64 v[20:21], v72
.LBB8_131:
	v_cmp_ne_u32_e32 vcc, 2, v0
	s_and_saveexec_b64 s[20:21], vcc
	s_cbranch_execz .LBB8_133
; %bb.132:
	v_add_u32_e32 v22, 1, v0
	v_cmp_eq_u32_e32 vcc, 1, v22
	v_cndmask_b32_e32 v23, v3, v5, vcc
	v_cmp_eq_u32_e64 s[4:5], 2, v22
	v_cmp_eq_u32_e64 s[6:7], 3, v22
	;; [unrolled: 1-line block ×7, first 2 shown]
	v_cndmask_b32_e32 v22, v2, v4, vcc
	v_cndmask_b32_e64 v23, v23, v7, s[4:5]
	v_cndmask_b32_e64 v22, v22, v6, s[4:5]
	;; [unrolled: 1-line block ×4, first 2 shown]
	s_waitcnt vmcnt(4)
	v_cndmask_b32_e64 v9, v9, v11, s[8:9]
	v_cndmask_b32_e64 v8, v8, v10, s[8:9]
	ds_read_b64 v[22:23], v72 offset:8
	s_waitcnt vmcnt(3)
	v_cndmask_b32_e64 v9, v9, v13, s[10:11]
	v_cndmask_b32_e64 v8, v8, v12, s[10:11]
	s_waitcnt vmcnt(2)
	v_cndmask_b32_e64 v9, v9, v15, s[12:13]
	v_cndmask_b32_e64 v8, v8, v14, s[12:13]
	;; [unrolled: 3-line block ×4, first 2 shown]
	v_mov_b32_e32 v24, 0
	ds_read_b64 v[24:25], v24 offset:96
	s_waitcnt lgkmcnt(1)
	v_fma_f64 v[8:9], v[8:9], v[22:23], v[20:21]
	s_waitcnt lgkmcnt(0)
	v_fma_f64 v[20:21], v[6:7], v[24:25], v[8:9]
	v_cndmask_b32_e64 v21, v9, v21, s[2:3]
	v_cndmask_b32_e64 v20, v8, v20, s[2:3]
.LBB8_133:
	s_or_b64 exec, exec, s[20:21]
	v_mov_b32_e32 v8, 0
	ds_read_b64 v[8:9], v8 offset:24
	s_waitcnt lgkmcnt(0)
	v_mul_f64 v[8:9], v[20:21], v[8:9]
.LBB8_134:
	s_or_b64 exec, exec, s[18:19]
	v_cmp_gt_u32_e32 vcc, 4, v0
	s_waitcnt vmcnt(4)
	ds_write_b64 v72, v[10:11]
	s_waitcnt lgkmcnt(0)
	; wave barrier
	s_and_saveexec_b64 s[16:17], vcc
	s_cbranch_execz .LBB8_144
; %bb.135:
	s_and_b64 vcc, exec, s[0:1]
	s_cbranch_vccnz .LBB8_137
; %bb.136:
	v_cmp_eq_u32_e32 vcc, 1, v0
	v_cndmask_b32_e32 v20, v3, v5, vcc
	v_cmp_eq_u32_e64 s[2:3], 2, v0
	v_cndmask_b32_e64 v20, v20, v7, s[2:3]
	v_cmp_eq_u32_e64 s[4:5], 3, v0
	v_cndmask_b32_e64 v20, v20, v9, s[4:5]
	;; [unrolled: 2-line block ×3, first 2 shown]
	v_cmp_eq_u32_e64 s[8:9], 5, v0
	s_waitcnt vmcnt(3)
	v_cndmask_b32_e64 v20, v20, v13, s[8:9]
	v_cmp_eq_u32_e64 s[10:11], 6, v0
	s_waitcnt vmcnt(2)
	v_cndmask_b32_e64 v20, v20, v15, s[10:11]
	;; [unrolled: 3-line block ×4, first 2 shown]
	v_cndmask_b32_e32 v20, v2, v4, vcc
	v_cndmask_b32_e64 v20, v20, v6, s[2:3]
	v_cndmask_b32_e64 v20, v20, v8, s[4:5]
	v_cndmask_b32_e64 v20, v20, v10, s[6:7]
	ds_read_b64 v[22:23], v72
	v_cndmask_b32_e64 v20, v20, v12, s[8:9]
	v_cndmask_b32_e64 v20, v20, v14, s[10:11]
	;; [unrolled: 1-line block ×4, first 2 shown]
	s_waitcnt lgkmcnt(0)
	v_mul_f64 v[20:21], v[20:21], v[22:23]
	s_cbranch_execz .LBB8_138
	s_branch .LBB8_139
.LBB8_137:
                                        ; implicit-def: $vgpr20_vgpr21
.LBB8_138:
	ds_read_b64 v[20:21], v72
.LBB8_139:
	v_cmp_ne_u32_e32 vcc, 3, v0
	s_and_saveexec_b64 s[4:5], vcc
	s_cbranch_execz .LBB8_143
; %bb.140:
	v_mov_b32_e32 v22, 0x58
	v_lshl_add_u32 v24, v0, 3, v22
	v_mov_b32_e32 v23, v1
	s_mov_b64 s[6:7], 0
	v_mov_b32_e32 v22, v0
.LBB8_141:                              ; =>This Inner Loop Header: Depth=1
	v_add_co_u32_e32 v22, vcc, 1, v22
	v_addc_co_u32_e32 v23, vcc, 0, v23, vcc
	v_cmp_eq_u32_e32 vcc, 1, v22
	v_cndmask_b32_e32 v27, v3, v5, vcc
	v_cmp_eq_u32_e64 s[2:3], 2, v22
	v_cndmask_b32_e64 v27, v27, v7, s[2:3]
	v_cndmask_b32_e32 v28, v2, v4, vcc
	v_cmp_eq_u32_e32 vcc, 3, v22
	v_cndmask_b32_e32 v27, v27, v9, vcc
	v_cndmask_b32_e64 v28, v28, v6, s[2:3]
	v_cmp_eq_u32_e64 s[2:3], 4, v22
	v_cndmask_b32_e64 v27, v27, v11, s[2:3]
	v_cndmask_b32_e32 v28, v28, v8, vcc
	v_cmp_eq_u32_e32 vcc, 5, v22
	ds_read_b64 v[25:26], v24
	s_waitcnt vmcnt(3)
	v_cndmask_b32_e32 v27, v27, v13, vcc
	v_cndmask_b32_e64 v28, v28, v10, s[2:3]
	v_cmp_eq_u32_e64 s[2:3], 6, v22
	s_waitcnt vmcnt(2)
	v_cndmask_b32_e64 v27, v27, v15, s[2:3]
	v_cndmask_b32_e32 v28, v28, v12, vcc
	v_cmp_eq_u32_e32 vcc, 7, v22
	s_waitcnt vmcnt(1)
	v_cndmask_b32_e32 v27, v27, v17, vcc
	v_cndmask_b32_e64 v29, v28, v14, s[2:3]
	v_cmp_eq_u32_e64 s[2:3], 8, v22
	s_waitcnt vmcnt(0)
	v_cndmask_b32_e64 v28, v27, v19, s[2:3]
	v_cndmask_b32_e32 v27, v29, v16, vcc
	v_cndmask_b32_e64 v27, v27, v18, s[2:3]
	s_waitcnt lgkmcnt(0)
	v_fma_f64 v[20:21], v[27:28], v[25:26], v[20:21]
	v_cmp_lt_u32_e32 vcc, 2, v22
	s_or_b64 s[6:7], vcc, s[6:7]
	v_add_u32_e32 v24, 8, v24
	s_andn2_b64 exec, exec, s[6:7]
	s_cbranch_execnz .LBB8_141
; %bb.142:
	s_or_b64 exec, exec, s[6:7]
.LBB8_143:
	s_or_b64 exec, exec, s[4:5]
	v_mov_b32_e32 v10, 0
	ds_read_b64 v[10:11], v10 offset:32
	s_waitcnt lgkmcnt(0)
	v_mul_f64 v[10:11], v[20:21], v[10:11]
.LBB8_144:
	s_or_b64 exec, exec, s[16:17]
	v_cmp_gt_u32_e32 vcc, 5, v0
	s_waitcnt vmcnt(3)
	ds_write_b64 v72, v[12:13]
	s_waitcnt lgkmcnt(0)
	; wave barrier
	s_and_saveexec_b64 s[16:17], vcc
	s_cbranch_execz .LBB8_154
; %bb.145:
	s_and_b64 vcc, exec, s[0:1]
	s_cbranch_vccnz .LBB8_147
; %bb.146:
	v_cmp_eq_u32_e32 vcc, 1, v0
	v_cndmask_b32_e32 v20, v3, v5, vcc
	v_cmp_eq_u32_e64 s[2:3], 2, v0
	v_cndmask_b32_e64 v20, v20, v7, s[2:3]
	v_cmp_eq_u32_e64 s[4:5], 3, v0
	v_cndmask_b32_e64 v20, v20, v9, s[4:5]
	;; [unrolled: 2-line block ×4, first 2 shown]
	v_cmp_eq_u32_e64 s[10:11], 6, v0
	s_waitcnt vmcnt(2)
	v_cndmask_b32_e64 v20, v20, v15, s[10:11]
	v_cmp_eq_u32_e64 s[12:13], 7, v0
	s_waitcnt vmcnt(1)
	v_cndmask_b32_e64 v20, v20, v17, s[12:13]
	;; [unrolled: 3-line block ×3, first 2 shown]
	v_cndmask_b32_e32 v20, v2, v4, vcc
	v_cndmask_b32_e64 v20, v20, v6, s[2:3]
	v_cndmask_b32_e64 v20, v20, v8, s[4:5]
	;; [unrolled: 1-line block ×3, first 2 shown]
	ds_read_b64 v[22:23], v72
	v_cndmask_b32_e64 v20, v20, v12, s[8:9]
	v_cndmask_b32_e64 v20, v20, v14, s[10:11]
	;; [unrolled: 1-line block ×4, first 2 shown]
	s_waitcnt lgkmcnt(0)
	v_mul_f64 v[20:21], v[20:21], v[22:23]
	s_cbranch_execz .LBB8_148
	s_branch .LBB8_149
.LBB8_147:
                                        ; implicit-def: $vgpr20_vgpr21
.LBB8_148:
	ds_read_b64 v[20:21], v72
.LBB8_149:
	v_cmp_ne_u32_e32 vcc, 4, v0
	s_and_saveexec_b64 s[4:5], vcc
	s_cbranch_execz .LBB8_153
; %bb.150:
	v_mov_b32_e32 v22, 0x58
	v_lshl_add_u32 v24, v0, 3, v22
	v_mov_b32_e32 v23, v1
	s_mov_b64 s[6:7], 0
	v_mov_b32_e32 v22, v0
.LBB8_151:                              ; =>This Inner Loop Header: Depth=1
	v_add_co_u32_e32 v22, vcc, 1, v22
	v_addc_co_u32_e32 v23, vcc, 0, v23, vcc
	v_cmp_eq_u32_e32 vcc, 1, v22
	v_cndmask_b32_e32 v27, v3, v5, vcc
	v_cmp_eq_u32_e64 s[2:3], 2, v22
	v_cndmask_b32_e64 v27, v27, v7, s[2:3]
	v_cndmask_b32_e32 v28, v2, v4, vcc
	v_cmp_eq_u32_e32 vcc, 3, v22
	v_cndmask_b32_e32 v27, v27, v9, vcc
	v_cndmask_b32_e64 v28, v28, v6, s[2:3]
	v_cmp_eq_u32_e64 s[2:3], 4, v22
	v_cndmask_b32_e64 v27, v27, v11, s[2:3]
	v_cndmask_b32_e32 v28, v28, v8, vcc
	v_cmp_eq_u32_e32 vcc, 5, v22
	ds_read_b64 v[25:26], v24
	v_cndmask_b32_e32 v27, v27, v13, vcc
	v_cndmask_b32_e64 v28, v28, v10, s[2:3]
	v_cmp_eq_u32_e64 s[2:3], 6, v22
	s_waitcnt vmcnt(2)
	v_cndmask_b32_e64 v27, v27, v15, s[2:3]
	v_cndmask_b32_e32 v28, v28, v12, vcc
	v_cmp_eq_u32_e32 vcc, 7, v22
	s_waitcnt vmcnt(1)
	v_cndmask_b32_e32 v27, v27, v17, vcc
	v_cndmask_b32_e64 v29, v28, v14, s[2:3]
	v_cmp_eq_u32_e64 s[2:3], 8, v22
	s_waitcnt vmcnt(0)
	v_cndmask_b32_e64 v28, v27, v19, s[2:3]
	v_cndmask_b32_e32 v27, v29, v16, vcc
	v_cndmask_b32_e64 v27, v27, v18, s[2:3]
	s_waitcnt lgkmcnt(0)
	v_fma_f64 v[20:21], v[27:28], v[25:26], v[20:21]
	v_cmp_lt_u32_e32 vcc, 3, v22
	s_or_b64 s[6:7], vcc, s[6:7]
	v_add_u32_e32 v24, 8, v24
	s_andn2_b64 exec, exec, s[6:7]
	s_cbranch_execnz .LBB8_151
; %bb.152:
	s_or_b64 exec, exec, s[6:7]
.LBB8_153:
	s_or_b64 exec, exec, s[4:5]
	v_mov_b32_e32 v12, 0
	ds_read_b64 v[12:13], v12 offset:40
	s_waitcnt lgkmcnt(0)
	v_mul_f64 v[12:13], v[20:21], v[12:13]
.LBB8_154:
	s_or_b64 exec, exec, s[16:17]
	v_cmp_gt_u32_e32 vcc, 6, v0
	s_waitcnt vmcnt(2)
	ds_write_b64 v72, v[14:15]
	s_waitcnt lgkmcnt(0)
	; wave barrier
	s_and_saveexec_b64 s[16:17], vcc
	s_cbranch_execz .LBB8_164
; %bb.155:
	s_and_b64 vcc, exec, s[0:1]
	s_cbranch_vccnz .LBB8_157
; %bb.156:
	v_cmp_eq_u32_e32 vcc, 1, v0
	v_cndmask_b32_e32 v20, v3, v5, vcc
	v_cmp_eq_u32_e64 s[2:3], 2, v0
	v_cndmask_b32_e64 v20, v20, v7, s[2:3]
	v_cmp_eq_u32_e64 s[4:5], 3, v0
	v_cndmask_b32_e64 v20, v20, v9, s[4:5]
	;; [unrolled: 2-line block ×5, first 2 shown]
	v_cmp_eq_u32_e64 s[12:13], 7, v0
	s_waitcnt vmcnt(1)
	v_cndmask_b32_e64 v20, v20, v17, s[12:13]
	v_cmp_eq_u32_e64 s[14:15], 8, v0
	s_waitcnt vmcnt(0)
	v_cndmask_b32_e64 v21, v20, v19, s[14:15]
	v_cndmask_b32_e32 v20, v2, v4, vcc
	v_cndmask_b32_e64 v20, v20, v6, s[2:3]
	v_cndmask_b32_e64 v20, v20, v8, s[4:5]
	;; [unrolled: 1-line block ×3, first 2 shown]
	ds_read_b64 v[22:23], v72
	v_cndmask_b32_e64 v20, v20, v12, s[8:9]
	v_cndmask_b32_e64 v20, v20, v14, s[10:11]
	;; [unrolled: 1-line block ×4, first 2 shown]
	s_waitcnt lgkmcnt(0)
	v_mul_f64 v[20:21], v[20:21], v[22:23]
	s_cbranch_execz .LBB8_158
	s_branch .LBB8_159
.LBB8_157:
                                        ; implicit-def: $vgpr20_vgpr21
.LBB8_158:
	ds_read_b64 v[20:21], v72
.LBB8_159:
	v_cmp_ne_u32_e32 vcc, 5, v0
	s_and_saveexec_b64 s[4:5], vcc
	s_cbranch_execz .LBB8_163
; %bb.160:
	v_mov_b32_e32 v22, 0x58
	v_lshl_add_u32 v24, v0, 3, v22
	v_mov_b32_e32 v23, v1
	s_mov_b64 s[6:7], 0
	v_mov_b32_e32 v22, v0
.LBB8_161:                              ; =>This Inner Loop Header: Depth=1
	v_add_co_u32_e32 v22, vcc, 1, v22
	v_addc_co_u32_e32 v23, vcc, 0, v23, vcc
	v_cmp_eq_u32_e32 vcc, 1, v22
	v_cndmask_b32_e32 v27, v3, v5, vcc
	v_cmp_eq_u32_e64 s[2:3], 2, v22
	v_cndmask_b32_e64 v27, v27, v7, s[2:3]
	v_cndmask_b32_e32 v28, v2, v4, vcc
	v_cmp_eq_u32_e32 vcc, 3, v22
	v_cndmask_b32_e32 v27, v27, v9, vcc
	v_cndmask_b32_e64 v28, v28, v6, s[2:3]
	v_cmp_eq_u32_e64 s[2:3], 4, v22
	v_cndmask_b32_e64 v27, v27, v11, s[2:3]
	v_cndmask_b32_e32 v28, v28, v8, vcc
	v_cmp_eq_u32_e32 vcc, 5, v22
	ds_read_b64 v[25:26], v24
	v_cndmask_b32_e32 v27, v27, v13, vcc
	v_cndmask_b32_e64 v28, v28, v10, s[2:3]
	v_cmp_eq_u32_e64 s[2:3], 6, v22
	v_cndmask_b32_e64 v27, v27, v15, s[2:3]
	v_cndmask_b32_e32 v28, v28, v12, vcc
	v_cmp_eq_u32_e32 vcc, 7, v22
	s_waitcnt vmcnt(1)
	v_cndmask_b32_e32 v27, v27, v17, vcc
	v_cndmask_b32_e64 v29, v28, v14, s[2:3]
	v_cmp_eq_u32_e64 s[2:3], 8, v22
	s_waitcnt vmcnt(0)
	v_cndmask_b32_e64 v28, v27, v19, s[2:3]
	v_cndmask_b32_e32 v27, v29, v16, vcc
	v_cndmask_b32_e64 v27, v27, v18, s[2:3]
	s_waitcnt lgkmcnt(0)
	v_fma_f64 v[20:21], v[27:28], v[25:26], v[20:21]
	v_cmp_lt_u32_e32 vcc, 4, v22
	s_or_b64 s[6:7], vcc, s[6:7]
	v_add_u32_e32 v24, 8, v24
	s_andn2_b64 exec, exec, s[6:7]
	s_cbranch_execnz .LBB8_161
; %bb.162:
	s_or_b64 exec, exec, s[6:7]
.LBB8_163:
	s_or_b64 exec, exec, s[4:5]
	v_mov_b32_e32 v14, 0
	ds_read_b64 v[14:15], v14 offset:48
	s_waitcnt lgkmcnt(0)
	v_mul_f64 v[14:15], v[20:21], v[14:15]
.LBB8_164:
	s_or_b64 exec, exec, s[16:17]
	v_cmp_gt_u32_e64 s[2:3], 7, v0
	s_waitcnt vmcnt(1)
	ds_write_b64 v72, v[16:17]
	s_waitcnt lgkmcnt(0)
	; wave barrier
	s_and_saveexec_b64 s[18:19], s[2:3]
	s_cbranch_execz .LBB8_174
; %bb.165:
	s_and_b64 vcc, exec, s[0:1]
	s_cbranch_vccnz .LBB8_167
; %bb.166:
	v_cmp_eq_u32_e32 vcc, 1, v0
	v_cndmask_b32_e32 v20, v3, v5, vcc
	v_cmp_eq_u32_e64 s[4:5], 2, v0
	v_cndmask_b32_e64 v20, v20, v7, s[4:5]
	v_cmp_eq_u32_e64 s[6:7], 3, v0
	v_cndmask_b32_e64 v20, v20, v9, s[6:7]
	;; [unrolled: 2-line block ×6, first 2 shown]
	v_cmp_eq_u32_e64 s[16:17], 8, v0
	s_waitcnt vmcnt(0)
	v_cndmask_b32_e64 v21, v20, v19, s[16:17]
	v_cndmask_b32_e32 v20, v2, v4, vcc
	v_cndmask_b32_e64 v20, v20, v6, s[4:5]
	v_cndmask_b32_e64 v20, v20, v8, s[6:7]
	;; [unrolled: 1-line block ×3, first 2 shown]
	ds_read_b64 v[22:23], v72
	v_cndmask_b32_e64 v20, v20, v12, s[10:11]
	v_cndmask_b32_e64 v20, v20, v14, s[12:13]
	;; [unrolled: 1-line block ×4, first 2 shown]
	s_waitcnt lgkmcnt(0)
	v_mul_f64 v[20:21], v[20:21], v[22:23]
	s_cbranch_execz .LBB8_168
	s_branch .LBB8_169
.LBB8_167:
                                        ; implicit-def: $vgpr20_vgpr21
.LBB8_168:
	ds_read_b64 v[20:21], v72
.LBB8_169:
	v_cmp_ne_u32_e32 vcc, 6, v0
	s_and_saveexec_b64 s[6:7], vcc
	s_cbranch_execz .LBB8_173
; %bb.170:
	v_mov_b32_e32 v22, 0x58
	v_lshl_add_u32 v24, v0, 3, v22
	v_mov_b32_e32 v23, v1
	s_mov_b64 s[8:9], 0
	v_mov_b32_e32 v22, v0
.LBB8_171:                              ; =>This Inner Loop Header: Depth=1
	v_add_co_u32_e32 v22, vcc, 1, v22
	v_addc_co_u32_e32 v23, vcc, 0, v23, vcc
	v_cmp_eq_u32_e32 vcc, 1, v22
	v_cndmask_b32_e32 v27, v3, v5, vcc
	v_cmp_eq_u32_e64 s[4:5], 2, v22
	v_cndmask_b32_e64 v27, v27, v7, s[4:5]
	v_cndmask_b32_e32 v28, v2, v4, vcc
	v_cmp_eq_u32_e32 vcc, 3, v22
	v_cndmask_b32_e32 v27, v27, v9, vcc
	v_cndmask_b32_e64 v28, v28, v6, s[4:5]
	v_cmp_eq_u32_e64 s[4:5], 4, v22
	v_cndmask_b32_e64 v27, v27, v11, s[4:5]
	v_cndmask_b32_e32 v28, v28, v8, vcc
	v_cmp_eq_u32_e32 vcc, 5, v22
	ds_read_b64 v[25:26], v24
	v_cndmask_b32_e32 v27, v27, v13, vcc
	v_cndmask_b32_e64 v28, v28, v10, s[4:5]
	v_cmp_eq_u32_e64 s[4:5], 6, v22
	v_cndmask_b32_e64 v27, v27, v15, s[4:5]
	v_cndmask_b32_e32 v28, v28, v12, vcc
	v_cmp_eq_u32_e32 vcc, 7, v22
	v_cndmask_b32_e32 v27, v27, v17, vcc
	v_cndmask_b32_e64 v29, v28, v14, s[4:5]
	v_cmp_eq_u32_e64 s[4:5], 8, v22
	s_waitcnt vmcnt(0)
	v_cndmask_b32_e64 v28, v27, v19, s[4:5]
	v_cndmask_b32_e32 v27, v29, v16, vcc
	v_cndmask_b32_e64 v27, v27, v18, s[4:5]
	s_waitcnt lgkmcnt(0)
	v_fma_f64 v[20:21], v[27:28], v[25:26], v[20:21]
	v_cmp_lt_u32_e32 vcc, 5, v22
	s_or_b64 s[8:9], vcc, s[8:9]
	v_add_u32_e32 v24, 8, v24
	s_andn2_b64 exec, exec, s[8:9]
	s_cbranch_execnz .LBB8_171
; %bb.172:
	s_or_b64 exec, exec, s[8:9]
.LBB8_173:
	s_or_b64 exec, exec, s[6:7]
	v_mov_b32_e32 v16, 0
	ds_read_b64 v[16:17], v16 offset:56
	s_waitcnt lgkmcnt(0)
	v_mul_f64 v[16:17], v[20:21], v[16:17]
.LBB8_174:
	s_or_b64 exec, exec, s[18:19]
	v_cmp_ne_u32_e32 vcc, 8, v0
	s_waitcnt vmcnt(0)
	ds_write_b64 v72, v[18:19]
	s_waitcnt lgkmcnt(0)
	; wave barrier
	s_and_saveexec_b64 s[16:17], vcc
	s_cbranch_execz .LBB8_184
; %bb.175:
	s_and_b64 vcc, exec, s[0:1]
	s_cbranch_vccnz .LBB8_177
; %bb.176:
	v_cmp_eq_u32_e32 vcc, 1, v0
	v_cndmask_b32_e32 v20, v3, v5, vcc
	v_cmp_eq_u32_e64 s[0:1], 2, v0
	v_cndmask_b32_e64 v20, v20, v7, s[0:1]
	v_cmp_eq_u32_e64 s[4:5], 3, v0
	v_cndmask_b32_e64 v20, v20, v9, s[4:5]
	;; [unrolled: 2-line block ×7, first 2 shown]
	v_cndmask_b32_e32 v20, v2, v4, vcc
	v_cndmask_b32_e64 v20, v20, v6, s[0:1]
	v_cndmask_b32_e64 v20, v20, v8, s[4:5]
	;; [unrolled: 1-line block ×3, first 2 shown]
	ds_read_b64 v[22:23], v72
	v_cndmask_b32_e64 v20, v20, v12, s[8:9]
	v_cndmask_b32_e64 v20, v20, v14, s[10:11]
	;; [unrolled: 1-line block ×4, first 2 shown]
	s_waitcnt lgkmcnt(0)
	v_mul_f64 v[20:21], v[20:21], v[22:23]
	s_cbranch_execz .LBB8_178
	s_branch .LBB8_179
.LBB8_177:
                                        ; implicit-def: $vgpr20_vgpr21
.LBB8_178:
	ds_read_b64 v[20:21], v72
.LBB8_179:
	s_and_saveexec_b64 s[4:5], s[2:3]
	s_cbranch_execz .LBB8_183
; %bb.180:
	v_mov_b32_e32 v22, 0x58
	v_lshl_add_u32 v22, v0, 3, v22
	s_mov_b64 s[2:3], 0
.LBB8_181:                              ; =>This Inner Loop Header: Depth=1
	v_add_co_u32_e32 v0, vcc, 1, v0
	v_addc_co_u32_e32 v1, vcc, 0, v1, vcc
	v_cmp_eq_u32_e32 vcc, 1, v0
	v_cndmask_b32_e32 v25, v3, v5, vcc
	v_cmp_eq_u32_e64 s[0:1], 2, v0
	v_cndmask_b32_e64 v25, v25, v7, s[0:1]
	v_cndmask_b32_e32 v26, v2, v4, vcc
	v_cmp_eq_u32_e32 vcc, 3, v0
	v_cndmask_b32_e32 v25, v25, v9, vcc
	v_cndmask_b32_e64 v26, v26, v6, s[0:1]
	v_cmp_eq_u32_e64 s[0:1], 4, v0
	v_cndmask_b32_e64 v25, v25, v11, s[0:1]
	v_cndmask_b32_e32 v26, v26, v8, vcc
	v_cmp_eq_u32_e32 vcc, 5, v0
	ds_read_b64 v[23:24], v22
	v_cndmask_b32_e32 v25, v25, v13, vcc
	v_cndmask_b32_e64 v26, v26, v10, s[0:1]
	v_cmp_eq_u32_e64 s[0:1], 6, v0
	v_cndmask_b32_e64 v25, v25, v15, s[0:1]
	v_cndmask_b32_e32 v26, v26, v12, vcc
	v_cmp_eq_u32_e32 vcc, 7, v0
	v_cndmask_b32_e32 v25, v25, v17, vcc
	v_cndmask_b32_e64 v27, v26, v14, s[0:1]
	v_cmp_eq_u32_e64 s[0:1], 8, v0
	v_cndmask_b32_e64 v26, v25, v19, s[0:1]
	v_cndmask_b32_e32 v25, v27, v16, vcc
	v_cndmask_b32_e64 v25, v25, v18, s[0:1]
	s_waitcnt lgkmcnt(0)
	v_fma_f64 v[20:21], v[25:26], v[23:24], v[20:21]
	v_cmp_lt_u32_e32 vcc, 6, v0
	s_or_b64 s[2:3], vcc, s[2:3]
	v_add_u32_e32 v22, 8, v22
	s_andn2_b64 exec, exec, s[2:3]
	s_cbranch_execnz .LBB8_181
; %bb.182:
	s_or_b64 exec, exec, s[2:3]
.LBB8_183:
	s_or_b64 exec, exec, s[4:5]
	v_mov_b32_e32 v0, 0
	ds_read_b64 v[0:1], v0 offset:64
	s_waitcnt lgkmcnt(0)
	v_mul_f64 v[18:19], v[20:21], v[0:1]
.LBB8_184:
	s_or_b64 exec, exec, s[16:17]
	v_mov_b32_e32 v51, v33
	v_mov_b32_e32 v50, v32
	;; [unrolled: 1-line block ×32, first 2 shown]
.LBB8_185:
	global_store_dwordx2 v[66:67], v[20:21], off
	global_store_dwordx2 v[68:69], v[22:23], off
	;; [unrolled: 1-line block ×9, first 2 shown]
.LBB8_186:
	s_endpgm
	.section	.rodata,"a",@progbits
	.p2align	6, 0x0
	.amdhsa_kernel _ZN9rocsolver6v33100L18trti2_kernel_smallILi9EdPdEEv13rocblas_fill_17rocblas_diagonal_T1_iil
		.amdhsa_group_segment_fixed_size 152
		.amdhsa_private_segment_fixed_size 0
		.amdhsa_kernarg_size 32
		.amdhsa_user_sgpr_count 6
		.amdhsa_user_sgpr_private_segment_buffer 1
		.amdhsa_user_sgpr_dispatch_ptr 0
		.amdhsa_user_sgpr_queue_ptr 0
		.amdhsa_user_sgpr_kernarg_segment_ptr 1
		.amdhsa_user_sgpr_dispatch_id 0
		.amdhsa_user_sgpr_flat_scratch_init 0
		.amdhsa_user_sgpr_private_segment_size 0
		.amdhsa_uses_dynamic_stack 0
		.amdhsa_system_sgpr_private_segment_wavefront_offset 0
		.amdhsa_system_sgpr_workgroup_id_x 1
		.amdhsa_system_sgpr_workgroup_id_y 0
		.amdhsa_system_sgpr_workgroup_id_z 0
		.amdhsa_system_sgpr_workgroup_info 0
		.amdhsa_system_vgpr_workitem_id 0
		.amdhsa_next_free_vgpr 92
		.amdhsa_next_free_sgpr 24
		.amdhsa_reserve_vcc 1
		.amdhsa_reserve_flat_scratch 0
		.amdhsa_float_round_mode_32 0
		.amdhsa_float_round_mode_16_64 0
		.amdhsa_float_denorm_mode_32 3
		.amdhsa_float_denorm_mode_16_64 3
		.amdhsa_dx10_clamp 1
		.amdhsa_ieee_mode 1
		.amdhsa_fp16_overflow 0
		.amdhsa_exception_fp_ieee_invalid_op 0
		.amdhsa_exception_fp_denorm_src 0
		.amdhsa_exception_fp_ieee_div_zero 0
		.amdhsa_exception_fp_ieee_overflow 0
		.amdhsa_exception_fp_ieee_underflow 0
		.amdhsa_exception_fp_ieee_inexact 0
		.amdhsa_exception_int_div_zero 0
	.end_amdhsa_kernel
	.section	.text._ZN9rocsolver6v33100L18trti2_kernel_smallILi9EdPdEEv13rocblas_fill_17rocblas_diagonal_T1_iil,"axG",@progbits,_ZN9rocsolver6v33100L18trti2_kernel_smallILi9EdPdEEv13rocblas_fill_17rocblas_diagonal_T1_iil,comdat
.Lfunc_end8:
	.size	_ZN9rocsolver6v33100L18trti2_kernel_smallILi9EdPdEEv13rocblas_fill_17rocblas_diagonal_T1_iil, .Lfunc_end8-_ZN9rocsolver6v33100L18trti2_kernel_smallILi9EdPdEEv13rocblas_fill_17rocblas_diagonal_T1_iil
                                        ; -- End function
	.set _ZN9rocsolver6v33100L18trti2_kernel_smallILi9EdPdEEv13rocblas_fill_17rocblas_diagonal_T1_iil.num_vgpr, 92
	.set _ZN9rocsolver6v33100L18trti2_kernel_smallILi9EdPdEEv13rocblas_fill_17rocblas_diagonal_T1_iil.num_agpr, 0
	.set _ZN9rocsolver6v33100L18trti2_kernel_smallILi9EdPdEEv13rocblas_fill_17rocblas_diagonal_T1_iil.numbered_sgpr, 24
	.set _ZN9rocsolver6v33100L18trti2_kernel_smallILi9EdPdEEv13rocblas_fill_17rocblas_diagonal_T1_iil.num_named_barrier, 0
	.set _ZN9rocsolver6v33100L18trti2_kernel_smallILi9EdPdEEv13rocblas_fill_17rocblas_diagonal_T1_iil.private_seg_size, 0
	.set _ZN9rocsolver6v33100L18trti2_kernel_smallILi9EdPdEEv13rocblas_fill_17rocblas_diagonal_T1_iil.uses_vcc, 1
	.set _ZN9rocsolver6v33100L18trti2_kernel_smallILi9EdPdEEv13rocblas_fill_17rocblas_diagonal_T1_iil.uses_flat_scratch, 0
	.set _ZN9rocsolver6v33100L18trti2_kernel_smallILi9EdPdEEv13rocblas_fill_17rocblas_diagonal_T1_iil.has_dyn_sized_stack, 0
	.set _ZN9rocsolver6v33100L18trti2_kernel_smallILi9EdPdEEv13rocblas_fill_17rocblas_diagonal_T1_iil.has_recursion, 0
	.set _ZN9rocsolver6v33100L18trti2_kernel_smallILi9EdPdEEv13rocblas_fill_17rocblas_diagonal_T1_iil.has_indirect_call, 0
	.section	.AMDGPU.csdata,"",@progbits
; Kernel info:
; codeLenInByte = 11716
; TotalNumSgprs: 28
; NumVgprs: 92
; ScratchSize: 0
; MemoryBound: 0
; FloatMode: 240
; IeeeMode: 1
; LDSByteSize: 152 bytes/workgroup (compile time only)
; SGPRBlocks: 3
; VGPRBlocks: 22
; NumSGPRsForWavesPerEU: 28
; NumVGPRsForWavesPerEU: 92
; Occupancy: 2
; WaveLimiterHint : 0
; COMPUTE_PGM_RSRC2:SCRATCH_EN: 0
; COMPUTE_PGM_RSRC2:USER_SGPR: 6
; COMPUTE_PGM_RSRC2:TRAP_HANDLER: 0
; COMPUTE_PGM_RSRC2:TGID_X_EN: 1
; COMPUTE_PGM_RSRC2:TGID_Y_EN: 0
; COMPUTE_PGM_RSRC2:TGID_Z_EN: 0
; COMPUTE_PGM_RSRC2:TIDIG_COMP_CNT: 0
	.section	.text._ZN9rocsolver6v33100L18trti2_kernel_smallILi10EdPdEEv13rocblas_fill_17rocblas_diagonal_T1_iil,"axG",@progbits,_ZN9rocsolver6v33100L18trti2_kernel_smallILi10EdPdEEv13rocblas_fill_17rocblas_diagonal_T1_iil,comdat
	.globl	_ZN9rocsolver6v33100L18trti2_kernel_smallILi10EdPdEEv13rocblas_fill_17rocblas_diagonal_T1_iil ; -- Begin function _ZN9rocsolver6v33100L18trti2_kernel_smallILi10EdPdEEv13rocblas_fill_17rocblas_diagonal_T1_iil
	.p2align	8
	.type	_ZN9rocsolver6v33100L18trti2_kernel_smallILi10EdPdEEv13rocblas_fill_17rocblas_diagonal_T1_iil,@function
_ZN9rocsolver6v33100L18trti2_kernel_smallILi10EdPdEEv13rocblas_fill_17rocblas_diagonal_T1_iil: ; @_ZN9rocsolver6v33100L18trti2_kernel_smallILi10EdPdEEv13rocblas_fill_17rocblas_diagonal_T1_iil
; %bb.0:
	v_cmp_gt_u32_e32 vcc, 10, v0
	s_and_saveexec_b64 s[0:1], vcc
	s_cbranch_execz .LBB9_224
; %bb.1:
	s_load_dwordx8 s[20:27], s[4:5], 0x0
	s_ashr_i32 s2, s6, 31
	v_lshlrev_b32_e32 v24, 3, v0
	v_mov_b32_e32 v22, 0
	v_mov_b32_e32 v23, 0xbff00000
	s_waitcnt lgkmcnt(0)
	s_mul_hi_u32 s3, s26, s6
	s_mul_i32 s2, s26, s2
	s_add_i32 s2, s3, s2
	s_mul_i32 s3, s27, s6
	s_add_i32 s3, s2, s3
	s_mul_i32 s2, s26, s6
	s_ashr_i32 s1, s24, 31
	s_lshl_b64 s[2:3], s[2:3], 3
	s_mov_b32 s0, s24
	s_add_u32 s2, s22, s2
	s_addc_u32 s3, s23, s3
	s_lshl_b64 s[0:1], s[0:1], 3
	s_add_u32 s0, s2, s0
	s_addc_u32 s1, s3, s1
	s_add_i32 s2, s25, s25
	v_add_u32_e32 v1, s2, v0
	v_ashrrev_i32_e32 v2, 31, v1
	v_lshlrev_b64 v[2:3], 3, v[1:2]
	v_add_u32_e32 v1, s25, v1
	v_mov_b32_e32 v4, s1
	v_add_co_u32_e32 v54, vcc, s0, v2
	v_ashrrev_i32_e32 v2, 31, v1
	v_addc_co_u32_e32 v55, vcc, v4, v3, vcc
	v_lshlrev_b64 v[2:3], 3, v[1:2]
	v_add_u32_e32 v1, s25, v1
	v_add_co_u32_e32 v56, vcc, s0, v2
	v_ashrrev_i32_e32 v2, 31, v1
	v_addc_co_u32_e32 v57, vcc, v4, v3, vcc
	v_lshlrev_b64 v[2:3], 3, v[1:2]
	v_add_u32_e32 v1, s25, v1
	;; [unrolled: 5-line block ×6, first 2 shown]
	v_add_co_u32_e32 v66, vcc, s0, v2
	v_ashrrev_i32_e32 v2, 31, v1
	v_lshlrev_b64 v[1:2], 3, v[1:2]
	v_addc_co_u32_e32 v67, vcc, v4, v3, vcc
	v_mov_b32_e32 v3, s1
	v_add_co_u32_e32 v68, vcc, s0, v1
	v_addc_co_u32_e32 v69, vcc, v3, v2, vcc
	v_mov_b32_e32 v1, s1
	v_add_co_u32_e32 v70, vcc, s0, v24
	s_ashr_i32 s3, s25, 31
	s_mov_b32 s2, s25
	v_addc_co_u32_e32 v71, vcc, 0, v1, vcc
	s_lshl_b64 s[2:3], s[2:3], 3
	v_mov_b32_e32 v1, s3
	v_add_co_u32_e32 v72, vcc, s2, v70
	v_addc_co_u32_e32 v73, vcc, v71, v1, vcc
	global_load_dwordx2 v[4:5], v[72:73], off
	global_load_dwordx2 v[6:7], v[54:55], off
	;; [unrolled: 1-line block ×8, first 2 shown]
	global_load_dwordx2 v[2:3], v24, s[0:1]
	global_load_dwordx2 v[20:21], v[68:69], off
	s_cmpk_lg_i32 s21, 0x84
	s_cselect_b64 s[22:23], -1, 0
	s_cmpk_eq_i32 s21, 0x84
	v_mov_b32_e32 v1, 0
	s_cbranch_scc1 .LBB9_3
; %bb.2:
	v_cmp_eq_u32_e64 s[0:1], 1, v0
	s_waitcnt vmcnt(1)
	v_cndmask_b32_e64 v22, v3, v5, s[0:1]
	v_cmp_eq_u32_e64 s[2:3], 2, v0
	v_cndmask_b32_e64 v22, v22, v7, s[2:3]
	v_cmp_eq_u32_e64 s[4:5], 3, v0
	v_cndmask_b32_e64 v22, v22, v9, s[4:5]
	v_cmp_eq_u32_e64 s[6:7], 4, v0
	v_cndmask_b32_e64 v22, v22, v11, s[6:7]
	v_cmp_eq_u32_e64 s[8:9], 5, v0
	v_cndmask_b32_e64 v22, v22, v13, s[8:9]
	v_cmp_eq_u32_e64 s[10:11], 6, v0
	v_cndmask_b32_e64 v22, v22, v15, s[10:11]
	v_cmp_eq_u32_e64 s[12:13], 7, v0
	v_cndmask_b32_e64 v22, v22, v17, s[12:13]
	v_cmp_eq_u32_e64 s[14:15], 8, v0
	v_cndmask_b32_e64 v22, v22, v19, s[14:15]
	v_cmp_eq_u32_e64 s[16:17], 9, v0
	s_waitcnt vmcnt(0)
	v_cndmask_b32_e64 v23, v22, v21, s[16:17]
	v_cndmask_b32_e64 v22, v2, v4, s[0:1]
	v_cndmask_b32_e64 v22, v22, v6, s[2:3]
	v_cndmask_b32_e64 v22, v22, v8, s[4:5]
	v_cndmask_b32_e64 v22, v22, v10, s[6:7]
	v_cndmask_b32_e64 v22, v22, v12, s[8:9]
	v_cndmask_b32_e64 v22, v22, v14, s[10:11]
	v_cndmask_b32_e64 v22, v22, v16, s[12:13]
	v_cndmask_b32_e64 v22, v22, v18, s[14:15]
	v_cndmask_b32_e64 v22, v22, v20, s[16:17]
	v_div_scale_f64 v[25:26], s[18:19], v[22:23], v[22:23], 1.0
	v_rcp_f64_e32 v[27:28], v[25:26]
	v_fma_f64 v[29:30], -v[25:26], v[27:28], 1.0
	v_fma_f64 v[27:28], v[27:28], v[29:30], v[27:28]
	v_div_scale_f64 v[29:30], vcc, 1.0, v[22:23], 1.0
	v_fma_f64 v[31:32], -v[25:26], v[27:28], 1.0
	v_fma_f64 v[27:28], v[27:28], v[31:32], v[27:28]
	v_mul_f64 v[31:32], v[29:30], v[27:28]
	v_fma_f64 v[25:26], -v[25:26], v[31:32], v[29:30]
	v_div_fmas_f64 v[25:26], v[25:26], v[27:28], v[31:32]
	v_cmp_eq_u32_e32 vcc, 0, v0
	v_div_fixup_f64 v[22:23], v[25:26], v[22:23], 1.0
	v_cndmask_b32_e64 v21, v21, v23, s[16:17]
	v_cndmask_b32_e64 v20, v20, v22, s[16:17]
	;; [unrolled: 1-line block ×18, first 2 shown]
	v_cndmask_b32_e32 v3, v3, v23, vcc
	v_cndmask_b32_e32 v2, v2, v22, vcc
	v_xor_b32_e32 v23, 0x80000000, v23
.LBB9_3:
	s_cmpk_eq_i32 s20, 0x79
	v_add_u32_e32 v76, 0x50, v24
	ds_write_b64 v24, v[22:23]
	s_cbranch_scc1 .LBB9_7
; %bb.4:
	s_waitcnt vmcnt(0)
	v_mov_b32_e32 v53, v33
	v_mov_b32_e32 v52, v32
	;; [unrolled: 1-line block ×32, first 2 shown]
	v_cmp_eq_u32_e64 s[0:1], 9, v0
	ds_write_b64 v76, v[18:19]
	s_waitcnt lgkmcnt(0)
	; wave barrier
	s_and_saveexec_b64 s[18:19], s[0:1]
	s_cbranch_execz .LBB9_11
; %bb.5:
	s_and_b64 vcc, exec, s[22:23]
	s_cbranch_vccz .LBB9_8
; %bb.6:
	v_cmp_eq_u32_e32 vcc, 1, v0
	v_cndmask_b32_e32 v22, v3, v5, vcc
	v_cmp_eq_u32_e64 s[2:3], 2, v0
	v_cndmask_b32_e64 v22, v22, v7, s[2:3]
	v_cmp_eq_u32_e64 s[4:5], 3, v0
	v_cndmask_b32_e64 v22, v22, v9, s[4:5]
	;; [unrolled: 2-line block ×8, first 2 shown]
	v_cndmask_b32_e32 v22, v2, v4, vcc
	v_cndmask_b32_e64 v22, v22, v6, s[2:3]
	v_cndmask_b32_e64 v22, v22, v8, s[4:5]
	;; [unrolled: 1-line block ×4, first 2 shown]
	ds_read_b64 v[24:25], v76
	v_cndmask_b32_e64 v22, v22, v14, s[10:11]
	v_cndmask_b32_e64 v22, v22, v16, s[12:13]
	;; [unrolled: 1-line block ×4, first 2 shown]
	s_waitcnt lgkmcnt(0)
	v_mul_f64 v[26:27], v[22:23], v[24:25]
	s_cbranch_execz .LBB9_9
	s_branch .LBB9_10
.LBB9_7:
                                        ; implicit-def: $vgpr22_vgpr23_vgpr24_vgpr25_vgpr26_vgpr27_vgpr28_vgpr29_vgpr30_vgpr31_vgpr32_vgpr33_vgpr34_vgpr35_vgpr36_vgpr37_vgpr38_vgpr39_vgpr40_vgpr41_vgpr42_vgpr43_vgpr44_vgpr45_vgpr46_vgpr47_vgpr48_vgpr49_vgpr50_vgpr51_vgpr52_vgpr53
	s_cbranch_execnz .LBB9_130
	s_branch .LBB9_223
.LBB9_8:
                                        ; implicit-def: $vgpr26_vgpr27
.LBB9_9:
	ds_read_b64 v[26:27], v76
.LBB9_10:
	v_mov_b32_e32 v22, 0
	ds_read_b64 v[28:29], v22 offset:64
	v_mov_b32_e32 v22, v2
	v_mov_b32_e32 v23, v3
	;; [unrolled: 1-line block ×4, first 2 shown]
	s_waitcnt lgkmcnt(0)
	v_mul_f64 v[38:39], v[26:27], v[28:29]
	v_mov_b32_e32 v26, v6
	v_mov_b32_e32 v27, v7
	;; [unrolled: 1-line block ×14, first 2 shown]
.LBB9_11:
	s_or_b64 exec, exec, s[18:19]
	v_cmp_lt_u32_e64 s[2:3], 7, v0
	ds_write_b64 v76, v[36:37]
	s_waitcnt lgkmcnt(0)
	; wave barrier
	s_and_saveexec_b64 s[20:21], s[2:3]
	s_cbranch_execz .LBB9_17
; %bb.12:
	s_andn2_b64 vcc, exec, s[22:23]
	s_cbranch_vccnz .LBB9_14
; %bb.13:
	v_cmp_eq_u32_e32 vcc, 1, v0
	v_cndmask_b32_e32 v42, v23, v25, vcc
	v_cmp_eq_u32_e64 s[4:5], 2, v0
	v_cndmask_b32_e64 v42, v42, v27, s[4:5]
	v_cmp_eq_u32_e64 s[6:7], 3, v0
	v_cndmask_b32_e64 v42, v42, v29, s[6:7]
	;; [unrolled: 2-line block ×6, first 2 shown]
	v_cndmask_b32_e32 v42, v22, v24, vcc
	v_cndmask_b32_e64 v42, v42, v26, s[4:5]
	v_cndmask_b32_e64 v42, v42, v28, s[6:7]
	;; [unrolled: 1-line block ×4, first 2 shown]
	ds_read_b64 v[42:43], v76
	v_cndmask_b32_e64 v44, v44, v34, s[12:13]
	v_cmp_eq_u32_e64 s[16:17], 8, v0
	v_cndmask_b32_e64 v36, v44, v36, s[14:15]
	v_cndmask_b32_e64 v37, v37, v39, s[16:17]
	v_cmp_eq_u32_e64 s[18:19], 9, v0
	v_cndmask_b32_e64 v36, v36, v38, s[16:17]
	v_cndmask_b32_e64 v37, v37, v41, s[18:19]
	;; [unrolled: 1-line block ×3, first 2 shown]
	s_waitcnt lgkmcnt(0)
	v_mul_f64 v[36:37], v[36:37], v[42:43]
	s_cbranch_execz .LBB9_15
	s_branch .LBB9_16
.LBB9_14:
                                        ; implicit-def: $vgpr36_vgpr37
.LBB9_15:
	ds_read_b64 v[36:37], v76
.LBB9_16:
	v_mov_b32_e32 v42, 0
	ds_read2_b64 v[42:45], v42 offset0:7 offset1:18
	s_waitcnt lgkmcnt(0)
	v_fma_f64 v[44:45], v[38:39], v[44:45], v[36:37]
	v_cndmask_b32_e64 v37, v37, v45, s[0:1]
	v_cndmask_b32_e64 v36, v36, v44, s[0:1]
	v_mul_f64 v[36:37], v[36:37], v[42:43]
.LBB9_17:
	s_or_b64 exec, exec, s[20:21]
	v_cmp_lt_u32_e64 s[0:1], 6, v0
	ds_write_b64 v76, v[34:35]
	s_waitcnt lgkmcnt(0)
	; wave barrier
	s_and_saveexec_b64 s[20:21], s[0:1]
	s_cbranch_execz .LBB9_33
; %bb.18:
	s_andn2_b64 vcc, exec, s[22:23]
	s_cbranch_vccnz .LBB9_20
; %bb.19:
	v_cmp_eq_u32_e32 vcc, 1, v0
	v_cndmask_b32_e32 v74, v23, v25, vcc
	v_cmp_eq_u32_e64 s[4:5], 2, v0
	v_cndmask_b32_e64 v74, v74, v27, s[4:5]
	v_cmp_eq_u32_e64 s[6:7], 3, v0
	v_cndmask_b32_e64 v74, v74, v29, s[6:7]
	;; [unrolled: 2-line block ×8, first 2 shown]
	v_cndmask_b32_e32 v74, v22, v24, vcc
	v_cndmask_b32_e64 v74, v74, v26, s[4:5]
	v_cndmask_b32_e64 v74, v74, v28, s[6:7]
	v_cndmask_b32_e64 v74, v74, v30, s[8:9]
	v_cndmask_b32_e64 v74, v74, v32, s[10:11]
	ds_read_b64 v[77:78], v76
	v_cndmask_b32_e64 v74, v74, v34, s[12:13]
	v_cndmask_b32_e64 v74, v74, v36, s[14:15]
	;; [unrolled: 1-line block ×4, first 2 shown]
	s_waitcnt lgkmcnt(0)
	v_mul_f64 v[74:75], v[74:75], v[77:78]
	s_cbranch_execz .LBB9_21
	s_branch .LBB9_22
.LBB9_20:
                                        ; implicit-def: $vgpr74_vgpr75
.LBB9_21:
	ds_read_b64 v[74:75], v76
.LBB9_22:
	s_and_saveexec_b64 s[4:5], s[2:3]
	s_cbranch_execz .LBB9_32
; %bb.23:
	v_add_u32_e32 v78, -8, v0
	v_add_u32_e32 v77, -7, v0
	v_cmp_lt_u32_e32 vcc, 6, v78
	v_mov_b32_e32 v78, 7
	s_and_saveexec_b64 s[2:3], vcc
	s_cbranch_execz .LBB9_27
; %bb.24:
	v_and_b32_e32 v78, -8, v77
	v_sub_u32_e32 v79, 0, v78
	s_mov_b64 s[6:7], 14
	s_movk_i32 s10, 0x88
	s_mov_b64 s[8:9], 0
.LBB9_25:                               ; =>This Inner Loop Header: Depth=1
	s_lshl_b32 s11, s6, 1
	s_add_i32 s12, s11, -13
	v_mov_b32_e32 v78, s10
	s_add_i32 s13, s11, -14
	s_set_gpr_idx_on s12, gpr_idx(SRC0)
	v_mov_b32_e32 v85, v22
	s_set_gpr_idx_off
	s_set_gpr_idx_on s13, gpr_idx(SRC0)
	v_mov_b32_e32 v84, v22
	s_set_gpr_idx_off
	ds_read2_b64 v[80:83], v78 offset1:1
	s_add_i32 s12, s11, -11
	s_add_i32 s13, s11, -12
	;; [unrolled: 1-line block ×4, first 2 shown]
	s_waitcnt lgkmcnt(0)
	v_fma_f64 v[74:75], v[84:85], v[80:81], v[74:75]
	s_set_gpr_idx_on s12, gpr_idx(SRC0)
	v_mov_b32_e32 v81, v22
	s_set_gpr_idx_off
	s_set_gpr_idx_on s13, gpr_idx(SRC0)
	v_mov_b32_e32 v80, v22
	s_set_gpr_idx_off
	s_add_i32 s12, s11, -7
	s_add_i32 s13, s11, -8
	v_fma_f64 v[74:75], v[80:81], v[82:83], v[74:75]
	s_set_gpr_idx_on s14, gpr_idx(SRC0)
	v_mov_b32_e32 v85, v22
	s_set_gpr_idx_off
	s_set_gpr_idx_on s15, gpr_idx(SRC0)
	v_mov_b32_e32 v84, v22
	s_set_gpr_idx_off
	ds_read2_b64 v[80:83], v78 offset0:2 offset1:3
	s_add_i32 s14, s11, -5
	s_add_i32 s15, s11, -6
	s_waitcnt lgkmcnt(0)
	v_fma_f64 v[74:75], v[84:85], v[80:81], v[74:75]
	s_set_gpr_idx_on s12, gpr_idx(SRC0)
	v_mov_b32_e32 v81, v22
	s_set_gpr_idx_off
	s_set_gpr_idx_on s13, gpr_idx(SRC0)
	v_mov_b32_e32 v80, v22
	s_set_gpr_idx_off
	s_add_i32 s12, s11, -3
	s_add_i32 s13, s11, -4
	v_fma_f64 v[74:75], v[80:81], v[82:83], v[74:75]
	s_set_gpr_idx_on s14, gpr_idx(SRC0)
	v_mov_b32_e32 v85, v22
	s_set_gpr_idx_off
	s_set_gpr_idx_on s15, gpr_idx(SRC0)
	v_mov_b32_e32 v84, v22
	s_set_gpr_idx_off
	ds_read2_b64 v[80:83], v78 offset0:4 offset1:5
	s_add_i32 s14, s11, -1
	s_add_i32 s15, s11, -2
	s_add_u32 s6, s6, 8
	s_addc_u32 s7, s7, 0
	s_waitcnt lgkmcnt(0)
	v_fma_f64 v[74:75], v[84:85], v[80:81], v[74:75]
	s_set_gpr_idx_on s12, gpr_idx(SRC0)
	v_mov_b32_e32 v81, v22
	s_set_gpr_idx_off
	s_set_gpr_idx_on s13, gpr_idx(SRC0)
	v_mov_b32_e32 v80, v22
	s_set_gpr_idx_off
	s_add_i32 s10, s10, 64
	v_fma_f64 v[74:75], v[80:81], v[82:83], v[74:75]
	s_set_gpr_idx_on s14, gpr_idx(SRC0)
	v_mov_b32_e32 v85, v22
	s_set_gpr_idx_off
	s_set_gpr_idx_on s15, gpr_idx(SRC0)
	v_mov_b32_e32 v84, v22
	s_set_gpr_idx_off
	ds_read2_b64 v[80:83], v78 offset0:6 offset1:7
	v_add_u32_e32 v78, s6, v79
	v_cmp_eq_u32_e32 vcc, 14, v78
	s_waitcnt lgkmcnt(0)
	v_fma_f64 v[74:75], v[84:85], v[80:81], v[74:75]
	s_set_gpr_idx_on s11, gpr_idx(SRC0)
	v_mov_b32_e32 v81, v23
	v_mov_b32_e32 v80, v22
	s_set_gpr_idx_off
	s_add_i32 s11, s6, -7
	s_or_b64 s[8:9], vcc, s[8:9]
	v_mov_b32_e32 v78, s11
	v_fma_f64 v[74:75], v[80:81], v[82:83], v[74:75]
	s_andn2_b64 exec, exec, s[8:9]
	s_cbranch_execnz .LBB9_25
; %bb.26:
	s_or_b64 exec, exec, s[8:9]
.LBB9_27:
	s_or_b64 exec, exec, s[2:3]
	v_and_b32_e32 v42, 7, v77
	v_cmp_ne_u32_e32 vcc, 0, v42
	s_and_saveexec_b64 s[6:7], vcc
	s_cbranch_execz .LBB9_31
; %bb.28:
	v_mov_b32_e32 v43, 0x50
	v_lshl_add_u32 v43, v78, 3, v43
	v_mov_b32_e32 v44, 0
	s_mov_b64 s[8:9], 0
.LBB9_29:                               ; =>This Inner Loop Header: Depth=1
	v_cmp_eq_u32_e32 vcc, 1, v78
	v_cndmask_b32_e32 v47, v23, v25, vcc
	v_cmp_eq_u32_e64 s[2:3], 2, v78
	v_cndmask_b32_e64 v47, v47, v27, s[2:3]
	v_cndmask_b32_e32 v48, v22, v24, vcc
	v_cmp_eq_u32_e32 vcc, 3, v78
	v_cndmask_b32_e32 v47, v47, v29, vcc
	v_cndmask_b32_e64 v48, v48, v26, s[2:3]
	v_cmp_eq_u32_e64 s[2:3], 4, v78
	v_cndmask_b32_e64 v47, v47, v31, s[2:3]
	v_cndmask_b32_e32 v48, v48, v28, vcc
	v_cmp_eq_u32_e32 vcc, 5, v78
	v_cndmask_b32_e32 v47, v47, v33, vcc
	v_cndmask_b32_e64 v48, v48, v30, s[2:3]
	v_cmp_eq_u32_e64 s[2:3], 6, v78
	ds_read_b64 v[45:46], v43
	v_cndmask_b32_e64 v47, v47, v35, s[2:3]
	v_cndmask_b32_e32 v48, v48, v32, vcc
	v_cmp_eq_u32_e32 vcc, 7, v78
	v_cndmask_b32_e32 v47, v47, v37, vcc
	v_cndmask_b32_e64 v48, v48, v34, s[2:3]
	v_cmp_eq_u32_e64 s[2:3], 8, v78
	v_cndmask_b32_e64 v47, v47, v39, s[2:3]
	v_cndmask_b32_e32 v49, v48, v36, vcc
	v_cmp_eq_u32_e32 vcc, 9, v78
	v_cndmask_b32_e32 v48, v47, v41, vcc
	v_cndmask_b32_e64 v47, v49, v38, s[2:3]
	v_cndmask_b32_e32 v47, v47, v40, vcc
	s_waitcnt lgkmcnt(0)
	v_fma_f64 v[74:75], v[47:48], v[45:46], v[74:75]
	v_add_u32_e32 v42, -1, v42
	v_cmp_eq_u32_e32 vcc, 0, v42
	s_or_b64 s[8:9], vcc, s[8:9]
	v_add_co_u32_e32 v78, vcc, 1, v78
	v_add_u32_e32 v43, 8, v43
	v_addc_co_u32_e32 v44, vcc, 0, v44, vcc
	s_andn2_b64 exec, exec, s[8:9]
	s_cbranch_execnz .LBB9_29
; %bb.30:
	s_or_b64 exec, exec, s[8:9]
.LBB9_31:
	s_or_b64 exec, exec, s[6:7]
.LBB9_32:
	s_or_b64 exec, exec, s[4:5]
	v_mov_b32_e32 v34, 0
	ds_read_b64 v[34:35], v34 offset:48
	s_waitcnt lgkmcnt(0)
	v_mul_f64 v[34:35], v[74:75], v[34:35]
.LBB9_33:
	s_or_b64 exec, exec, s[20:21]
	v_cmp_lt_u32_e64 s[2:3], 5, v0
	ds_write_b64 v76, v[32:33]
	s_waitcnt lgkmcnt(0)
	; wave barrier
	s_and_saveexec_b64 s[20:21], s[2:3]
	s_cbranch_execz .LBB9_49
; %bb.34:
	s_andn2_b64 vcc, exec, s[22:23]
	s_cbranch_vccnz .LBB9_36
; %bb.35:
	v_cmp_eq_u32_e32 vcc, 1, v0
	v_cndmask_b32_e32 v74, v23, v25, vcc
	v_cmp_eq_u32_e64 s[4:5], 2, v0
	v_cndmask_b32_e64 v74, v74, v27, s[4:5]
	v_cmp_eq_u32_e64 s[6:7], 3, v0
	v_cndmask_b32_e64 v74, v74, v29, s[6:7]
	;; [unrolled: 2-line block ×8, first 2 shown]
	v_cndmask_b32_e32 v74, v22, v24, vcc
	v_cndmask_b32_e64 v74, v74, v26, s[4:5]
	v_cndmask_b32_e64 v74, v74, v28, s[6:7]
	;; [unrolled: 1-line block ×4, first 2 shown]
	ds_read_b64 v[77:78], v76
	v_cndmask_b32_e64 v74, v74, v34, s[12:13]
	v_cndmask_b32_e64 v74, v74, v36, s[14:15]
	;; [unrolled: 1-line block ×4, first 2 shown]
	s_waitcnt lgkmcnt(0)
	v_mul_f64 v[74:75], v[74:75], v[77:78]
	s_cbranch_execz .LBB9_37
	s_branch .LBB9_38
.LBB9_36:
                                        ; implicit-def: $vgpr74_vgpr75
.LBB9_37:
	ds_read_b64 v[74:75], v76
.LBB9_38:
	s_and_saveexec_b64 s[4:5], s[0:1]
	s_cbranch_execz .LBB9_48
; %bb.39:
	v_add_u32_e32 v79, -7, v0
	v_add_u32_e32 v77, -6, v0
	v_mov_b32_e32 v78, 6
	v_cmp_lt_u32_e32 vcc, 6, v79
	s_and_saveexec_b64 s[0:1], vcc
	s_cbranch_execz .LBB9_43
; %bb.40:
	v_and_b32_e32 v78, -8, v77
	v_sub_u32_e32 v79, 0, v78
	s_mov_b64 s[6:7], 13
	s_movk_i32 s10, 0x80
	s_mov_b64 s[8:9], 0
.LBB9_41:                               ; =>This Inner Loop Header: Depth=1
	s_lshl_b32 s11, s6, 1
	s_add_i32 s12, s11, -13
	v_mov_b32_e32 v78, s10
	s_add_i32 s13, s11, -14
	s_set_gpr_idx_on s12, gpr_idx(SRC0)
	v_mov_b32_e32 v89, v22
	s_set_gpr_idx_off
	s_set_gpr_idx_on s13, gpr_idx(SRC0)
	v_mov_b32_e32 v88, v22
	s_set_gpr_idx_off
	ds_read_b128 v[80:83], v78
	ds_read_b128 v[84:87], v78 offset:16
	s_add_i32 s12, s11, -11
	s_add_i32 s13, s11, -12
	s_waitcnt lgkmcnt(1)
	v_fma_f64 v[74:75], v[88:89], v[80:81], v[74:75]
	ds_read_b128 v[88:91], v78 offset:32
	ds_read_b128 v[92:95], v78 offset:48
	s_set_gpr_idx_on s12, gpr_idx(SRC0)
	v_mov_b32_e32 v81, v22
	s_set_gpr_idx_off
	s_set_gpr_idx_on s13, gpr_idx(SRC0)
	v_mov_b32_e32 v80, v22
	s_set_gpr_idx_off
	s_add_i32 s12, s11, -9
	s_add_i32 s13, s11, -10
	v_fma_f64 v[74:75], v[80:81], v[82:83], v[74:75]
	s_set_gpr_idx_on s12, gpr_idx(SRC0)
	v_mov_b32_e32 v81, v22
	s_set_gpr_idx_off
	s_set_gpr_idx_on s13, gpr_idx(SRC0)
	v_mov_b32_e32 v80, v22
	s_set_gpr_idx_off
	s_add_i32 s12, s11, -7
	s_add_i32 s13, s11, -8
	s_waitcnt lgkmcnt(2)
	v_fma_f64 v[74:75], v[80:81], v[84:85], v[74:75]
	s_set_gpr_idx_on s12, gpr_idx(SRC0)
	v_mov_b32_e32 v81, v22
	s_set_gpr_idx_off
	s_set_gpr_idx_on s13, gpr_idx(SRC0)
	v_mov_b32_e32 v80, v22
	s_set_gpr_idx_off
	s_add_i32 s12, s11, -5
	s_add_i32 s13, s11, -6
	v_fma_f64 v[74:75], v[80:81], v[86:87], v[74:75]
	s_set_gpr_idx_on s12, gpr_idx(SRC0)
	v_mov_b32_e32 v81, v22
	s_set_gpr_idx_off
	s_set_gpr_idx_on s13, gpr_idx(SRC0)
	v_mov_b32_e32 v80, v22
	s_set_gpr_idx_off
	s_add_i32 s12, s11, -3
	s_add_i32 s13, s11, -4
	s_waitcnt lgkmcnt(1)
	v_fma_f64 v[74:75], v[80:81], v[88:89], v[74:75]
	s_set_gpr_idx_on s12, gpr_idx(SRC0)
	v_mov_b32_e32 v81, v22
	s_set_gpr_idx_off
	s_set_gpr_idx_on s13, gpr_idx(SRC0)
	v_mov_b32_e32 v80, v22
	s_set_gpr_idx_off
	s_add_i32 s12, s11, -1
	s_add_i32 s13, s11, -2
	s_add_u32 s6, s6, 8
	v_add_u32_e32 v78, s6, v79
	s_addc_u32 s7, s7, 0
	v_fma_f64 v[74:75], v[80:81], v[90:91], v[74:75]
	s_set_gpr_idx_on s12, gpr_idx(SRC0)
	v_mov_b32_e32 v81, v22
	s_set_gpr_idx_off
	s_set_gpr_idx_on s13, gpr_idx(SRC0)
	v_mov_b32_e32 v80, v22
	s_set_gpr_idx_off
	s_add_i32 s10, s10, 64
	v_cmp_eq_u32_e32 vcc, 13, v78
	s_waitcnt lgkmcnt(0)
	v_fma_f64 v[74:75], v[80:81], v[92:93], v[74:75]
	s_set_gpr_idx_on s11, gpr_idx(SRC0)
	v_mov_b32_e32 v81, v23
	v_mov_b32_e32 v80, v22
	s_set_gpr_idx_off
	s_add_i32 s11, s6, -7
	s_or_b64 s[8:9], vcc, s[8:9]
	v_mov_b32_e32 v78, s11
	v_fma_f64 v[74:75], v[80:81], v[94:95], v[74:75]
	s_andn2_b64 exec, exec, s[8:9]
	s_cbranch_execnz .LBB9_41
; %bb.42:
	s_or_b64 exec, exec, s[8:9]
.LBB9_43:
	s_or_b64 exec, exec, s[0:1]
	v_and_b32_e32 v42, 7, v77
	v_cmp_ne_u32_e32 vcc, 0, v42
	s_and_saveexec_b64 s[6:7], vcc
	s_cbranch_execz .LBB9_47
; %bb.44:
	v_mov_b32_e32 v43, 0x50
	v_lshl_add_u32 v43, v78, 3, v43
	v_mov_b32_e32 v44, 0
	s_mov_b64 s[8:9], 0
.LBB9_45:                               ; =>This Inner Loop Header: Depth=1
	v_cmp_eq_u32_e32 vcc, 1, v78
	v_cndmask_b32_e32 v47, v23, v25, vcc
	v_cmp_eq_u32_e64 s[0:1], 2, v78
	v_cndmask_b32_e64 v47, v47, v27, s[0:1]
	v_cndmask_b32_e32 v48, v22, v24, vcc
	v_cmp_eq_u32_e32 vcc, 3, v78
	v_cndmask_b32_e32 v47, v47, v29, vcc
	v_cndmask_b32_e64 v48, v48, v26, s[0:1]
	v_cmp_eq_u32_e64 s[0:1], 4, v78
	v_cndmask_b32_e64 v47, v47, v31, s[0:1]
	v_cndmask_b32_e32 v48, v48, v28, vcc
	v_cmp_eq_u32_e32 vcc, 5, v78
	v_cndmask_b32_e32 v47, v47, v33, vcc
	v_cndmask_b32_e64 v48, v48, v30, s[0:1]
	v_cmp_eq_u32_e64 s[0:1], 6, v78
	ds_read_b64 v[45:46], v43
	v_cndmask_b32_e64 v47, v47, v35, s[0:1]
	v_cndmask_b32_e32 v48, v48, v32, vcc
	v_cmp_eq_u32_e32 vcc, 7, v78
	v_cndmask_b32_e32 v47, v47, v37, vcc
	v_cndmask_b32_e64 v48, v48, v34, s[0:1]
	v_cmp_eq_u32_e64 s[0:1], 8, v78
	v_cndmask_b32_e64 v47, v47, v39, s[0:1]
	v_cndmask_b32_e32 v49, v48, v36, vcc
	v_cmp_eq_u32_e32 vcc, 9, v78
	v_cndmask_b32_e32 v48, v47, v41, vcc
	v_cndmask_b32_e64 v47, v49, v38, s[0:1]
	v_cndmask_b32_e32 v47, v47, v40, vcc
	s_waitcnt lgkmcnt(0)
	v_fma_f64 v[74:75], v[47:48], v[45:46], v[74:75]
	v_add_u32_e32 v42, -1, v42
	v_cmp_eq_u32_e32 vcc, 0, v42
	s_or_b64 s[8:9], vcc, s[8:9]
	v_add_co_u32_e32 v78, vcc, 1, v78
	v_add_u32_e32 v43, 8, v43
	v_addc_co_u32_e32 v44, vcc, 0, v44, vcc
	s_andn2_b64 exec, exec, s[8:9]
	s_cbranch_execnz .LBB9_45
; %bb.46:
	s_or_b64 exec, exec, s[8:9]
.LBB9_47:
	s_or_b64 exec, exec, s[6:7]
.LBB9_48:
	s_or_b64 exec, exec, s[4:5]
	v_mov_b32_e32 v32, 0
	ds_read_b64 v[32:33], v32 offset:40
	s_waitcnt lgkmcnt(0)
	v_mul_f64 v[32:33], v[74:75], v[32:33]
.LBB9_49:
	s_or_b64 exec, exec, s[20:21]
	v_cmp_lt_u32_e64 s[0:1], 4, v0
	ds_write_b64 v76, v[30:31]
	s_waitcnt lgkmcnt(0)
	; wave barrier
	s_and_saveexec_b64 s[20:21], s[0:1]
	s_cbranch_execz .LBB9_65
; %bb.50:
	s_andn2_b64 vcc, exec, s[22:23]
	s_cbranch_vccnz .LBB9_52
; %bb.51:
	v_cmp_eq_u32_e32 vcc, 1, v0
	v_cndmask_b32_e32 v74, v23, v25, vcc
	v_cmp_eq_u32_e64 s[4:5], 2, v0
	v_cndmask_b32_e64 v74, v74, v27, s[4:5]
	v_cmp_eq_u32_e64 s[6:7], 3, v0
	v_cndmask_b32_e64 v74, v74, v29, s[6:7]
	;; [unrolled: 2-line block ×8, first 2 shown]
	v_cndmask_b32_e32 v74, v22, v24, vcc
	v_cndmask_b32_e64 v74, v74, v26, s[4:5]
	v_cndmask_b32_e64 v74, v74, v28, s[6:7]
	v_cndmask_b32_e64 v74, v74, v30, s[8:9]
	v_cndmask_b32_e64 v74, v74, v32, s[10:11]
	ds_read_b64 v[77:78], v76
	v_cndmask_b32_e64 v74, v74, v34, s[12:13]
	v_cndmask_b32_e64 v74, v74, v36, s[14:15]
	;; [unrolled: 1-line block ×4, first 2 shown]
	s_waitcnt lgkmcnt(0)
	v_mul_f64 v[74:75], v[74:75], v[77:78]
	s_cbranch_execz .LBB9_53
	s_branch .LBB9_54
.LBB9_52:
                                        ; implicit-def: $vgpr74_vgpr75
.LBB9_53:
	ds_read_b64 v[74:75], v76
.LBB9_54:
	s_and_saveexec_b64 s[4:5], s[2:3]
	s_cbranch_execz .LBB9_64
; %bb.55:
	v_add_u32_e32 v78, -6, v0
	v_add_u32_e32 v77, -5, v0
	v_cmp_lt_u32_e32 vcc, 6, v78
	v_mov_b32_e32 v78, 5
	s_and_saveexec_b64 s[2:3], vcc
	s_cbranch_execz .LBB9_59
; %bb.56:
	v_and_b32_e32 v78, -8, v77
	v_sub_u32_e32 v79, 0, v78
	s_mov_b64 s[6:7], 12
	s_movk_i32 s10, 0x78
	s_mov_b64 s[8:9], 0
.LBB9_57:                               ; =>This Inner Loop Header: Depth=1
	s_lshl_b32 s11, s6, 1
	s_add_i32 s12, s11, -13
	v_mov_b32_e32 v78, s10
	s_add_i32 s13, s11, -14
	s_set_gpr_idx_on s12, gpr_idx(SRC0)
	v_mov_b32_e32 v85, v22
	s_set_gpr_idx_off
	s_set_gpr_idx_on s13, gpr_idx(SRC0)
	v_mov_b32_e32 v84, v22
	s_set_gpr_idx_off
	ds_read2_b64 v[80:83], v78 offset1:1
	s_add_i32 s12, s11, -11
	s_add_i32 s13, s11, -12
	;; [unrolled: 1-line block ×4, first 2 shown]
	s_waitcnt lgkmcnt(0)
	v_fma_f64 v[74:75], v[84:85], v[80:81], v[74:75]
	s_set_gpr_idx_on s12, gpr_idx(SRC0)
	v_mov_b32_e32 v81, v22
	s_set_gpr_idx_off
	s_set_gpr_idx_on s13, gpr_idx(SRC0)
	v_mov_b32_e32 v80, v22
	s_set_gpr_idx_off
	s_add_i32 s12, s11, -7
	s_add_i32 s13, s11, -8
	v_fma_f64 v[74:75], v[80:81], v[82:83], v[74:75]
	s_set_gpr_idx_on s14, gpr_idx(SRC0)
	v_mov_b32_e32 v85, v22
	s_set_gpr_idx_off
	s_set_gpr_idx_on s15, gpr_idx(SRC0)
	v_mov_b32_e32 v84, v22
	s_set_gpr_idx_off
	ds_read2_b64 v[80:83], v78 offset0:2 offset1:3
	s_add_i32 s14, s11, -5
	s_add_i32 s15, s11, -6
	s_waitcnt lgkmcnt(0)
	v_fma_f64 v[74:75], v[84:85], v[80:81], v[74:75]
	s_set_gpr_idx_on s12, gpr_idx(SRC0)
	v_mov_b32_e32 v81, v22
	s_set_gpr_idx_off
	s_set_gpr_idx_on s13, gpr_idx(SRC0)
	v_mov_b32_e32 v80, v22
	s_set_gpr_idx_off
	s_add_i32 s12, s11, -3
	s_add_i32 s13, s11, -4
	v_fma_f64 v[74:75], v[80:81], v[82:83], v[74:75]
	s_set_gpr_idx_on s14, gpr_idx(SRC0)
	v_mov_b32_e32 v85, v22
	s_set_gpr_idx_off
	s_set_gpr_idx_on s15, gpr_idx(SRC0)
	v_mov_b32_e32 v84, v22
	s_set_gpr_idx_off
	ds_read2_b64 v[80:83], v78 offset0:4 offset1:5
	s_add_i32 s14, s11, -1
	s_add_i32 s15, s11, -2
	s_add_u32 s6, s6, 8
	s_addc_u32 s7, s7, 0
	s_waitcnt lgkmcnt(0)
	v_fma_f64 v[74:75], v[84:85], v[80:81], v[74:75]
	s_set_gpr_idx_on s12, gpr_idx(SRC0)
	v_mov_b32_e32 v81, v22
	s_set_gpr_idx_off
	s_set_gpr_idx_on s13, gpr_idx(SRC0)
	v_mov_b32_e32 v80, v22
	s_set_gpr_idx_off
	s_add_i32 s10, s10, 64
	v_fma_f64 v[74:75], v[80:81], v[82:83], v[74:75]
	s_set_gpr_idx_on s14, gpr_idx(SRC0)
	v_mov_b32_e32 v85, v22
	s_set_gpr_idx_off
	s_set_gpr_idx_on s15, gpr_idx(SRC0)
	v_mov_b32_e32 v84, v22
	s_set_gpr_idx_off
	ds_read2_b64 v[80:83], v78 offset0:6 offset1:7
	v_add_u32_e32 v78, s6, v79
	v_cmp_eq_u32_e32 vcc, 12, v78
	s_waitcnt lgkmcnt(0)
	v_fma_f64 v[74:75], v[84:85], v[80:81], v[74:75]
	s_set_gpr_idx_on s11, gpr_idx(SRC0)
	v_mov_b32_e32 v81, v23
	v_mov_b32_e32 v80, v22
	s_set_gpr_idx_off
	s_add_i32 s11, s6, -7
	s_or_b64 s[8:9], vcc, s[8:9]
	v_mov_b32_e32 v78, s11
	v_fma_f64 v[74:75], v[80:81], v[82:83], v[74:75]
	s_andn2_b64 exec, exec, s[8:9]
	s_cbranch_execnz .LBB9_57
; %bb.58:
	s_or_b64 exec, exec, s[8:9]
.LBB9_59:
	s_or_b64 exec, exec, s[2:3]
	v_and_b32_e32 v42, 7, v77
	v_cmp_ne_u32_e32 vcc, 0, v42
	s_and_saveexec_b64 s[6:7], vcc
	s_cbranch_execz .LBB9_63
; %bb.60:
	v_mov_b32_e32 v43, 0x50
	v_lshl_add_u32 v43, v78, 3, v43
	v_mov_b32_e32 v44, 0
	s_mov_b64 s[8:9], 0
.LBB9_61:                               ; =>This Inner Loop Header: Depth=1
	v_cmp_eq_u32_e32 vcc, 1, v78
	v_cndmask_b32_e32 v47, v23, v25, vcc
	v_cmp_eq_u32_e64 s[2:3], 2, v78
	v_cndmask_b32_e64 v47, v47, v27, s[2:3]
	v_cndmask_b32_e32 v48, v22, v24, vcc
	v_cmp_eq_u32_e32 vcc, 3, v78
	v_cndmask_b32_e32 v47, v47, v29, vcc
	v_cndmask_b32_e64 v48, v48, v26, s[2:3]
	v_cmp_eq_u32_e64 s[2:3], 4, v78
	v_cndmask_b32_e64 v47, v47, v31, s[2:3]
	v_cndmask_b32_e32 v48, v48, v28, vcc
	v_cmp_eq_u32_e32 vcc, 5, v78
	v_cndmask_b32_e32 v47, v47, v33, vcc
	v_cndmask_b32_e64 v48, v48, v30, s[2:3]
	v_cmp_eq_u32_e64 s[2:3], 6, v78
	ds_read_b64 v[45:46], v43
	v_cndmask_b32_e64 v47, v47, v35, s[2:3]
	v_cndmask_b32_e32 v48, v48, v32, vcc
	v_cmp_eq_u32_e32 vcc, 7, v78
	v_cndmask_b32_e32 v47, v47, v37, vcc
	v_cndmask_b32_e64 v48, v48, v34, s[2:3]
	v_cmp_eq_u32_e64 s[2:3], 8, v78
	v_cndmask_b32_e64 v47, v47, v39, s[2:3]
	v_cndmask_b32_e32 v49, v48, v36, vcc
	v_cmp_eq_u32_e32 vcc, 9, v78
	v_cndmask_b32_e32 v48, v47, v41, vcc
	v_cndmask_b32_e64 v47, v49, v38, s[2:3]
	v_cndmask_b32_e32 v47, v47, v40, vcc
	s_waitcnt lgkmcnt(0)
	v_fma_f64 v[74:75], v[47:48], v[45:46], v[74:75]
	v_add_u32_e32 v42, -1, v42
	v_cmp_eq_u32_e32 vcc, 0, v42
	s_or_b64 s[8:9], vcc, s[8:9]
	v_add_co_u32_e32 v78, vcc, 1, v78
	v_add_u32_e32 v43, 8, v43
	v_addc_co_u32_e32 v44, vcc, 0, v44, vcc
	s_andn2_b64 exec, exec, s[8:9]
	s_cbranch_execnz .LBB9_61
; %bb.62:
	s_or_b64 exec, exec, s[8:9]
.LBB9_63:
	s_or_b64 exec, exec, s[6:7]
.LBB9_64:
	s_or_b64 exec, exec, s[4:5]
	v_mov_b32_e32 v30, 0
	ds_read_b64 v[30:31], v30 offset:32
	s_waitcnt lgkmcnt(0)
	v_mul_f64 v[30:31], v[74:75], v[30:31]
.LBB9_65:
	s_or_b64 exec, exec, s[20:21]
	v_cmp_lt_u32_e64 s[2:3], 3, v0
	ds_write_b64 v76, v[28:29]
	s_waitcnt lgkmcnt(0)
	; wave barrier
	s_and_saveexec_b64 s[20:21], s[2:3]
	s_cbranch_execz .LBB9_81
; %bb.66:
	s_andn2_b64 vcc, exec, s[22:23]
	s_cbranch_vccnz .LBB9_68
; %bb.67:
	v_cmp_eq_u32_e32 vcc, 1, v0
	v_cndmask_b32_e32 v74, v23, v25, vcc
	v_cmp_eq_u32_e64 s[4:5], 2, v0
	v_cndmask_b32_e64 v74, v74, v27, s[4:5]
	v_cmp_eq_u32_e64 s[6:7], 3, v0
	v_cndmask_b32_e64 v74, v74, v29, s[6:7]
	;; [unrolled: 2-line block ×8, first 2 shown]
	v_cndmask_b32_e32 v74, v22, v24, vcc
	v_cndmask_b32_e64 v74, v74, v26, s[4:5]
	v_cndmask_b32_e64 v74, v74, v28, s[6:7]
	;; [unrolled: 1-line block ×4, first 2 shown]
	ds_read_b64 v[77:78], v76
	v_cndmask_b32_e64 v74, v74, v34, s[12:13]
	v_cndmask_b32_e64 v74, v74, v36, s[14:15]
	;; [unrolled: 1-line block ×4, first 2 shown]
	s_waitcnt lgkmcnt(0)
	v_mul_f64 v[74:75], v[74:75], v[77:78]
	s_cbranch_execz .LBB9_69
	s_branch .LBB9_70
.LBB9_68:
                                        ; implicit-def: $vgpr74_vgpr75
.LBB9_69:
	ds_read_b64 v[74:75], v76
.LBB9_70:
	s_and_saveexec_b64 s[4:5], s[0:1]
	s_cbranch_execz .LBB9_80
; %bb.71:
	v_add_u32_e32 v78, -5, v0
	v_add_u32_e32 v77, -4, v0
	v_cmp_lt_u32_e32 vcc, 6, v78
	v_mov_b32_e32 v78, 4
	s_and_saveexec_b64 s[0:1], vcc
	s_cbranch_execz .LBB9_75
; %bb.72:
	v_and_b32_e32 v78, -8, v77
	v_sub_u32_e32 v79, 0, v78
	s_mov_b64 s[6:7], 5
	s_movk_i32 s10, 0x70
	s_mov_b64 s[8:9], 0
.LBB9_73:                               ; =>This Inner Loop Header: Depth=1
	s_lshl_b32 s11, s6, 1
	s_add_i32 s12, s11, -1
	v_mov_b32_e32 v78, s10
	s_add_i32 s13, s11, -2
	s_set_gpr_idx_on s12, gpr_idx(SRC0)
	v_mov_b32_e32 v89, v22
	s_set_gpr_idx_off
	s_set_gpr_idx_on s13, gpr_idx(SRC0)
	v_mov_b32_e32 v88, v22
	s_set_gpr_idx_off
	ds_read_b128 v[80:83], v78
	ds_read_b128 v[84:87], v78 offset:16
	s_add_i32 s12, s11, 3
	s_add_i32 s13, s11, 2
	s_waitcnt lgkmcnt(1)
	v_fma_f64 v[74:75], v[88:89], v[80:81], v[74:75]
	ds_read_b128 v[88:91], v78 offset:32
	ds_read_b128 v[92:95], v78 offset:48
	s_set_gpr_idx_on s11, gpr_idx(SRC0)
	v_mov_b32_e32 v81, v23
	v_mov_b32_e32 v80, v22
	s_set_gpr_idx_off
	v_fma_f64 v[74:75], v[80:81], v[82:83], v[74:75]
	s_set_gpr_idx_on s12, gpr_idx(SRC0)
	v_mov_b32_e32 v81, v22
	s_set_gpr_idx_off
	s_set_gpr_idx_on s13, gpr_idx(SRC0)
	v_mov_b32_e32 v80, v22
	s_set_gpr_idx_off
	s_add_i32 s12, s11, 5
	s_add_i32 s13, s11, 4
	s_waitcnt lgkmcnt(2)
	v_fma_f64 v[74:75], v[80:81], v[84:85], v[74:75]
	s_set_gpr_idx_on s12, gpr_idx(SRC0)
	v_mov_b32_e32 v81, v22
	s_set_gpr_idx_off
	s_set_gpr_idx_on s13, gpr_idx(SRC0)
	v_mov_b32_e32 v80, v22
	s_set_gpr_idx_off
	s_add_i32 s12, s11, 7
	s_add_i32 s13, s11, 6
	v_fma_f64 v[74:75], v[80:81], v[86:87], v[74:75]
	s_set_gpr_idx_on s12, gpr_idx(SRC0)
	v_mov_b32_e32 v81, v22
	s_set_gpr_idx_off
	s_set_gpr_idx_on s13, gpr_idx(SRC0)
	v_mov_b32_e32 v80, v22
	s_set_gpr_idx_off
	s_add_i32 s12, s11, 9
	s_add_i32 s13, s11, 8
	s_waitcnt lgkmcnt(1)
	v_fma_f64 v[74:75], v[80:81], v[88:89], v[74:75]
	s_set_gpr_idx_on s12, gpr_idx(SRC0)
	v_mov_b32_e32 v81, v22
	s_set_gpr_idx_off
	s_set_gpr_idx_on s13, gpr_idx(SRC0)
	v_mov_b32_e32 v80, v22
	s_set_gpr_idx_off
	s_add_i32 s12, s11, 11
	s_add_i32 s13, s11, 10
	v_fma_f64 v[74:75], v[80:81], v[90:91], v[74:75]
	s_set_gpr_idx_on s12, gpr_idx(SRC0)
	v_mov_b32_e32 v81, v22
	s_set_gpr_idx_off
	s_set_gpr_idx_on s13, gpr_idx(SRC0)
	v_mov_b32_e32 v80, v22
	s_set_gpr_idx_off
	s_add_i32 s12, s11, 13
	s_add_i32 s11, s11, 12
	s_add_u32 s6, s6, 8
	v_add_u32_e32 v78, s6, v79
	s_addc_u32 s7, s7, 0
	s_waitcnt lgkmcnt(0)
	v_fma_f64 v[74:75], v[80:81], v[92:93], v[74:75]
	s_set_gpr_idx_on s12, gpr_idx(SRC0)
	v_mov_b32_e32 v81, v22
	s_set_gpr_idx_off
	s_set_gpr_idx_on s11, gpr_idx(SRC0)
	v_mov_b32_e32 v80, v22
	s_set_gpr_idx_off
	s_add_i32 s10, s10, 64
	s_add_i32 s11, s6, -1
	v_cmp_eq_u32_e32 vcc, 5, v78
	s_or_b64 s[8:9], vcc, s[8:9]
	v_mov_b32_e32 v78, s11
	v_fma_f64 v[74:75], v[80:81], v[94:95], v[74:75]
	s_andn2_b64 exec, exec, s[8:9]
	s_cbranch_execnz .LBB9_73
; %bb.74:
	s_or_b64 exec, exec, s[8:9]
.LBB9_75:
	s_or_b64 exec, exec, s[0:1]
	v_and_b32_e32 v42, 7, v77
	v_cmp_ne_u32_e32 vcc, 0, v42
	s_and_saveexec_b64 s[6:7], vcc
	s_cbranch_execz .LBB9_79
; %bb.76:
	v_mov_b32_e32 v43, 0x50
	v_lshl_add_u32 v43, v78, 3, v43
	v_mov_b32_e32 v44, 0
	s_mov_b64 s[8:9], 0
.LBB9_77:                               ; =>This Inner Loop Header: Depth=1
	v_cmp_eq_u32_e32 vcc, 1, v78
	v_cndmask_b32_e32 v47, v23, v25, vcc
	v_cmp_eq_u32_e64 s[0:1], 2, v78
	v_cndmask_b32_e64 v47, v47, v27, s[0:1]
	v_cndmask_b32_e32 v48, v22, v24, vcc
	v_cmp_eq_u32_e32 vcc, 3, v78
	v_cndmask_b32_e32 v47, v47, v29, vcc
	v_cndmask_b32_e64 v48, v48, v26, s[0:1]
	v_cmp_eq_u32_e64 s[0:1], 4, v78
	v_cndmask_b32_e64 v47, v47, v31, s[0:1]
	v_cndmask_b32_e32 v48, v48, v28, vcc
	v_cmp_eq_u32_e32 vcc, 5, v78
	v_cndmask_b32_e32 v47, v47, v33, vcc
	v_cndmask_b32_e64 v48, v48, v30, s[0:1]
	v_cmp_eq_u32_e64 s[0:1], 6, v78
	ds_read_b64 v[45:46], v43
	v_cndmask_b32_e64 v47, v47, v35, s[0:1]
	v_cndmask_b32_e32 v48, v48, v32, vcc
	v_cmp_eq_u32_e32 vcc, 7, v78
	v_cndmask_b32_e32 v47, v47, v37, vcc
	v_cndmask_b32_e64 v48, v48, v34, s[0:1]
	v_cmp_eq_u32_e64 s[0:1], 8, v78
	v_cndmask_b32_e64 v47, v47, v39, s[0:1]
	v_cndmask_b32_e32 v49, v48, v36, vcc
	v_cmp_eq_u32_e32 vcc, 9, v78
	v_cndmask_b32_e32 v48, v47, v41, vcc
	v_cndmask_b32_e64 v47, v49, v38, s[0:1]
	v_cndmask_b32_e32 v47, v47, v40, vcc
	s_waitcnt lgkmcnt(0)
	v_fma_f64 v[74:75], v[47:48], v[45:46], v[74:75]
	v_add_u32_e32 v42, -1, v42
	v_cmp_eq_u32_e32 vcc, 0, v42
	s_or_b64 s[8:9], vcc, s[8:9]
	v_add_co_u32_e32 v78, vcc, 1, v78
	v_add_u32_e32 v43, 8, v43
	v_addc_co_u32_e32 v44, vcc, 0, v44, vcc
	s_andn2_b64 exec, exec, s[8:9]
	s_cbranch_execnz .LBB9_77
; %bb.78:
	s_or_b64 exec, exec, s[8:9]
.LBB9_79:
	s_or_b64 exec, exec, s[6:7]
.LBB9_80:
	s_or_b64 exec, exec, s[4:5]
	v_mov_b32_e32 v28, 0
	ds_read_b64 v[28:29], v28 offset:24
	s_waitcnt lgkmcnt(0)
	v_mul_f64 v[28:29], v[74:75], v[28:29]
.LBB9_81:
	s_or_b64 exec, exec, s[20:21]
	v_cmp_lt_u32_e64 s[0:1], 2, v0
	ds_write_b64 v76, v[26:27]
	s_waitcnt lgkmcnt(0)
	; wave barrier
	s_and_saveexec_b64 s[20:21], s[0:1]
	s_cbranch_execz .LBB9_97
; %bb.82:
	s_andn2_b64 vcc, exec, s[22:23]
	s_cbranch_vccnz .LBB9_84
; %bb.83:
	v_cmp_eq_u32_e32 vcc, 1, v0
	v_cndmask_b32_e32 v74, v23, v25, vcc
	v_cmp_eq_u32_e64 s[4:5], 2, v0
	v_cndmask_b32_e64 v74, v74, v27, s[4:5]
	v_cmp_eq_u32_e64 s[6:7], 3, v0
	v_cndmask_b32_e64 v74, v74, v29, s[6:7]
	;; [unrolled: 2-line block ×8, first 2 shown]
	v_cndmask_b32_e32 v74, v22, v24, vcc
	v_cndmask_b32_e64 v74, v74, v26, s[4:5]
	v_cndmask_b32_e64 v74, v74, v28, s[6:7]
	;; [unrolled: 1-line block ×4, first 2 shown]
	ds_read_b64 v[77:78], v76
	v_cndmask_b32_e64 v74, v74, v34, s[12:13]
	v_cndmask_b32_e64 v74, v74, v36, s[14:15]
	;; [unrolled: 1-line block ×4, first 2 shown]
	s_waitcnt lgkmcnt(0)
	v_mul_f64 v[74:75], v[74:75], v[77:78]
	s_cbranch_execz .LBB9_85
	s_branch .LBB9_86
.LBB9_84:
                                        ; implicit-def: $vgpr74_vgpr75
.LBB9_85:
	ds_read_b64 v[74:75], v76
.LBB9_86:
	s_and_saveexec_b64 s[4:5], s[2:3]
	s_cbranch_execz .LBB9_96
; %bb.87:
	v_add_u32_e32 v78, -4, v0
	v_add_u32_e32 v77, -3, v0
	v_cmp_lt_u32_e32 vcc, 6, v78
	v_mov_b32_e32 v78, 3
	s_and_saveexec_b64 s[2:3], vcc
	s_cbranch_execz .LBB9_91
; %bb.88:
	v_and_b32_e32 v78, -8, v77
	v_sub_u32_e32 v79, 0, v78
	s_mov_b64 s[6:7], 10
	s_movk_i32 s10, 0x68
	s_mov_b64 s[8:9], 0
.LBB9_89:                               ; =>This Inner Loop Header: Depth=1
	s_lshl_b32 s11, s6, 1
	s_add_i32 s12, s11, -13
	v_mov_b32_e32 v78, s10
	s_add_i32 s13, s11, -14
	s_set_gpr_idx_on s12, gpr_idx(SRC0)
	v_mov_b32_e32 v85, v22
	s_set_gpr_idx_off
	s_set_gpr_idx_on s13, gpr_idx(SRC0)
	v_mov_b32_e32 v84, v22
	s_set_gpr_idx_off
	ds_read2_b64 v[80:83], v78 offset1:1
	s_add_i32 s12, s11, -11
	s_add_i32 s13, s11, -12
	;; [unrolled: 1-line block ×4, first 2 shown]
	s_waitcnt lgkmcnt(0)
	v_fma_f64 v[74:75], v[84:85], v[80:81], v[74:75]
	s_set_gpr_idx_on s12, gpr_idx(SRC0)
	v_mov_b32_e32 v81, v22
	s_set_gpr_idx_off
	s_set_gpr_idx_on s13, gpr_idx(SRC0)
	v_mov_b32_e32 v80, v22
	s_set_gpr_idx_off
	s_add_i32 s12, s11, -7
	s_add_i32 s13, s11, -8
	v_fma_f64 v[74:75], v[80:81], v[82:83], v[74:75]
	s_set_gpr_idx_on s14, gpr_idx(SRC0)
	v_mov_b32_e32 v85, v22
	s_set_gpr_idx_off
	s_set_gpr_idx_on s15, gpr_idx(SRC0)
	v_mov_b32_e32 v84, v22
	s_set_gpr_idx_off
	ds_read2_b64 v[80:83], v78 offset0:2 offset1:3
	s_add_i32 s14, s11, -5
	s_add_i32 s15, s11, -6
	s_waitcnt lgkmcnt(0)
	v_fma_f64 v[74:75], v[84:85], v[80:81], v[74:75]
	s_set_gpr_idx_on s12, gpr_idx(SRC0)
	v_mov_b32_e32 v81, v22
	s_set_gpr_idx_off
	s_set_gpr_idx_on s13, gpr_idx(SRC0)
	v_mov_b32_e32 v80, v22
	s_set_gpr_idx_off
	s_add_i32 s12, s11, -3
	s_add_i32 s13, s11, -4
	v_fma_f64 v[74:75], v[80:81], v[82:83], v[74:75]
	s_set_gpr_idx_on s14, gpr_idx(SRC0)
	v_mov_b32_e32 v85, v22
	s_set_gpr_idx_off
	s_set_gpr_idx_on s15, gpr_idx(SRC0)
	v_mov_b32_e32 v84, v22
	s_set_gpr_idx_off
	ds_read2_b64 v[80:83], v78 offset0:4 offset1:5
	s_add_i32 s14, s11, -1
	s_add_i32 s15, s11, -2
	s_add_u32 s6, s6, 8
	s_addc_u32 s7, s7, 0
	s_waitcnt lgkmcnt(0)
	v_fma_f64 v[74:75], v[84:85], v[80:81], v[74:75]
	s_set_gpr_idx_on s12, gpr_idx(SRC0)
	v_mov_b32_e32 v81, v22
	s_set_gpr_idx_off
	s_set_gpr_idx_on s13, gpr_idx(SRC0)
	v_mov_b32_e32 v80, v22
	s_set_gpr_idx_off
	s_add_i32 s10, s10, 64
	v_fma_f64 v[74:75], v[80:81], v[82:83], v[74:75]
	s_set_gpr_idx_on s14, gpr_idx(SRC0)
	v_mov_b32_e32 v85, v22
	s_set_gpr_idx_off
	s_set_gpr_idx_on s15, gpr_idx(SRC0)
	v_mov_b32_e32 v84, v22
	s_set_gpr_idx_off
	ds_read2_b64 v[80:83], v78 offset0:6 offset1:7
	v_add_u32_e32 v78, s6, v79
	v_cmp_eq_u32_e32 vcc, 10, v78
	s_waitcnt lgkmcnt(0)
	v_fma_f64 v[74:75], v[84:85], v[80:81], v[74:75]
	s_set_gpr_idx_on s11, gpr_idx(SRC0)
	v_mov_b32_e32 v81, v23
	v_mov_b32_e32 v80, v22
	s_set_gpr_idx_off
	s_add_i32 s11, s6, -7
	s_or_b64 s[8:9], vcc, s[8:9]
	v_mov_b32_e32 v78, s11
	v_fma_f64 v[74:75], v[80:81], v[82:83], v[74:75]
	s_andn2_b64 exec, exec, s[8:9]
	s_cbranch_execnz .LBB9_89
; %bb.90:
	s_or_b64 exec, exec, s[8:9]
.LBB9_91:
	s_or_b64 exec, exec, s[2:3]
	v_and_b32_e32 v42, 7, v77
	v_cmp_ne_u32_e32 vcc, 0, v42
	s_and_saveexec_b64 s[6:7], vcc
	s_cbranch_execz .LBB9_95
; %bb.92:
	v_mov_b32_e32 v43, 0x50
	v_lshl_add_u32 v43, v78, 3, v43
	v_mov_b32_e32 v44, 0
	s_mov_b64 s[8:9], 0
.LBB9_93:                               ; =>This Inner Loop Header: Depth=1
	v_cmp_eq_u32_e32 vcc, 1, v78
	v_cndmask_b32_e32 v47, v23, v25, vcc
	v_cmp_eq_u32_e64 s[2:3], 2, v78
	v_cndmask_b32_e64 v47, v47, v27, s[2:3]
	v_cndmask_b32_e32 v48, v22, v24, vcc
	v_cmp_eq_u32_e32 vcc, 3, v78
	v_cndmask_b32_e32 v47, v47, v29, vcc
	v_cndmask_b32_e64 v48, v48, v26, s[2:3]
	v_cmp_eq_u32_e64 s[2:3], 4, v78
	v_cndmask_b32_e64 v47, v47, v31, s[2:3]
	v_cndmask_b32_e32 v48, v48, v28, vcc
	v_cmp_eq_u32_e32 vcc, 5, v78
	v_cndmask_b32_e32 v47, v47, v33, vcc
	v_cndmask_b32_e64 v48, v48, v30, s[2:3]
	v_cmp_eq_u32_e64 s[2:3], 6, v78
	ds_read_b64 v[45:46], v43
	v_cndmask_b32_e64 v47, v47, v35, s[2:3]
	v_cndmask_b32_e32 v48, v48, v32, vcc
	v_cmp_eq_u32_e32 vcc, 7, v78
	v_cndmask_b32_e32 v47, v47, v37, vcc
	v_cndmask_b32_e64 v48, v48, v34, s[2:3]
	v_cmp_eq_u32_e64 s[2:3], 8, v78
	v_cndmask_b32_e64 v47, v47, v39, s[2:3]
	v_cndmask_b32_e32 v49, v48, v36, vcc
	v_cmp_eq_u32_e32 vcc, 9, v78
	v_cndmask_b32_e32 v48, v47, v41, vcc
	v_cndmask_b32_e64 v47, v49, v38, s[2:3]
	v_cndmask_b32_e32 v47, v47, v40, vcc
	s_waitcnt lgkmcnt(0)
	v_fma_f64 v[74:75], v[47:48], v[45:46], v[74:75]
	v_add_u32_e32 v42, -1, v42
	v_cmp_eq_u32_e32 vcc, 0, v42
	s_or_b64 s[8:9], vcc, s[8:9]
	v_add_co_u32_e32 v78, vcc, 1, v78
	v_add_u32_e32 v43, 8, v43
	v_addc_co_u32_e32 v44, vcc, 0, v44, vcc
	s_andn2_b64 exec, exec, s[8:9]
	s_cbranch_execnz .LBB9_93
; %bb.94:
	s_or_b64 exec, exec, s[8:9]
.LBB9_95:
	s_or_b64 exec, exec, s[6:7]
.LBB9_96:
	s_or_b64 exec, exec, s[4:5]
	v_mov_b32_e32 v26, 0
	ds_read_b64 v[26:27], v26 offset:16
	s_waitcnt lgkmcnt(0)
	v_mul_f64 v[26:27], v[74:75], v[26:27]
.LBB9_97:
	s_or_b64 exec, exec, s[20:21]
	v_cmp_lt_u32_e64 s[2:3], 1, v0
	ds_write_b64 v76, v[24:25]
	s_waitcnt lgkmcnt(0)
	; wave barrier
	s_and_saveexec_b64 s[20:21], s[2:3]
	s_cbranch_execz .LBB9_113
; %bb.98:
	s_andn2_b64 vcc, exec, s[22:23]
	s_cbranch_vccnz .LBB9_100
; %bb.99:
	v_cmp_eq_u32_e32 vcc, 1, v0
	v_cndmask_b32_e32 v74, v23, v25, vcc
	v_cmp_eq_u32_e64 s[4:5], 2, v0
	v_cndmask_b32_e64 v74, v74, v27, s[4:5]
	v_cmp_eq_u32_e64 s[6:7], 3, v0
	v_cndmask_b32_e64 v74, v74, v29, s[6:7]
	;; [unrolled: 2-line block ×8, first 2 shown]
	v_cndmask_b32_e32 v74, v22, v24, vcc
	v_cndmask_b32_e64 v74, v74, v26, s[4:5]
	v_cndmask_b32_e64 v74, v74, v28, s[6:7]
	;; [unrolled: 1-line block ×4, first 2 shown]
	ds_read_b64 v[77:78], v76
	v_cndmask_b32_e64 v74, v74, v34, s[12:13]
	v_cndmask_b32_e64 v74, v74, v36, s[14:15]
	;; [unrolled: 1-line block ×4, first 2 shown]
	s_waitcnt lgkmcnt(0)
	v_mul_f64 v[74:75], v[74:75], v[77:78]
	s_cbranch_execz .LBB9_101
	s_branch .LBB9_102
.LBB9_100:
                                        ; implicit-def: $vgpr74_vgpr75
.LBB9_101:
	ds_read_b64 v[74:75], v76
.LBB9_102:
	s_and_saveexec_b64 s[4:5], s[0:1]
	s_cbranch_execz .LBB9_112
; %bb.103:
	v_add_u32_e32 v78, -3, v0
	v_add_u32_e32 v77, -2, v0
	v_cmp_lt_u32_e32 vcc, 6, v78
	v_mov_b32_e32 v78, 2
	s_and_saveexec_b64 s[0:1], vcc
	s_cbranch_execz .LBB9_107
; %bb.104:
	v_and_b32_e32 v78, -8, v77
	v_sub_u32_e32 v79, 0, v78
	s_mov_b64 s[6:7], 9
	s_movk_i32 s10, 0x60
	s_mov_b64 s[8:9], 0
.LBB9_105:                              ; =>This Inner Loop Header: Depth=1
	s_lshl_b32 s11, s6, 1
	s_add_i32 s12, s11, -13
	v_mov_b32_e32 v78, s10
	s_add_i32 s13, s11, -14
	s_set_gpr_idx_on s12, gpr_idx(SRC0)
	v_mov_b32_e32 v89, v22
	s_set_gpr_idx_off
	s_set_gpr_idx_on s13, gpr_idx(SRC0)
	v_mov_b32_e32 v88, v22
	s_set_gpr_idx_off
	ds_read_b128 v[80:83], v78
	ds_read_b128 v[84:87], v78 offset:16
	s_add_i32 s12, s11, -11
	s_add_i32 s13, s11, -12
	s_waitcnt lgkmcnt(1)
	v_fma_f64 v[74:75], v[88:89], v[80:81], v[74:75]
	ds_read_b128 v[88:91], v78 offset:32
	ds_read_b128 v[92:95], v78 offset:48
	s_set_gpr_idx_on s12, gpr_idx(SRC0)
	v_mov_b32_e32 v81, v22
	s_set_gpr_idx_off
	s_set_gpr_idx_on s13, gpr_idx(SRC0)
	v_mov_b32_e32 v80, v22
	s_set_gpr_idx_off
	s_add_i32 s12, s11, -9
	s_add_i32 s13, s11, -10
	v_fma_f64 v[74:75], v[80:81], v[82:83], v[74:75]
	s_set_gpr_idx_on s12, gpr_idx(SRC0)
	v_mov_b32_e32 v81, v22
	s_set_gpr_idx_off
	s_set_gpr_idx_on s13, gpr_idx(SRC0)
	v_mov_b32_e32 v80, v22
	s_set_gpr_idx_off
	s_add_i32 s12, s11, -7
	s_add_i32 s13, s11, -8
	s_waitcnt lgkmcnt(2)
	v_fma_f64 v[74:75], v[80:81], v[84:85], v[74:75]
	s_set_gpr_idx_on s12, gpr_idx(SRC0)
	v_mov_b32_e32 v81, v22
	s_set_gpr_idx_off
	s_set_gpr_idx_on s13, gpr_idx(SRC0)
	v_mov_b32_e32 v80, v22
	s_set_gpr_idx_off
	s_add_i32 s12, s11, -5
	s_add_i32 s13, s11, -6
	v_fma_f64 v[74:75], v[80:81], v[86:87], v[74:75]
	s_set_gpr_idx_on s12, gpr_idx(SRC0)
	v_mov_b32_e32 v81, v22
	s_set_gpr_idx_off
	s_set_gpr_idx_on s13, gpr_idx(SRC0)
	v_mov_b32_e32 v80, v22
	s_set_gpr_idx_off
	s_add_i32 s12, s11, -3
	s_add_i32 s13, s11, -4
	s_waitcnt lgkmcnt(1)
	v_fma_f64 v[74:75], v[80:81], v[88:89], v[74:75]
	s_set_gpr_idx_on s12, gpr_idx(SRC0)
	v_mov_b32_e32 v81, v22
	s_set_gpr_idx_off
	s_set_gpr_idx_on s13, gpr_idx(SRC0)
	v_mov_b32_e32 v80, v22
	s_set_gpr_idx_off
	s_add_i32 s12, s11, -1
	s_add_i32 s13, s11, -2
	s_add_u32 s6, s6, 8
	v_add_u32_e32 v78, s6, v79
	s_addc_u32 s7, s7, 0
	v_fma_f64 v[74:75], v[80:81], v[90:91], v[74:75]
	s_set_gpr_idx_on s12, gpr_idx(SRC0)
	v_mov_b32_e32 v81, v22
	s_set_gpr_idx_off
	s_set_gpr_idx_on s13, gpr_idx(SRC0)
	v_mov_b32_e32 v80, v22
	s_set_gpr_idx_off
	s_add_i32 s10, s10, 64
	v_cmp_eq_u32_e32 vcc, 9, v78
	s_waitcnt lgkmcnt(0)
	v_fma_f64 v[74:75], v[80:81], v[92:93], v[74:75]
	s_set_gpr_idx_on s11, gpr_idx(SRC0)
	v_mov_b32_e32 v81, v23
	v_mov_b32_e32 v80, v22
	s_set_gpr_idx_off
	s_add_i32 s11, s6, -7
	s_or_b64 s[8:9], vcc, s[8:9]
	v_mov_b32_e32 v78, s11
	v_fma_f64 v[74:75], v[80:81], v[94:95], v[74:75]
	s_andn2_b64 exec, exec, s[8:9]
	s_cbranch_execnz .LBB9_105
; %bb.106:
	s_or_b64 exec, exec, s[8:9]
.LBB9_107:
	s_or_b64 exec, exec, s[0:1]
	v_and_b32_e32 v42, 7, v77
	v_cmp_ne_u32_e32 vcc, 0, v42
	s_and_saveexec_b64 s[6:7], vcc
	s_cbranch_execz .LBB9_111
; %bb.108:
	v_mov_b32_e32 v43, 0x50
	v_lshl_add_u32 v43, v78, 3, v43
	v_mov_b32_e32 v44, 0
	s_mov_b64 s[8:9], 0
.LBB9_109:                              ; =>This Inner Loop Header: Depth=1
	v_cmp_eq_u32_e32 vcc, 1, v78
	v_cndmask_b32_e32 v47, v23, v25, vcc
	v_cmp_eq_u32_e64 s[0:1], 2, v78
	v_cndmask_b32_e64 v47, v47, v27, s[0:1]
	v_cndmask_b32_e32 v48, v22, v24, vcc
	v_cmp_eq_u32_e32 vcc, 3, v78
	v_cndmask_b32_e32 v47, v47, v29, vcc
	v_cndmask_b32_e64 v48, v48, v26, s[0:1]
	v_cmp_eq_u32_e64 s[0:1], 4, v78
	v_cndmask_b32_e64 v47, v47, v31, s[0:1]
	v_cndmask_b32_e32 v48, v48, v28, vcc
	v_cmp_eq_u32_e32 vcc, 5, v78
	v_cndmask_b32_e32 v47, v47, v33, vcc
	v_cndmask_b32_e64 v48, v48, v30, s[0:1]
	v_cmp_eq_u32_e64 s[0:1], 6, v78
	ds_read_b64 v[45:46], v43
	v_cndmask_b32_e64 v47, v47, v35, s[0:1]
	v_cndmask_b32_e32 v48, v48, v32, vcc
	v_cmp_eq_u32_e32 vcc, 7, v78
	v_cndmask_b32_e32 v47, v47, v37, vcc
	v_cndmask_b32_e64 v48, v48, v34, s[0:1]
	v_cmp_eq_u32_e64 s[0:1], 8, v78
	v_cndmask_b32_e64 v47, v47, v39, s[0:1]
	v_cndmask_b32_e32 v49, v48, v36, vcc
	v_cmp_eq_u32_e32 vcc, 9, v78
	v_cndmask_b32_e32 v48, v47, v41, vcc
	v_cndmask_b32_e64 v47, v49, v38, s[0:1]
	v_cndmask_b32_e32 v47, v47, v40, vcc
	s_waitcnt lgkmcnt(0)
	v_fma_f64 v[74:75], v[47:48], v[45:46], v[74:75]
	v_add_u32_e32 v42, -1, v42
	v_cmp_eq_u32_e32 vcc, 0, v42
	s_or_b64 s[8:9], vcc, s[8:9]
	v_add_co_u32_e32 v78, vcc, 1, v78
	v_add_u32_e32 v43, 8, v43
	v_addc_co_u32_e32 v44, vcc, 0, v44, vcc
	s_andn2_b64 exec, exec, s[8:9]
	s_cbranch_execnz .LBB9_109
; %bb.110:
	s_or_b64 exec, exec, s[8:9]
.LBB9_111:
	s_or_b64 exec, exec, s[6:7]
.LBB9_112:
	s_or_b64 exec, exec, s[4:5]
	v_mov_b32_e32 v24, 0
	ds_read_b64 v[24:25], v24 offset:8
	s_waitcnt lgkmcnt(0)
	v_mul_f64 v[24:25], v[74:75], v[24:25]
.LBB9_113:
	s_or_b64 exec, exec, s[20:21]
	v_cmp_ne_u32_e32 vcc, 0, v0
	ds_write_b64 v76, v[22:23]
	s_waitcnt lgkmcnt(0)
	; wave barrier
	s_and_saveexec_b64 s[18:19], vcc
	s_cbranch_execz .LBB9_129
; %bb.114:
	s_andn2_b64 vcc, exec, s[22:23]
	s_cbranch_vccnz .LBB9_116
; %bb.115:
	v_cmp_eq_u32_e32 vcc, 1, v0
	v_cndmask_b32_e32 v74, v23, v25, vcc
	v_cmp_eq_u32_e64 s[0:1], 2, v0
	v_cndmask_b32_e64 v74, v74, v27, s[0:1]
	v_cmp_eq_u32_e64 s[4:5], 3, v0
	v_cndmask_b32_e64 v74, v74, v29, s[4:5]
	;; [unrolled: 2-line block ×8, first 2 shown]
	v_cndmask_b32_e32 v74, v22, v24, vcc
	v_cndmask_b32_e64 v74, v74, v26, s[0:1]
	v_cndmask_b32_e64 v74, v74, v28, s[4:5]
	;; [unrolled: 1-line block ×4, first 2 shown]
	ds_read_b64 v[77:78], v76
	v_cndmask_b32_e64 v74, v74, v34, s[10:11]
	v_cndmask_b32_e64 v74, v74, v36, s[12:13]
	;; [unrolled: 1-line block ×4, first 2 shown]
	s_waitcnt lgkmcnt(0)
	v_mul_f64 v[74:75], v[74:75], v[77:78]
	s_cbranch_execz .LBB9_117
	s_branch .LBB9_118
.LBB9_116:
                                        ; implicit-def: $vgpr74_vgpr75
.LBB9_117:
	ds_read_b64 v[74:75], v76
.LBB9_118:
	s_and_saveexec_b64 s[4:5], s[2:3]
	s_cbranch_execz .LBB9_128
; %bb.119:
	v_add_u32_e32 v78, -2, v0
	v_add_u32_e32 v77, -1, v0
	v_cmp_lt_u32_e32 vcc, 6, v78
	v_mov_b32_e32 v78, 1
	s_and_saveexec_b64 s[0:1], vcc
	s_cbranch_execz .LBB9_123
; %bb.120:
	v_and_b32_e32 v78, -8, v77
	v_sub_u32_e32 v79, 0, v78
	s_mov_b64 s[2:3], 8
	s_movk_i32 s8, 0x58
	s_mov_b64 s[6:7], 0
.LBB9_121:                              ; =>This Inner Loop Header: Depth=1
	s_lshl_b32 s9, s2, 1
	s_add_i32 s10, s9, -13
	v_mov_b32_e32 v78, s8
	s_add_i32 s11, s9, -14
	s_set_gpr_idx_on s10, gpr_idx(SRC0)
	v_mov_b32_e32 v85, v22
	s_set_gpr_idx_off
	s_set_gpr_idx_on s11, gpr_idx(SRC0)
	v_mov_b32_e32 v84, v22
	s_set_gpr_idx_off
	ds_read2_b64 v[80:83], v78 offset1:1
	s_add_i32 s10, s9, -11
	s_add_i32 s11, s9, -12
	;; [unrolled: 1-line block ×4, first 2 shown]
	s_waitcnt lgkmcnt(0)
	v_fma_f64 v[74:75], v[84:85], v[80:81], v[74:75]
	s_set_gpr_idx_on s10, gpr_idx(SRC0)
	v_mov_b32_e32 v81, v22
	s_set_gpr_idx_off
	s_set_gpr_idx_on s11, gpr_idx(SRC0)
	v_mov_b32_e32 v80, v22
	s_set_gpr_idx_off
	s_add_i32 s10, s9, -7
	s_add_i32 s11, s9, -8
	v_fma_f64 v[74:75], v[80:81], v[82:83], v[74:75]
	s_set_gpr_idx_on s12, gpr_idx(SRC0)
	v_mov_b32_e32 v85, v22
	s_set_gpr_idx_off
	s_set_gpr_idx_on s13, gpr_idx(SRC0)
	v_mov_b32_e32 v84, v22
	s_set_gpr_idx_off
	ds_read2_b64 v[80:83], v78 offset0:2 offset1:3
	s_add_i32 s12, s9, -5
	s_add_i32 s13, s9, -6
	s_waitcnt lgkmcnt(0)
	v_fma_f64 v[74:75], v[84:85], v[80:81], v[74:75]
	s_set_gpr_idx_on s10, gpr_idx(SRC0)
	v_mov_b32_e32 v81, v22
	s_set_gpr_idx_off
	s_set_gpr_idx_on s11, gpr_idx(SRC0)
	v_mov_b32_e32 v80, v22
	s_set_gpr_idx_off
	s_add_i32 s10, s9, -3
	s_add_i32 s11, s9, -4
	v_fma_f64 v[74:75], v[80:81], v[82:83], v[74:75]
	s_set_gpr_idx_on s12, gpr_idx(SRC0)
	v_mov_b32_e32 v85, v22
	s_set_gpr_idx_off
	s_set_gpr_idx_on s13, gpr_idx(SRC0)
	v_mov_b32_e32 v84, v22
	s_set_gpr_idx_off
	ds_read2_b64 v[80:83], v78 offset0:4 offset1:5
	s_add_i32 s12, s9, -1
	s_add_i32 s13, s9, -2
	s_add_u32 s2, s2, 8
	s_addc_u32 s3, s3, 0
	s_waitcnt lgkmcnt(0)
	v_fma_f64 v[74:75], v[84:85], v[80:81], v[74:75]
	s_set_gpr_idx_on s10, gpr_idx(SRC0)
	v_mov_b32_e32 v81, v22
	s_set_gpr_idx_off
	s_set_gpr_idx_on s11, gpr_idx(SRC0)
	v_mov_b32_e32 v80, v22
	s_set_gpr_idx_off
	s_add_i32 s8, s8, 64
	v_fma_f64 v[74:75], v[80:81], v[82:83], v[74:75]
	s_set_gpr_idx_on s12, gpr_idx(SRC0)
	v_mov_b32_e32 v85, v22
	s_set_gpr_idx_off
	s_set_gpr_idx_on s13, gpr_idx(SRC0)
	v_mov_b32_e32 v84, v22
	s_set_gpr_idx_off
	ds_read2_b64 v[80:83], v78 offset0:6 offset1:7
	v_add_u32_e32 v78, s2, v79
	v_cmp_eq_u32_e32 vcc, 8, v78
	s_waitcnt lgkmcnt(0)
	v_fma_f64 v[74:75], v[84:85], v[80:81], v[74:75]
	s_set_gpr_idx_on s9, gpr_idx(SRC0)
	v_mov_b32_e32 v81, v23
	v_mov_b32_e32 v80, v22
	s_set_gpr_idx_off
	s_add_i32 s9, s2, -7
	s_or_b64 s[6:7], vcc, s[6:7]
	v_mov_b32_e32 v78, s9
	v_fma_f64 v[74:75], v[80:81], v[82:83], v[74:75]
	s_andn2_b64 exec, exec, s[6:7]
	s_cbranch_execnz .LBB9_121
; %bb.122:
	s_or_b64 exec, exec, s[6:7]
.LBB9_123:
	s_or_b64 exec, exec, s[0:1]
	v_and_b32_e32 v42, 7, v77
	v_cmp_ne_u32_e32 vcc, 0, v42
	s_and_saveexec_b64 s[2:3], vcc
	s_cbranch_execz .LBB9_127
; %bb.124:
	v_mov_b32_e32 v43, 0x50
	v_lshl_add_u32 v43, v78, 3, v43
	v_mov_b32_e32 v44, 0
	s_mov_b64 s[6:7], 0
.LBB9_125:                              ; =>This Inner Loop Header: Depth=1
	v_cmp_eq_u32_e32 vcc, 1, v78
	v_cndmask_b32_e32 v47, v23, v25, vcc
	v_cmp_eq_u32_e64 s[0:1], 2, v78
	v_cndmask_b32_e64 v47, v47, v27, s[0:1]
	v_cndmask_b32_e32 v48, v22, v24, vcc
	v_cmp_eq_u32_e32 vcc, 3, v78
	v_cndmask_b32_e32 v47, v47, v29, vcc
	v_cndmask_b32_e64 v48, v48, v26, s[0:1]
	v_cmp_eq_u32_e64 s[0:1], 4, v78
	v_cndmask_b32_e64 v47, v47, v31, s[0:1]
	v_cndmask_b32_e32 v48, v48, v28, vcc
	v_cmp_eq_u32_e32 vcc, 5, v78
	v_cndmask_b32_e32 v47, v47, v33, vcc
	v_cndmask_b32_e64 v48, v48, v30, s[0:1]
	v_cmp_eq_u32_e64 s[0:1], 6, v78
	ds_read_b64 v[45:46], v43
	v_cndmask_b32_e64 v47, v47, v35, s[0:1]
	v_cndmask_b32_e32 v48, v48, v32, vcc
	v_cmp_eq_u32_e32 vcc, 7, v78
	v_cndmask_b32_e32 v47, v47, v37, vcc
	v_cndmask_b32_e64 v48, v48, v34, s[0:1]
	v_cmp_eq_u32_e64 s[0:1], 8, v78
	v_cndmask_b32_e64 v47, v47, v39, s[0:1]
	v_cndmask_b32_e32 v49, v48, v36, vcc
	v_cmp_eq_u32_e32 vcc, 9, v78
	v_cndmask_b32_e32 v48, v47, v41, vcc
	v_cndmask_b32_e64 v47, v49, v38, s[0:1]
	v_cndmask_b32_e32 v47, v47, v40, vcc
	s_waitcnt lgkmcnt(0)
	v_fma_f64 v[74:75], v[47:48], v[45:46], v[74:75]
	v_add_u32_e32 v42, -1, v42
	v_cmp_eq_u32_e32 vcc, 0, v42
	s_or_b64 s[6:7], vcc, s[6:7]
	v_add_co_u32_e32 v78, vcc, 1, v78
	v_add_u32_e32 v43, 8, v43
	v_addc_co_u32_e32 v44, vcc, 0, v44, vcc
	s_andn2_b64 exec, exec, s[6:7]
	s_cbranch_execnz .LBB9_125
; %bb.126:
	s_or_b64 exec, exec, s[6:7]
.LBB9_127:
	s_or_b64 exec, exec, s[2:3]
.LBB9_128:
	s_or_b64 exec, exec, s[4:5]
	v_mov_b32_e32 v22, 0
	ds_read_b64 v[22:23], v22
	s_waitcnt lgkmcnt(0)
	v_mul_f64 v[22:23], v[74:75], v[22:23]
.LBB9_129:
	s_or_b64 exec, exec, s[18:19]
	s_branch .LBB9_223
.LBB9_130:
	v_cmp_eq_u32_e64 s[0:1], 0, v0
	s_waitcnt vmcnt(9)
	ds_write_b64 v76, v[4:5]
	s_waitcnt lgkmcnt(0)
	; wave barrier
	s_and_saveexec_b64 s[18:19], s[0:1]
	s_cbranch_execz .LBB9_136
; %bb.131:
	s_and_b64 vcc, exec, s[22:23]
	s_cbranch_vccz .LBB9_133
; %bb.132:
	v_cmp_eq_u32_e32 vcc, 1, v0
	s_waitcnt vmcnt(1)
	v_cndmask_b32_e32 v5, v3, v5, vcc
	v_cmp_eq_u32_e64 s[2:3], 2, v0
	v_cndmask_b32_e32 v4, v2, v4, vcc
	v_cndmask_b32_e64 v5, v5, v7, s[2:3]
	v_cmp_eq_u32_e64 s[4:5], 3, v0
	v_cndmask_b32_e64 v4, v4, v6, s[2:3]
	v_cndmask_b32_e64 v5, v5, v9, s[4:5]
	v_cmp_eq_u32_e64 s[6:7], 4, v0
	v_cndmask_b32_e64 v4, v4, v8, s[4:5]
	;; [unrolled: 3-line block ×4, first 2 shown]
	ds_read_b64 v[22:23], v76
	v_cndmask_b32_e64 v5, v5, v15, s[10:11]
	v_cmp_eq_u32_e64 s[12:13], 7, v0
	v_cndmask_b32_e64 v4, v4, v14, s[10:11]
	v_cndmask_b32_e64 v5, v5, v17, s[12:13]
	v_cmp_eq_u32_e64 s[14:15], 8, v0
	v_cndmask_b32_e64 v4, v4, v16, s[12:13]
	;; [unrolled: 3-line block ×3, first 2 shown]
	s_waitcnt vmcnt(0)
	v_cndmask_b32_e64 v5, v5, v21, s[16:17]
	v_cndmask_b32_e64 v4, v4, v20, s[16:17]
	s_waitcnt lgkmcnt(0)
	v_mul_f64 v[4:5], v[4:5], v[22:23]
	s_cbranch_execz .LBB9_134
	s_branch .LBB9_135
.LBB9_133:
                                        ; implicit-def: $vgpr4_vgpr5
.LBB9_134:
	ds_read_b64 v[4:5], v76
.LBB9_135:
	v_mov_b32_e32 v22, 0
	ds_read_b64 v[22:23], v22 offset:8
	s_waitcnt lgkmcnt(0)
	v_mul_f64 v[4:5], v[4:5], v[22:23]
.LBB9_136:
	s_or_b64 exec, exec, s[18:19]
	v_cndmask_b32_e64 v22, 0, 1, s[22:23]
	v_cmp_gt_u32_e64 s[2:3], 2, v0
	v_cmp_ne_u32_e64 s[4:5], 1, v22
	s_waitcnt vmcnt(8)
	ds_write_b64 v76, v[6:7]
	s_waitcnt lgkmcnt(0)
	; wave barrier
	s_and_saveexec_b64 s[22:23], s[2:3]
	s_cbranch_execz .LBB9_142
; %bb.137:
	s_and_b64 vcc, exec, s[4:5]
	s_cbranch_vccnz .LBB9_139
; %bb.138:
	v_cmp_eq_u32_e32 vcc, 1, v0
	s_waitcnt vmcnt(1)
	v_cndmask_b32_e32 v22, v3, v5, vcc
	v_cmp_eq_u32_e64 s[6:7], 2, v0
	v_cndmask_b32_e64 v7, v22, v7, s[6:7]
	v_cndmask_b32_e32 v22, v2, v4, vcc
	v_cmp_eq_u32_e64 s[8:9], 3, v0
	v_cndmask_b32_e64 v6, v22, v6, s[6:7]
	v_cndmask_b32_e64 v7, v7, v9, s[8:9]
	v_cmp_eq_u32_e64 s[10:11], 4, v0
	v_cndmask_b32_e64 v6, v6, v8, s[8:9]
	v_cndmask_b32_e64 v7, v7, v11, s[10:11]
	;; [unrolled: 3-line block ×3, first 2 shown]
	v_cmp_eq_u32_e64 s[14:15], 6, v0
	v_cndmask_b32_e64 v6, v6, v12, s[12:13]
	ds_read_b64 v[22:23], v76
	v_cndmask_b32_e64 v7, v7, v15, s[14:15]
	v_cmp_eq_u32_e64 s[16:17], 7, v0
	v_cndmask_b32_e64 v6, v6, v14, s[14:15]
	v_cndmask_b32_e64 v7, v7, v17, s[16:17]
	v_cmp_eq_u32_e64 s[18:19], 8, v0
	v_cndmask_b32_e64 v6, v6, v16, s[16:17]
	;; [unrolled: 3-line block ×3, first 2 shown]
	s_waitcnt vmcnt(0)
	v_cndmask_b32_e64 v7, v7, v21, s[20:21]
	v_cndmask_b32_e64 v6, v6, v20, s[20:21]
	s_waitcnt lgkmcnt(0)
	v_mul_f64 v[6:7], v[6:7], v[22:23]
	s_cbranch_execz .LBB9_140
	s_branch .LBB9_141
.LBB9_139:
                                        ; implicit-def: $vgpr6_vgpr7
.LBB9_140:
	ds_read_b64 v[6:7], v76
.LBB9_141:
	v_mov_b32_e32 v22, 0
	ds_read2_b64 v[22:25], v22 offset0:2 offset1:11
	s_waitcnt lgkmcnt(0)
	v_fma_f64 v[24:25], v[4:5], v[24:25], v[6:7]
	v_cndmask_b32_e64 v7, v7, v25, s[0:1]
	v_cndmask_b32_e64 v6, v6, v24, s[0:1]
	v_mul_f64 v[6:7], v[6:7], v[22:23]
.LBB9_142:
	s_or_b64 exec, exec, s[22:23]
	v_add_u32_e32 v26, 1, v0
	v_cmp_gt_u32_e32 vcc, 3, v0
	s_waitcnt vmcnt(7)
	ds_write_b64 v76, v[8:9]
	s_waitcnt lgkmcnt(0)
	; wave barrier
	s_and_saveexec_b64 s[22:23], vcc
	s_cbranch_execz .LBB9_150
; %bb.143:
	s_and_b64 vcc, exec, s[4:5]
	s_cbranch_vccnz .LBB9_145
; %bb.144:
	v_cmp_eq_u32_e32 vcc, 1, v0
	s_waitcnt vmcnt(1)
	v_cndmask_b32_e32 v22, v3, v5, vcc
	v_cmp_eq_u32_e64 s[6:7], 2, v0
	v_cndmask_b32_e64 v22, v22, v7, s[6:7]
	v_cmp_eq_u32_e64 s[8:9], 3, v0
	v_cndmask_b32_e64 v22, v22, v9, s[8:9]
	;; [unrolled: 2-line block ×7, first 2 shown]
	v_cmp_eq_u32_e64 s[20:21], 9, v0
	s_waitcnt vmcnt(0)
	v_cndmask_b32_e64 v23, v22, v21, s[20:21]
	v_cndmask_b32_e32 v22, v2, v4, vcc
	v_cndmask_b32_e64 v22, v22, v6, s[6:7]
	v_cndmask_b32_e64 v22, v22, v8, s[8:9]
	;; [unrolled: 1-line block ×4, first 2 shown]
	ds_read_b64 v[24:25], v76
	v_cndmask_b32_e64 v22, v22, v14, s[14:15]
	v_cndmask_b32_e64 v22, v22, v16, s[16:17]
	;; [unrolled: 1-line block ×4, first 2 shown]
	s_waitcnt lgkmcnt(0)
	v_mul_f64 v[22:23], v[22:23], v[24:25]
	s_cbranch_execz .LBB9_146
	s_branch .LBB9_147
.LBB9_145:
                                        ; implicit-def: $vgpr22_vgpr23
.LBB9_146:
	ds_read_b64 v[22:23], v76
.LBB9_147:
	v_cmp_ne_u32_e32 vcc, 2, v0
	s_and_saveexec_b64 s[24:25], vcc
	s_cbranch_execz .LBB9_149
; %bb.148:
	v_cmp_eq_u32_e32 vcc, 1, v26
	s_waitcnt vmcnt(1)
	v_cndmask_b32_e32 v24, v3, v5, vcc
	v_cmp_eq_u32_e64 s[6:7], 2, v26
	v_cndmask_b32_e64 v24, v24, v7, s[6:7]
	v_cmp_eq_u32_e64 s[8:9], 3, v26
	v_cndmask_b32_e64 v9, v24, v9, s[8:9]
	v_cndmask_b32_e32 v24, v2, v4, vcc
	v_cndmask_b32_e64 v24, v24, v6, s[6:7]
	v_cmp_eq_u32_e64 s[10:11], 4, v26
	v_cndmask_b32_e64 v8, v24, v8, s[8:9]
	v_cndmask_b32_e64 v9, v9, v11, s[10:11]
	v_cmp_eq_u32_e64 s[12:13], 5, v26
	v_cndmask_b32_e64 v8, v8, v10, s[10:11]
	;; [unrolled: 3-line block ×3, first 2 shown]
	ds_read_b64 v[24:25], v76 offset:8
	v_cndmask_b32_e64 v9, v9, v15, s[14:15]
	v_cmp_eq_u32_e64 s[16:17], 7, v26
	v_cndmask_b32_e64 v8, v8, v14, s[14:15]
	v_cndmask_b32_e64 v9, v9, v17, s[16:17]
	v_cmp_eq_u32_e64 s[18:19], 8, v26
	v_cndmask_b32_e64 v8, v8, v16, s[16:17]
	;; [unrolled: 3-line block ×3, first 2 shown]
	s_waitcnt vmcnt(0)
	v_cndmask_b32_e64 v9, v9, v21, s[20:21]
	v_cndmask_b32_e64 v8, v8, v20, s[20:21]
	v_mov_b32_e32 v27, 0
	ds_read_b64 v[27:28], v27 offset:96
	s_waitcnt lgkmcnt(1)
	v_fma_f64 v[8:9], v[8:9], v[24:25], v[22:23]
	s_waitcnt lgkmcnt(0)
	v_fma_f64 v[22:23], v[6:7], v[27:28], v[8:9]
	v_cndmask_b32_e64 v23, v9, v23, s[0:1]
	v_cndmask_b32_e64 v22, v8, v22, s[0:1]
.LBB9_149:
	s_or_b64 exec, exec, s[24:25]
	v_mov_b32_e32 v8, 0
	ds_read_b64 v[8:9], v8 offset:24
	s_waitcnt lgkmcnt(0)
	v_mul_f64 v[8:9], v[22:23], v[8:9]
.LBB9_150:
	s_or_b64 exec, exec, s[22:23]
	v_cmp_gt_u32_e64 s[6:7], 4, v0
	s_waitcnt vmcnt(6)
	ds_write_b64 v76, v[10:11]
	s_waitcnt lgkmcnt(0)
	; wave barrier
	s_and_saveexec_b64 s[24:25], s[6:7]
	s_cbranch_execz .LBB9_160
; %bb.151:
	s_and_b64 vcc, exec, s[4:5]
	s_cbranch_vccnz .LBB9_153
; %bb.152:
	v_cmp_eq_u32_e32 vcc, 1, v0
	s_waitcnt vmcnt(1)
	v_cndmask_b32_e32 v22, v3, v5, vcc
	v_cmp_eq_u32_e64 s[8:9], 2, v0
	v_cndmask_b32_e64 v22, v22, v7, s[8:9]
	v_cmp_eq_u32_e64 s[10:11], 3, v0
	v_cndmask_b32_e64 v22, v22, v9, s[10:11]
	;; [unrolled: 2-line block ×7, first 2 shown]
	v_cmp_eq_u32_e64 s[22:23], 9, v0
	s_waitcnt vmcnt(0)
	v_cndmask_b32_e64 v23, v22, v21, s[22:23]
	v_cndmask_b32_e32 v22, v2, v4, vcc
	v_cndmask_b32_e64 v22, v22, v6, s[8:9]
	v_cndmask_b32_e64 v22, v22, v8, s[10:11]
	v_cndmask_b32_e64 v22, v22, v10, s[12:13]
	v_cndmask_b32_e64 v22, v22, v12, s[14:15]
	ds_read_b64 v[24:25], v76
	v_cndmask_b32_e64 v22, v22, v14, s[16:17]
	v_cndmask_b32_e64 v22, v22, v16, s[18:19]
	;; [unrolled: 1-line block ×4, first 2 shown]
	s_waitcnt lgkmcnt(0)
	v_mul_f64 v[22:23], v[22:23], v[24:25]
	s_cbranch_execz .LBB9_154
	s_branch .LBB9_155
.LBB9_153:
                                        ; implicit-def: $vgpr22_vgpr23
.LBB9_154:
	ds_read_b64 v[22:23], v76
.LBB9_155:
	v_cmp_ne_u32_e32 vcc, 3, v0
	s_and_saveexec_b64 s[10:11], vcc
	s_cbranch_execz .LBB9_159
; %bb.156:
	v_mov_b32_e32 v24, 0x58
	v_lshl_add_u32 v27, v0, 3, v24
	v_mov_b32_e32 v25, v1
	s_mov_b64 s[12:13], 0
	v_mov_b32_e32 v24, v0
.LBB9_157:                              ; =>This Inner Loop Header: Depth=1
	v_add_co_u32_e32 v24, vcc, 1, v24
	v_addc_co_u32_e32 v25, vcc, 0, v25, vcc
	v_cmp_eq_u32_e32 vcc, 1, v24
	s_waitcnt vmcnt(1)
	v_cndmask_b32_e32 v30, v3, v5, vcc
	v_cmp_eq_u32_e64 s[8:9], 2, v24
	v_cndmask_b32_e64 v30, v30, v7, s[8:9]
	v_cndmask_b32_e32 v31, v2, v4, vcc
	v_cmp_eq_u32_e32 vcc, 3, v24
	v_cndmask_b32_e32 v30, v30, v9, vcc
	v_cndmask_b32_e64 v31, v31, v6, s[8:9]
	v_cmp_eq_u32_e64 s[8:9], 4, v24
	v_cndmask_b32_e64 v30, v30, v11, s[8:9]
	v_cndmask_b32_e32 v31, v31, v8, vcc
	v_cmp_eq_u32_e32 vcc, 5, v24
	v_cndmask_b32_e32 v30, v30, v13, vcc
	v_cndmask_b32_e64 v31, v31, v10, s[8:9]
	v_cmp_eq_u32_e64 s[8:9], 6, v24
	ds_read_b64 v[28:29], v27
	v_cndmask_b32_e64 v30, v30, v15, s[8:9]
	v_cndmask_b32_e32 v31, v31, v12, vcc
	v_cmp_eq_u32_e32 vcc, 7, v24
	v_cndmask_b32_e32 v30, v30, v17, vcc
	v_cndmask_b32_e64 v31, v31, v14, s[8:9]
	v_cmp_eq_u32_e64 s[8:9], 8, v24
	v_cndmask_b32_e64 v30, v30, v19, s[8:9]
	v_cndmask_b32_e32 v32, v31, v16, vcc
	v_cmp_eq_u32_e32 vcc, 9, v24
	s_waitcnt vmcnt(0)
	v_cndmask_b32_e32 v31, v30, v21, vcc
	v_cndmask_b32_e64 v30, v32, v18, s[8:9]
	v_cndmask_b32_e32 v30, v30, v20, vcc
	s_waitcnt lgkmcnt(0)
	v_fma_f64 v[22:23], v[30:31], v[28:29], v[22:23]
	v_cmp_lt_u32_e32 vcc, 2, v24
	s_or_b64 s[12:13], vcc, s[12:13]
	v_add_u32_e32 v27, 8, v27
	s_andn2_b64 exec, exec, s[12:13]
	s_cbranch_execnz .LBB9_157
; %bb.158:
	s_or_b64 exec, exec, s[12:13]
.LBB9_159:
	s_or_b64 exec, exec, s[10:11]
	v_mov_b32_e32 v10, 0
	ds_read_b64 v[10:11], v10 offset:32
	s_waitcnt lgkmcnt(0)
	v_mul_f64 v[10:11], v[22:23], v[10:11]
.LBB9_160:
	s_or_b64 exec, exec, s[24:25]
	v_cmp_gt_u32_e32 vcc, 5, v0
	s_waitcnt vmcnt(5)
	ds_write_b64 v76, v[12:13]
	s_waitcnt lgkmcnt(0)
	; wave barrier
	s_and_saveexec_b64 s[24:25], vcc
	s_cbranch_execz .LBB9_170
; %bb.161:
	s_and_b64 vcc, exec, s[4:5]
	s_cbranch_vccnz .LBB9_163
; %bb.162:
	v_cmp_eq_u32_e32 vcc, 1, v0
	s_waitcnt vmcnt(1)
	v_cndmask_b32_e32 v22, v3, v5, vcc
	v_cmp_eq_u32_e64 s[8:9], 2, v0
	v_cndmask_b32_e64 v22, v22, v7, s[8:9]
	v_cmp_eq_u32_e64 s[10:11], 3, v0
	v_cndmask_b32_e64 v22, v22, v9, s[10:11]
	;; [unrolled: 2-line block ×7, first 2 shown]
	v_cmp_eq_u32_e64 s[22:23], 9, v0
	s_waitcnt vmcnt(0)
	v_cndmask_b32_e64 v23, v22, v21, s[22:23]
	v_cndmask_b32_e32 v22, v2, v4, vcc
	v_cndmask_b32_e64 v22, v22, v6, s[8:9]
	v_cndmask_b32_e64 v22, v22, v8, s[10:11]
	;; [unrolled: 1-line block ×4, first 2 shown]
	ds_read_b64 v[24:25], v76
	v_cndmask_b32_e64 v22, v22, v14, s[16:17]
	v_cndmask_b32_e64 v22, v22, v16, s[18:19]
	;; [unrolled: 1-line block ×4, first 2 shown]
	s_waitcnt lgkmcnt(0)
	v_mul_f64 v[22:23], v[22:23], v[24:25]
	s_cbranch_execz .LBB9_164
	s_branch .LBB9_165
.LBB9_163:
                                        ; implicit-def: $vgpr22_vgpr23
.LBB9_164:
	ds_read_b64 v[22:23], v76
.LBB9_165:
	v_cmp_ne_u32_e32 vcc, 4, v0
	s_and_saveexec_b64 s[10:11], vcc
	s_cbranch_execz .LBB9_169
; %bb.166:
	v_mov_b32_e32 v24, 0x58
	v_lshl_add_u32 v27, v0, 3, v24
	v_mov_b32_e32 v25, v1
	s_mov_b64 s[12:13], 0
	v_mov_b32_e32 v24, v0
.LBB9_167:                              ; =>This Inner Loop Header: Depth=1
	v_add_co_u32_e32 v24, vcc, 1, v24
	v_addc_co_u32_e32 v25, vcc, 0, v25, vcc
	v_cmp_eq_u32_e32 vcc, 1, v24
	s_waitcnt vmcnt(1)
	v_cndmask_b32_e32 v30, v3, v5, vcc
	v_cmp_eq_u32_e64 s[8:9], 2, v24
	v_cndmask_b32_e64 v30, v30, v7, s[8:9]
	v_cndmask_b32_e32 v31, v2, v4, vcc
	v_cmp_eq_u32_e32 vcc, 3, v24
	v_cndmask_b32_e32 v30, v30, v9, vcc
	v_cndmask_b32_e64 v31, v31, v6, s[8:9]
	v_cmp_eq_u32_e64 s[8:9], 4, v24
	v_cndmask_b32_e64 v30, v30, v11, s[8:9]
	v_cndmask_b32_e32 v31, v31, v8, vcc
	v_cmp_eq_u32_e32 vcc, 5, v24
	v_cndmask_b32_e32 v30, v30, v13, vcc
	v_cndmask_b32_e64 v31, v31, v10, s[8:9]
	v_cmp_eq_u32_e64 s[8:9], 6, v24
	ds_read_b64 v[28:29], v27
	v_cndmask_b32_e64 v30, v30, v15, s[8:9]
	v_cndmask_b32_e32 v31, v31, v12, vcc
	v_cmp_eq_u32_e32 vcc, 7, v24
	v_cndmask_b32_e32 v30, v30, v17, vcc
	v_cndmask_b32_e64 v31, v31, v14, s[8:9]
	v_cmp_eq_u32_e64 s[8:9], 8, v24
	v_cndmask_b32_e64 v30, v30, v19, s[8:9]
	v_cndmask_b32_e32 v32, v31, v16, vcc
	v_cmp_eq_u32_e32 vcc, 9, v24
	s_waitcnt vmcnt(0)
	v_cndmask_b32_e32 v31, v30, v21, vcc
	v_cndmask_b32_e64 v30, v32, v18, s[8:9]
	v_cndmask_b32_e32 v30, v30, v20, vcc
	s_waitcnt lgkmcnt(0)
	v_fma_f64 v[22:23], v[30:31], v[28:29], v[22:23]
	v_cmp_lt_u32_e32 vcc, 3, v24
	s_or_b64 s[12:13], vcc, s[12:13]
	v_add_u32_e32 v27, 8, v27
	s_andn2_b64 exec, exec, s[12:13]
	s_cbranch_execnz .LBB9_167
; %bb.168:
	s_or_b64 exec, exec, s[12:13]
.LBB9_169:
	s_or_b64 exec, exec, s[10:11]
	v_mov_b32_e32 v12, 0
	ds_read_b64 v[12:13], v12 offset:40
	s_waitcnt lgkmcnt(0)
	v_mul_f64 v[12:13], v[22:23], v[12:13]
.LBB9_170:
	s_or_b64 exec, exec, s[24:25]
	v_cmp_gt_u32_e64 s[8:9], 6, v0
	s_waitcnt vmcnt(4)
	ds_write_b64 v76, v[14:15]
	s_waitcnt lgkmcnt(0)
	; wave barrier
	s_and_saveexec_b64 s[26:27], s[8:9]
	s_cbranch_execz .LBB9_180
; %bb.171:
	s_and_b64 vcc, exec, s[4:5]
	s_cbranch_vccnz .LBB9_173
; %bb.172:
	v_cmp_eq_u32_e32 vcc, 1, v0
	s_waitcnt vmcnt(1)
	v_cndmask_b32_e32 v22, v3, v5, vcc
	v_cmp_eq_u32_e64 s[10:11], 2, v0
	v_cndmask_b32_e64 v22, v22, v7, s[10:11]
	v_cmp_eq_u32_e64 s[12:13], 3, v0
	v_cndmask_b32_e64 v22, v22, v9, s[12:13]
	;; [unrolled: 2-line block ×7, first 2 shown]
	v_cmp_eq_u32_e64 s[24:25], 9, v0
	s_waitcnt vmcnt(0)
	v_cndmask_b32_e64 v23, v22, v21, s[24:25]
	v_cndmask_b32_e32 v22, v2, v4, vcc
	v_cndmask_b32_e64 v22, v22, v6, s[10:11]
	v_cndmask_b32_e64 v22, v22, v8, s[12:13]
	;; [unrolled: 1-line block ×4, first 2 shown]
	ds_read_b64 v[24:25], v76
	v_cndmask_b32_e64 v22, v22, v14, s[18:19]
	v_cndmask_b32_e64 v22, v22, v16, s[20:21]
	;; [unrolled: 1-line block ×4, first 2 shown]
	s_waitcnt lgkmcnt(0)
	v_mul_f64 v[22:23], v[22:23], v[24:25]
	s_cbranch_execz .LBB9_174
	s_branch .LBB9_175
.LBB9_173:
                                        ; implicit-def: $vgpr22_vgpr23
.LBB9_174:
	ds_read_b64 v[22:23], v76
.LBB9_175:
	v_cmp_ne_u32_e32 vcc, 5, v0
	s_and_saveexec_b64 s[12:13], vcc
	s_cbranch_execz .LBB9_179
; %bb.176:
	v_mov_b32_e32 v24, 0x58
	v_lshl_add_u32 v27, v0, 3, v24
	v_mov_b32_e32 v25, v1
	s_mov_b64 s[14:15], 0
	v_mov_b32_e32 v24, v0
.LBB9_177:                              ; =>This Inner Loop Header: Depth=1
	v_add_co_u32_e32 v24, vcc, 1, v24
	v_addc_co_u32_e32 v25, vcc, 0, v25, vcc
	v_cmp_eq_u32_e32 vcc, 1, v24
	s_waitcnt vmcnt(1)
	v_cndmask_b32_e32 v30, v3, v5, vcc
	v_cmp_eq_u32_e64 s[10:11], 2, v24
	v_cndmask_b32_e64 v30, v30, v7, s[10:11]
	v_cndmask_b32_e32 v31, v2, v4, vcc
	v_cmp_eq_u32_e32 vcc, 3, v24
	v_cndmask_b32_e32 v30, v30, v9, vcc
	v_cndmask_b32_e64 v31, v31, v6, s[10:11]
	v_cmp_eq_u32_e64 s[10:11], 4, v24
	v_cndmask_b32_e64 v30, v30, v11, s[10:11]
	v_cndmask_b32_e32 v31, v31, v8, vcc
	v_cmp_eq_u32_e32 vcc, 5, v24
	v_cndmask_b32_e32 v30, v30, v13, vcc
	v_cndmask_b32_e64 v31, v31, v10, s[10:11]
	v_cmp_eq_u32_e64 s[10:11], 6, v24
	ds_read_b64 v[28:29], v27
	v_cndmask_b32_e64 v30, v30, v15, s[10:11]
	v_cndmask_b32_e32 v31, v31, v12, vcc
	v_cmp_eq_u32_e32 vcc, 7, v24
	v_cndmask_b32_e32 v30, v30, v17, vcc
	v_cndmask_b32_e64 v31, v31, v14, s[10:11]
	v_cmp_eq_u32_e64 s[10:11], 8, v24
	v_cndmask_b32_e64 v30, v30, v19, s[10:11]
	v_cndmask_b32_e32 v32, v31, v16, vcc
	v_cmp_eq_u32_e32 vcc, 9, v24
	s_waitcnt vmcnt(0)
	v_cndmask_b32_e32 v31, v30, v21, vcc
	v_cndmask_b32_e64 v30, v32, v18, s[10:11]
	v_cndmask_b32_e32 v30, v30, v20, vcc
	s_waitcnt lgkmcnt(0)
	v_fma_f64 v[22:23], v[30:31], v[28:29], v[22:23]
	v_cmp_lt_u32_e32 vcc, 4, v24
	s_or_b64 s[14:15], vcc, s[14:15]
	v_add_u32_e32 v27, 8, v27
	s_andn2_b64 exec, exec, s[14:15]
	s_cbranch_execnz .LBB9_177
; %bb.178:
	s_or_b64 exec, exec, s[14:15]
.LBB9_179:
	s_or_b64 exec, exec, s[12:13]
	v_mov_b32_e32 v14, 0
	ds_read_b64 v[14:15], v14 offset:48
	s_waitcnt lgkmcnt(0)
	v_mul_f64 v[14:15], v[22:23], v[14:15]
.LBB9_180:
	s_or_b64 exec, exec, s[26:27]
	v_cmp_gt_u32_e32 vcc, 7, v0
	s_waitcnt vmcnt(3)
	ds_write_b64 v76, v[16:17]
	s_waitcnt lgkmcnt(0)
	; wave barrier
	s_and_saveexec_b64 s[26:27], vcc
	s_cbranch_execz .LBB9_190
; %bb.181:
	s_and_b64 vcc, exec, s[4:5]
	s_cbranch_vccnz .LBB9_183
; %bb.182:
	v_cmp_eq_u32_e32 vcc, 1, v0
	s_waitcnt vmcnt(1)
	v_cndmask_b32_e32 v22, v3, v5, vcc
	v_cmp_eq_u32_e64 s[10:11], 2, v0
	v_cndmask_b32_e64 v22, v22, v7, s[10:11]
	v_cmp_eq_u32_e64 s[12:13], 3, v0
	v_cndmask_b32_e64 v22, v22, v9, s[12:13]
	;; [unrolled: 2-line block ×7, first 2 shown]
	v_cmp_eq_u32_e64 s[24:25], 9, v0
	s_waitcnt vmcnt(0)
	v_cndmask_b32_e64 v23, v22, v21, s[24:25]
	v_cndmask_b32_e32 v22, v2, v4, vcc
	v_cndmask_b32_e64 v22, v22, v6, s[10:11]
	v_cndmask_b32_e64 v22, v22, v8, s[12:13]
	;; [unrolled: 1-line block ×4, first 2 shown]
	ds_read_b64 v[24:25], v76
	v_cndmask_b32_e64 v22, v22, v14, s[18:19]
	v_cndmask_b32_e64 v22, v22, v16, s[20:21]
	;; [unrolled: 1-line block ×4, first 2 shown]
	s_waitcnt lgkmcnt(0)
	v_mul_f64 v[22:23], v[22:23], v[24:25]
	s_cbranch_execz .LBB9_184
	s_branch .LBB9_185
.LBB9_183:
                                        ; implicit-def: $vgpr22_vgpr23
.LBB9_184:
	ds_read_b64 v[22:23], v76
.LBB9_185:
	v_cmp_ne_u32_e32 vcc, 6, v0
	s_and_saveexec_b64 s[12:13], vcc
	s_cbranch_execz .LBB9_189
; %bb.186:
	v_mov_b32_e32 v24, 0x58
	v_lshl_add_u32 v27, v0, 3, v24
	v_mov_b32_e32 v25, v1
	s_mov_b64 s[14:15], 0
	v_mov_b32_e32 v24, v0
.LBB9_187:                              ; =>This Inner Loop Header: Depth=1
	v_add_co_u32_e32 v24, vcc, 1, v24
	v_addc_co_u32_e32 v25, vcc, 0, v25, vcc
	v_cmp_eq_u32_e32 vcc, 1, v24
	s_waitcnt vmcnt(1)
	v_cndmask_b32_e32 v30, v3, v5, vcc
	v_cmp_eq_u32_e64 s[10:11], 2, v24
	v_cndmask_b32_e64 v30, v30, v7, s[10:11]
	v_cndmask_b32_e32 v31, v2, v4, vcc
	v_cmp_eq_u32_e32 vcc, 3, v24
	v_cndmask_b32_e32 v30, v30, v9, vcc
	v_cndmask_b32_e64 v31, v31, v6, s[10:11]
	v_cmp_eq_u32_e64 s[10:11], 4, v24
	v_cndmask_b32_e64 v30, v30, v11, s[10:11]
	v_cndmask_b32_e32 v31, v31, v8, vcc
	v_cmp_eq_u32_e32 vcc, 5, v24
	v_cndmask_b32_e32 v30, v30, v13, vcc
	v_cndmask_b32_e64 v31, v31, v10, s[10:11]
	v_cmp_eq_u32_e64 s[10:11], 6, v24
	ds_read_b64 v[28:29], v27
	v_cndmask_b32_e64 v30, v30, v15, s[10:11]
	v_cndmask_b32_e32 v31, v31, v12, vcc
	v_cmp_eq_u32_e32 vcc, 7, v24
	v_cndmask_b32_e32 v30, v30, v17, vcc
	v_cndmask_b32_e64 v31, v31, v14, s[10:11]
	v_cmp_eq_u32_e64 s[10:11], 8, v24
	v_cndmask_b32_e64 v30, v30, v19, s[10:11]
	v_cndmask_b32_e32 v32, v31, v16, vcc
	v_cmp_eq_u32_e32 vcc, 9, v24
	s_waitcnt vmcnt(0)
	v_cndmask_b32_e32 v31, v30, v21, vcc
	v_cndmask_b32_e64 v30, v32, v18, s[10:11]
	v_cndmask_b32_e32 v30, v30, v20, vcc
	s_waitcnt lgkmcnt(0)
	v_fma_f64 v[22:23], v[30:31], v[28:29], v[22:23]
	v_cmp_lt_u32_e32 vcc, 5, v24
	s_or_b64 s[14:15], vcc, s[14:15]
	v_add_u32_e32 v27, 8, v27
	s_andn2_b64 exec, exec, s[14:15]
	s_cbranch_execnz .LBB9_187
; %bb.188:
	s_or_b64 exec, exec, s[14:15]
.LBB9_189:
	s_or_b64 exec, exec, s[12:13]
	v_mov_b32_e32 v16, 0
	ds_read_b64 v[16:17], v16 offset:56
	s_waitcnt lgkmcnt(0)
	v_mul_f64 v[16:17], v[22:23], v[16:17]
.LBB9_190:
	s_or_b64 exec, exec, s[26:27]
	v_cmp_gt_u32_e64 s[10:11], 8, v0
	s_waitcnt vmcnt(2)
	ds_write_b64 v76, v[18:19]
	s_waitcnt lgkmcnt(0)
	; wave barrier
	s_and_saveexec_b64 s[28:29], s[10:11]
	s_cbranch_execz .LBB9_200
; %bb.191:
	s_and_b64 vcc, exec, s[4:5]
	s_cbranch_vccnz .LBB9_193
; %bb.192:
	v_cmp_eq_u32_e32 vcc, 1, v0
	s_waitcnt vmcnt(1)
	v_cndmask_b32_e32 v22, v3, v5, vcc
	v_cmp_eq_u32_e64 s[12:13], 2, v0
	v_cndmask_b32_e64 v22, v22, v7, s[12:13]
	v_cmp_eq_u32_e64 s[14:15], 3, v0
	v_cndmask_b32_e64 v22, v22, v9, s[14:15]
	;; [unrolled: 2-line block ×7, first 2 shown]
	v_cmp_eq_u32_e64 s[26:27], 9, v0
	s_waitcnt vmcnt(0)
	v_cndmask_b32_e64 v23, v22, v21, s[26:27]
	v_cndmask_b32_e32 v22, v2, v4, vcc
	v_cndmask_b32_e64 v22, v22, v6, s[12:13]
	v_cndmask_b32_e64 v22, v22, v8, s[14:15]
	;; [unrolled: 1-line block ×4, first 2 shown]
	ds_read_b64 v[24:25], v76
	v_cndmask_b32_e64 v22, v22, v14, s[20:21]
	v_cndmask_b32_e64 v22, v22, v16, s[22:23]
	;; [unrolled: 1-line block ×4, first 2 shown]
	s_waitcnt lgkmcnt(0)
	v_mul_f64 v[22:23], v[22:23], v[24:25]
	s_cbranch_execz .LBB9_194
	s_branch .LBB9_195
.LBB9_193:
                                        ; implicit-def: $vgpr22_vgpr23
.LBB9_194:
	ds_read_b64 v[22:23], v76
.LBB9_195:
	v_cmp_ne_u32_e32 vcc, 7, v0
	s_and_saveexec_b64 s[14:15], vcc
	s_cbranch_execz .LBB9_199
; %bb.196:
	v_mov_b32_e32 v24, 0x58
	v_lshl_add_u32 v27, v0, 3, v24
	v_mov_b32_e32 v25, v1
	s_mov_b64 s[16:17], 0
	v_mov_b32_e32 v24, v0
.LBB9_197:                              ; =>This Inner Loop Header: Depth=1
	v_add_co_u32_e32 v24, vcc, 1, v24
	v_addc_co_u32_e32 v25, vcc, 0, v25, vcc
	v_cmp_eq_u32_e32 vcc, 1, v24
	s_waitcnt vmcnt(1)
	v_cndmask_b32_e32 v1, v3, v5, vcc
	v_cmp_eq_u32_e64 s[12:13], 2, v24
	v_cndmask_b32_e64 v1, v1, v7, s[12:13]
	v_cndmask_b32_e32 v30, v2, v4, vcc
	v_cmp_eq_u32_e32 vcc, 3, v24
	v_cndmask_b32_e32 v1, v1, v9, vcc
	v_cndmask_b32_e64 v30, v30, v6, s[12:13]
	v_cmp_eq_u32_e64 s[12:13], 4, v24
	v_cndmask_b32_e64 v1, v1, v11, s[12:13]
	v_cndmask_b32_e32 v30, v30, v8, vcc
	v_cmp_eq_u32_e32 vcc, 5, v24
	v_cndmask_b32_e32 v1, v1, v13, vcc
	v_cndmask_b32_e64 v30, v30, v10, s[12:13]
	v_cmp_eq_u32_e64 s[12:13], 6, v24
	ds_read_b64 v[28:29], v27
	v_cndmask_b32_e64 v1, v1, v15, s[12:13]
	v_cndmask_b32_e32 v30, v30, v12, vcc
	v_cmp_eq_u32_e32 vcc, 7, v24
	v_cndmask_b32_e32 v1, v1, v17, vcc
	v_cndmask_b32_e64 v30, v30, v14, s[12:13]
	v_cmp_eq_u32_e64 s[12:13], 8, v24
	v_cndmask_b32_e64 v1, v1, v19, s[12:13]
	v_cndmask_b32_e32 v30, v30, v16, vcc
	v_cmp_eq_u32_e32 vcc, 9, v24
	s_waitcnt vmcnt(0)
	v_cndmask_b32_e32 v31, v1, v21, vcc
	v_cndmask_b32_e64 v1, v30, v18, s[12:13]
	v_cndmask_b32_e32 v30, v1, v20, vcc
	s_waitcnt lgkmcnt(0)
	v_fma_f64 v[22:23], v[30:31], v[28:29], v[22:23]
	v_cmp_lt_u32_e32 vcc, 6, v24
	s_or_b64 s[16:17], vcc, s[16:17]
	v_add_u32_e32 v27, 8, v27
	s_andn2_b64 exec, exec, s[16:17]
	s_cbranch_execnz .LBB9_197
; %bb.198:
	s_or_b64 exec, exec, s[16:17]
.LBB9_199:
	s_or_b64 exec, exec, s[14:15]
	v_mov_b32_e32 v1, 0
	ds_read_b64 v[18:19], v1 offset:64
	s_waitcnt lgkmcnt(0)
	v_mul_f64 v[18:19], v[22:23], v[18:19]
.LBB9_200:
	s_or_b64 exec, exec, s[28:29]
	v_cmp_ne_u32_e32 vcc, 9, v0
	s_waitcnt vmcnt(0)
	ds_write_b64 v76, v[20:21]
	s_waitcnt lgkmcnt(0)
	; wave barrier
	s_and_saveexec_b64 s[26:27], vcc
	s_cbranch_execz .LBB9_222
; %bb.201:
	s_and_b64 vcc, exec, s[4:5]
	s_cbranch_vccnz .LBB9_203
; %bb.202:
	v_cmp_eq_u32_e32 vcc, 1, v0
	v_cndmask_b32_e32 v1, v3, v5, vcc
	v_cmp_eq_u32_e64 s[4:5], 2, v0
	v_cndmask_b32_e64 v1, v1, v7, s[4:5]
	v_cmp_eq_u32_e64 s[12:13], 3, v0
	v_cndmask_b32_e64 v1, v1, v9, s[12:13]
	;; [unrolled: 2-line block ×8, first 2 shown]
	v_cndmask_b32_e32 v1, v2, v4, vcc
	v_cndmask_b32_e64 v1, v1, v6, s[4:5]
	v_cndmask_b32_e64 v1, v1, v8, s[12:13]
	;; [unrolled: 1-line block ×4, first 2 shown]
	ds_read_b64 v[24:25], v76
	v_cndmask_b32_e64 v1, v1, v14, s[18:19]
	v_cndmask_b32_e64 v1, v1, v16, s[20:21]
	;; [unrolled: 1-line block ×4, first 2 shown]
	s_waitcnt lgkmcnt(0)
	v_mul_f64 v[22:23], v[22:23], v[24:25]
	s_cbranch_execz .LBB9_204
	s_branch .LBB9_205
.LBB9_203:
                                        ; implicit-def: $vgpr22_vgpr23
.LBB9_204:
	ds_read_b64 v[22:23], v76
.LBB9_205:
	s_and_saveexec_b64 s[24:25], s[10:11]
	s_cbranch_execz .LBB9_221
; %bb.206:
	v_cmp_eq_u32_e32 vcc, 1, v26
	v_cndmask_b32_e32 v1, v3, v5, vcc
	v_cmp_eq_u32_e64 s[4:5], 2, v26
	v_cndmask_b32_e64 v1, v1, v7, s[4:5]
	v_cmp_eq_u32_e64 s[10:11], 3, v26
	v_cndmask_b32_e64 v1, v1, v9, s[10:11]
	;; [unrolled: 2-line block ×8, first 2 shown]
	v_cndmask_b32_e32 v1, v2, v4, vcc
	v_cndmask_b32_e64 v1, v1, v6, s[4:5]
	v_cndmask_b32_e64 v1, v1, v8, s[10:11]
	;; [unrolled: 1-line block ×4, first 2 shown]
	ds_read_b64 v[26:27], v76 offset:8
	v_cndmask_b32_e64 v1, v1, v14, s[16:17]
	v_cndmask_b32_e64 v1, v1, v16, s[18:19]
	;; [unrolled: 1-line block ×4, first 2 shown]
	s_waitcnt lgkmcnt(0)
	v_fma_f64 v[22:23], v[24:25], v[26:27], v[22:23]
	v_cmp_ne_u32_e32 vcc, 7, v0
	s_and_saveexec_b64 s[28:29], vcc
	s_cbranch_execz .LBB9_220
; %bb.207:
	v_add_u32_e32 v1, 2, v0
	v_cmp_eq_u32_e32 vcc, 1, v1
	v_cndmask_b32_e32 v24, v3, v5, vcc
	v_cmp_eq_u32_e64 s[4:5], 2, v1
	v_cmp_eq_u32_e64 s[10:11], 3, v1
	;; [unrolled: 1-line block ×8, first 2 shown]
	v_cndmask_b32_e32 v1, v2, v4, vcc
	v_cndmask_b32_e64 v24, v24, v7, s[4:5]
	v_cndmask_b32_e64 v1, v1, v6, s[4:5]
	;; [unrolled: 1-line block ×8, first 2 shown]
	ds_read_b64 v[26:27], v76 offset:16
	v_cndmask_b32_e64 v24, v24, v15, s[16:17]
	v_cndmask_b32_e64 v1, v1, v14, s[16:17]
	;; [unrolled: 1-line block ×8, first 2 shown]
	s_waitcnt lgkmcnt(0)
	v_fma_f64 v[22:23], v[24:25], v[26:27], v[22:23]
	s_and_saveexec_b64 s[22:23], s[8:9]
	s_cbranch_execz .LBB9_219
; %bb.208:
	v_add_u32_e32 v1, 3, v0
	v_cmp_eq_u32_e32 vcc, 1, v1
	v_cndmask_b32_e32 v24, v3, v5, vcc
	v_cmp_eq_u32_e64 s[4:5], 2, v1
	v_cmp_eq_u32_e64 s[8:9], 3, v1
	;; [unrolled: 1-line block ×8, first 2 shown]
	v_cndmask_b32_e32 v1, v2, v4, vcc
	v_cndmask_b32_e64 v24, v24, v7, s[4:5]
	v_cndmask_b32_e64 v1, v1, v6, s[4:5]
	v_cndmask_b32_e64 v24, v24, v9, s[8:9]
	v_cndmask_b32_e64 v1, v1, v8, s[8:9]
	v_cndmask_b32_e64 v24, v24, v11, s[10:11]
	v_cndmask_b32_e64 v1, v1, v10, s[10:11]
	v_cndmask_b32_e64 v24, v24, v13, s[12:13]
	v_cndmask_b32_e64 v1, v1, v12, s[12:13]
	ds_read_b64 v[26:27], v76 offset:24
	v_cndmask_b32_e64 v24, v24, v15, s[14:15]
	v_cndmask_b32_e64 v1, v1, v14, s[14:15]
	;; [unrolled: 1-line block ×8, first 2 shown]
	s_waitcnt lgkmcnt(0)
	v_fma_f64 v[22:23], v[24:25], v[26:27], v[22:23]
	v_cmp_ne_u32_e32 vcc, 5, v0
	s_and_saveexec_b64 s[30:31], vcc
	s_cbranch_execz .LBB9_218
; %bb.209:
	v_add_u32_e32 v1, 4, v0
	v_cmp_eq_u32_e32 vcc, 1, v1
	v_cndmask_b32_e32 v24, v3, v5, vcc
	v_cmp_eq_u32_e64 s[4:5], 2, v1
	v_cmp_eq_u32_e64 s[8:9], 3, v1
	;; [unrolled: 1-line block ×8, first 2 shown]
	v_cndmask_b32_e32 v1, v2, v4, vcc
	v_cndmask_b32_e64 v24, v24, v7, s[4:5]
	v_cndmask_b32_e64 v1, v1, v6, s[4:5]
	;; [unrolled: 1-line block ×8, first 2 shown]
	ds_read_b64 v[26:27], v76 offset:32
	v_cndmask_b32_e64 v24, v24, v15, s[14:15]
	v_cndmask_b32_e64 v1, v1, v14, s[14:15]
	;; [unrolled: 1-line block ×8, first 2 shown]
	s_waitcnt lgkmcnt(0)
	v_fma_f64 v[22:23], v[24:25], v[26:27], v[22:23]
	s_and_saveexec_b64 s[20:21], s[6:7]
	s_cbranch_execz .LBB9_217
; %bb.210:
	v_add_u32_e32 v1, 5, v0
	v_cmp_eq_u32_e32 vcc, 1, v1
	v_cndmask_b32_e32 v24, v3, v5, vcc
	v_cmp_eq_u32_e64 s[4:5], 2, v1
	v_cmp_eq_u32_e64 s[6:7], 3, v1
	;; [unrolled: 1-line block ×8, first 2 shown]
	v_cndmask_b32_e32 v1, v2, v4, vcc
	v_cndmask_b32_e64 v24, v24, v7, s[4:5]
	v_cndmask_b32_e64 v1, v1, v6, s[4:5]
	;; [unrolled: 1-line block ×8, first 2 shown]
	ds_read_b64 v[26:27], v76 offset:40
	v_cndmask_b32_e64 v24, v24, v15, s[12:13]
	v_cndmask_b32_e64 v1, v1, v14, s[12:13]
	;; [unrolled: 1-line block ×8, first 2 shown]
	s_waitcnt lgkmcnt(0)
	v_fma_f64 v[22:23], v[24:25], v[26:27], v[22:23]
	v_cmp_ne_u32_e32 vcc, 3, v0
	s_and_saveexec_b64 s[34:35], vcc
	s_cbranch_execz .LBB9_216
; %bb.211:
	v_add_u32_e32 v1, 6, v0
	v_cmp_eq_u32_e32 vcc, 1, v1
	v_cndmask_b32_e32 v24, v3, v5, vcc
	v_cmp_eq_u32_e64 s[4:5], 2, v1
	v_cmp_eq_u32_e64 s[6:7], 3, v1
	;; [unrolled: 1-line block ×8, first 2 shown]
	v_cndmask_b32_e32 v1, v2, v4, vcc
	v_cndmask_b32_e64 v24, v24, v7, s[4:5]
	v_cndmask_b32_e64 v1, v1, v6, s[4:5]
	;; [unrolled: 1-line block ×8, first 2 shown]
	ds_read_b64 v[26:27], v76 offset:48
	v_cndmask_b32_e64 v24, v24, v15, s[12:13]
	v_cndmask_b32_e64 v1, v1, v14, s[12:13]
	;; [unrolled: 1-line block ×8, first 2 shown]
	s_waitcnt lgkmcnt(0)
	v_fma_f64 v[22:23], v[24:25], v[26:27], v[22:23]
	s_and_saveexec_b64 s[18:19], s[2:3]
	s_cbranch_execz .LBB9_215
; %bb.212:
	v_add_u32_e32 v0, 7, v0
	v_cmp_eq_u32_e32 vcc, 1, v0
	v_cndmask_b32_e32 v1, v3, v5, vcc
	v_cmp_eq_u32_e64 s[2:3], 2, v0
	v_cmp_eq_u32_e64 s[4:5], 3, v0
	;; [unrolled: 1-line block ×8, first 2 shown]
	v_cndmask_b32_e32 v0, v2, v4, vcc
	v_cndmask_b32_e64 v1, v1, v7, s[2:3]
	v_cndmask_b32_e64 v0, v0, v6, s[2:3]
	;; [unrolled: 1-line block ×8, first 2 shown]
	ds_read_b64 v[24:25], v76 offset:56
	v_cndmask_b32_e64 v1, v1, v15, s[10:11]
	v_cndmask_b32_e64 v0, v0, v14, s[10:11]
	;; [unrolled: 1-line block ×8, first 2 shown]
	s_waitcnt lgkmcnt(0)
	v_fma_f64 v[22:23], v[0:1], v[24:25], v[22:23]
	s_and_saveexec_b64 s[2:3], s[0:1]
	s_cbranch_execz .LBB9_214
; %bb.213:
	ds_read_b64 v[0:1], v76 offset:64
	s_waitcnt lgkmcnt(0)
	v_fma_f64 v[22:23], v[18:19], v[0:1], v[22:23]
.LBB9_214:
	s_or_b64 exec, exec, s[2:3]
.LBB9_215:
	s_or_b64 exec, exec, s[18:19]
.LBB9_216:
	s_or_b64 exec, exec, s[34:35]
.LBB9_217:
	s_or_b64 exec, exec, s[20:21]
.LBB9_218:
	s_or_b64 exec, exec, s[30:31]
.LBB9_219:
	s_or_b64 exec, exec, s[22:23]
.LBB9_220:
	s_or_b64 exec, exec, s[28:29]
.LBB9_221:
	s_or_b64 exec, exec, s[24:25]
	v_mov_b32_e32 v0, 0
	ds_read_b64 v[0:1], v0 offset:72
	s_waitcnt lgkmcnt(0)
	v_mul_f64 v[20:21], v[22:23], v[0:1]
.LBB9_222:
	s_or_b64 exec, exec, s[26:27]
	v_mov_b32_e32 v53, v33
	v_mov_b32_e32 v52, v32
	;; [unrolled: 1-line block ×32, first 2 shown]
.LBB9_223:
	global_store_dwordx2 v[70:71], v[22:23], off
	global_store_dwordx2 v[72:73], v[24:25], off
	;; [unrolled: 1-line block ×10, first 2 shown]
.LBB9_224:
	s_endpgm
	.section	.rodata,"a",@progbits
	.p2align	6, 0x0
	.amdhsa_kernel _ZN9rocsolver6v33100L18trti2_kernel_smallILi10EdPdEEv13rocblas_fill_17rocblas_diagonal_T1_iil
		.amdhsa_group_segment_fixed_size 160
		.amdhsa_private_segment_fixed_size 0
		.amdhsa_kernarg_size 32
		.amdhsa_user_sgpr_count 6
		.amdhsa_user_sgpr_private_segment_buffer 1
		.amdhsa_user_sgpr_dispatch_ptr 0
		.amdhsa_user_sgpr_queue_ptr 0
		.amdhsa_user_sgpr_kernarg_segment_ptr 1
		.amdhsa_user_sgpr_dispatch_id 0
		.amdhsa_user_sgpr_flat_scratch_init 0
		.amdhsa_user_sgpr_private_segment_size 0
		.amdhsa_uses_dynamic_stack 0
		.amdhsa_system_sgpr_private_segment_wavefront_offset 0
		.amdhsa_system_sgpr_workgroup_id_x 1
		.amdhsa_system_sgpr_workgroup_id_y 0
		.amdhsa_system_sgpr_workgroup_id_z 0
		.amdhsa_system_sgpr_workgroup_info 0
		.amdhsa_system_vgpr_workitem_id 0
		.amdhsa_next_free_vgpr 96
		.amdhsa_next_free_sgpr 36
		.amdhsa_reserve_vcc 1
		.amdhsa_reserve_flat_scratch 0
		.amdhsa_float_round_mode_32 0
		.amdhsa_float_round_mode_16_64 0
		.amdhsa_float_denorm_mode_32 3
		.amdhsa_float_denorm_mode_16_64 3
		.amdhsa_dx10_clamp 1
		.amdhsa_ieee_mode 1
		.amdhsa_fp16_overflow 0
		.amdhsa_exception_fp_ieee_invalid_op 0
		.amdhsa_exception_fp_denorm_src 0
		.amdhsa_exception_fp_ieee_div_zero 0
		.amdhsa_exception_fp_ieee_overflow 0
		.amdhsa_exception_fp_ieee_underflow 0
		.amdhsa_exception_fp_ieee_inexact 0
		.amdhsa_exception_int_div_zero 0
	.end_amdhsa_kernel
	.section	.text._ZN9rocsolver6v33100L18trti2_kernel_smallILi10EdPdEEv13rocblas_fill_17rocblas_diagonal_T1_iil,"axG",@progbits,_ZN9rocsolver6v33100L18trti2_kernel_smallILi10EdPdEEv13rocblas_fill_17rocblas_diagonal_T1_iil,comdat
.Lfunc_end9:
	.size	_ZN9rocsolver6v33100L18trti2_kernel_smallILi10EdPdEEv13rocblas_fill_17rocblas_diagonal_T1_iil, .Lfunc_end9-_ZN9rocsolver6v33100L18trti2_kernel_smallILi10EdPdEEv13rocblas_fill_17rocblas_diagonal_T1_iil
                                        ; -- End function
	.set _ZN9rocsolver6v33100L18trti2_kernel_smallILi10EdPdEEv13rocblas_fill_17rocblas_diagonal_T1_iil.num_vgpr, 96
	.set _ZN9rocsolver6v33100L18trti2_kernel_smallILi10EdPdEEv13rocblas_fill_17rocblas_diagonal_T1_iil.num_agpr, 0
	.set _ZN9rocsolver6v33100L18trti2_kernel_smallILi10EdPdEEv13rocblas_fill_17rocblas_diagonal_T1_iil.numbered_sgpr, 36
	.set _ZN9rocsolver6v33100L18trti2_kernel_smallILi10EdPdEEv13rocblas_fill_17rocblas_diagonal_T1_iil.num_named_barrier, 0
	.set _ZN9rocsolver6v33100L18trti2_kernel_smallILi10EdPdEEv13rocblas_fill_17rocblas_diagonal_T1_iil.private_seg_size, 0
	.set _ZN9rocsolver6v33100L18trti2_kernel_smallILi10EdPdEEv13rocblas_fill_17rocblas_diagonal_T1_iil.uses_vcc, 1
	.set _ZN9rocsolver6v33100L18trti2_kernel_smallILi10EdPdEEv13rocblas_fill_17rocblas_diagonal_T1_iil.uses_flat_scratch, 0
	.set _ZN9rocsolver6v33100L18trti2_kernel_smallILi10EdPdEEv13rocblas_fill_17rocblas_diagonal_T1_iil.has_dyn_sized_stack, 0
	.set _ZN9rocsolver6v33100L18trti2_kernel_smallILi10EdPdEEv13rocblas_fill_17rocblas_diagonal_T1_iil.has_recursion, 0
	.set _ZN9rocsolver6v33100L18trti2_kernel_smallILi10EdPdEEv13rocblas_fill_17rocblas_diagonal_T1_iil.has_indirect_call, 0
	.section	.AMDGPU.csdata,"",@progbits
; Kernel info:
; codeLenInByte = 15332
; TotalNumSgprs: 40
; NumVgprs: 96
; ScratchSize: 0
; MemoryBound: 0
; FloatMode: 240
; IeeeMode: 1
; LDSByteSize: 160 bytes/workgroup (compile time only)
; SGPRBlocks: 4
; VGPRBlocks: 23
; NumSGPRsForWavesPerEU: 40
; NumVGPRsForWavesPerEU: 96
; Occupancy: 2
; WaveLimiterHint : 0
; COMPUTE_PGM_RSRC2:SCRATCH_EN: 0
; COMPUTE_PGM_RSRC2:USER_SGPR: 6
; COMPUTE_PGM_RSRC2:TRAP_HANDLER: 0
; COMPUTE_PGM_RSRC2:TGID_X_EN: 1
; COMPUTE_PGM_RSRC2:TGID_Y_EN: 0
; COMPUTE_PGM_RSRC2:TGID_Z_EN: 0
; COMPUTE_PGM_RSRC2:TIDIG_COMP_CNT: 0
	.section	.text._ZN9rocsolver6v33100L18trti2_kernel_smallILi11EdPdEEv13rocblas_fill_17rocblas_diagonal_T1_iil,"axG",@progbits,_ZN9rocsolver6v33100L18trti2_kernel_smallILi11EdPdEEv13rocblas_fill_17rocblas_diagonal_T1_iil,comdat
	.globl	_ZN9rocsolver6v33100L18trti2_kernel_smallILi11EdPdEEv13rocblas_fill_17rocblas_diagonal_T1_iil ; -- Begin function _ZN9rocsolver6v33100L18trti2_kernel_smallILi11EdPdEEv13rocblas_fill_17rocblas_diagonal_T1_iil
	.p2align	8
	.type	_ZN9rocsolver6v33100L18trti2_kernel_smallILi11EdPdEEv13rocblas_fill_17rocblas_diagonal_T1_iil,@function
_ZN9rocsolver6v33100L18trti2_kernel_smallILi11EdPdEEv13rocblas_fill_17rocblas_diagonal_T1_iil: ; @_ZN9rocsolver6v33100L18trti2_kernel_smallILi11EdPdEEv13rocblas_fill_17rocblas_diagonal_T1_iil
; %bb.0:
	v_cmp_gt_u32_e32 vcc, 11, v0
	s_and_saveexec_b64 s[0:1], vcc
	s_cbranch_execz .LBB10_250
; %bb.1:
	s_load_dwordx8 s[20:27], s[4:5], 0x0
	s_ashr_i32 s2, s6, 31
	v_lshlrev_b32_e32 v26, 3, v0
	v_mov_b32_e32 v24, 0
	v_mov_b32_e32 v25, 0xbff00000
	s_waitcnt lgkmcnt(0)
	s_mul_hi_u32 s3, s26, s6
	s_mul_i32 s2, s26, s2
	s_add_i32 s2, s3, s2
	s_mul_i32 s3, s27, s6
	s_add_i32 s3, s2, s3
	s_mul_i32 s2, s26, s6
	s_ashr_i32 s1, s24, 31
	s_lshl_b64 s[2:3], s[2:3], 3
	s_mov_b32 s0, s24
	s_add_u32 s2, s22, s2
	s_addc_u32 s3, s23, s3
	s_lshl_b64 s[0:1], s[0:1], 3
	s_add_u32 s0, s2, s0
	s_addc_u32 s1, s3, s1
	s_add_i32 s2, s25, s25
	v_add_u32_e32 v1, s2, v0
	v_ashrrev_i32_e32 v2, 31, v1
	v_lshlrev_b64 v[2:3], 3, v[1:2]
	v_add_u32_e32 v1, s25, v1
	v_mov_b32_e32 v4, s1
	v_add_co_u32_e32 v56, vcc, s0, v2
	v_ashrrev_i32_e32 v2, 31, v1
	v_addc_co_u32_e32 v57, vcc, v4, v3, vcc
	v_lshlrev_b64 v[2:3], 3, v[1:2]
	v_add_u32_e32 v1, s25, v1
	v_add_co_u32_e32 v58, vcc, s0, v2
	v_ashrrev_i32_e32 v2, 31, v1
	v_addc_co_u32_e32 v59, vcc, v4, v3, vcc
	v_lshlrev_b64 v[2:3], 3, v[1:2]
	v_add_u32_e32 v1, s25, v1
	;; [unrolled: 5-line block ×7, first 2 shown]
	v_add_co_u32_e32 v70, vcc, s0, v2
	v_ashrrev_i32_e32 v2, 31, v1
	v_lshlrev_b64 v[1:2], 3, v[1:2]
	v_addc_co_u32_e32 v71, vcc, v4, v3, vcc
	v_mov_b32_e32 v3, s1
	v_add_co_u32_e32 v72, vcc, s0, v1
	v_addc_co_u32_e32 v73, vcc, v3, v2, vcc
	v_mov_b32_e32 v1, s1
	v_add_co_u32_e32 v74, vcc, s0, v26
	s_ashr_i32 s3, s25, 31
	s_mov_b32 s2, s25
	v_addc_co_u32_e32 v75, vcc, 0, v1, vcc
	s_lshl_b64 s[2:3], s[2:3], 3
	v_mov_b32_e32 v1, s3
	v_add_co_u32_e32 v76, vcc, s2, v74
	v_addc_co_u32_e32 v77, vcc, v75, v1, vcc
	global_load_dwordx2 v[4:5], v[76:77], off
	global_load_dwordx2 v[6:7], v[56:57], off
	;; [unrolled: 1-line block ×8, first 2 shown]
	global_load_dwordx2 v[2:3], v26, s[0:1]
	global_load_dwordx2 v[20:21], v[70:71], off
	global_load_dwordx2 v[22:23], v[72:73], off
	s_cmpk_lg_i32 s21, 0x84
	s_cselect_b64 s[22:23], -1, 0
	s_cmpk_eq_i32 s21, 0x84
	v_mov_b32_e32 v1, 0
	s_cbranch_scc1 .LBB10_3
; %bb.2:
	v_cmp_eq_u32_e64 s[0:1], 1, v0
	s_waitcnt vmcnt(2)
	v_cndmask_b32_e64 v24, v3, v5, s[0:1]
	v_cmp_eq_u32_e64 s[2:3], 2, v0
	v_cndmask_b32_e64 v24, v24, v7, s[2:3]
	v_cmp_eq_u32_e64 s[4:5], 3, v0
	;; [unrolled: 2-line block ×8, first 2 shown]
	s_waitcnt vmcnt(1)
	v_cndmask_b32_e64 v24, v24, v21, s[16:17]
	v_cmp_eq_u32_e64 s[18:19], 10, v0
	s_waitcnt vmcnt(0)
	v_cndmask_b32_e64 v25, v24, v23, s[18:19]
	v_cndmask_b32_e64 v24, v2, v4, s[0:1]
	;; [unrolled: 1-line block ×11, first 2 shown]
	v_div_scale_f64 v[27:28], s[24:25], v[24:25], v[24:25], 1.0
	v_rcp_f64_e32 v[29:30], v[27:28]
	v_fma_f64 v[31:32], -v[27:28], v[29:30], 1.0
	v_fma_f64 v[29:30], v[29:30], v[31:32], v[29:30]
	v_div_scale_f64 v[31:32], vcc, 1.0, v[24:25], 1.0
	v_fma_f64 v[33:34], -v[27:28], v[29:30], 1.0
	v_fma_f64 v[29:30], v[29:30], v[33:34], v[29:30]
	v_mul_f64 v[33:34], v[31:32], v[29:30]
	v_fma_f64 v[27:28], -v[27:28], v[33:34], v[31:32]
	v_div_fmas_f64 v[27:28], v[27:28], v[29:30], v[33:34]
	v_cmp_eq_u32_e32 vcc, 0, v0
	v_div_fixup_f64 v[24:25], v[27:28], v[24:25], 1.0
	v_cndmask_b32_e64 v23, v23, v25, s[18:19]
	v_cndmask_b32_e64 v22, v22, v24, s[18:19]
	;; [unrolled: 1-line block ×20, first 2 shown]
	v_cndmask_b32_e32 v3, v3, v25, vcc
	v_cndmask_b32_e32 v2, v2, v24, vcc
	v_xor_b32_e32 v25, 0x80000000, v25
.LBB10_3:
	s_cmpk_eq_i32 s20, 0x79
	v_add_u32_e32 v80, 0x60, v26
	ds_write_b64 v26, v[24:25]
	s_cbranch_scc1 .LBB10_7
; %bb.4:
	s_waitcnt vmcnt(0)
	v_mov_b32_e32 v55, v33
	v_mov_b32_e32 v54, v32
	;; [unrolled: 1-line block ×32, first 2 shown]
	v_cmp_eq_u32_e64 s[2:3], 10, v0
	ds_write_b64 v80, v[20:21]
	s_waitcnt lgkmcnt(0)
	; wave barrier
	s_and_saveexec_b64 s[20:21], s[2:3]
	s_cbranch_execz .LBB10_11
; %bb.5:
	s_and_b64 vcc, exec, s[22:23]
	s_cbranch_vccz .LBB10_8
; %bb.6:
	v_cmp_eq_u32_e32 vcc, 1, v0
	v_cndmask_b32_e32 v24, v3, v5, vcc
	v_cmp_eq_u32_e64 s[0:1], 2, v0
	v_cndmask_b32_e64 v24, v24, v7, s[0:1]
	v_cmp_eq_u32_e64 s[4:5], 3, v0
	v_cndmask_b32_e64 v24, v24, v9, s[4:5]
	v_cmp_eq_u32_e64 s[6:7], 4, v0
	v_cndmask_b32_e64 v24, v24, v11, s[6:7]
	v_cmp_eq_u32_e64 s[8:9], 5, v0
	v_cndmask_b32_e64 v24, v24, v13, s[8:9]
	v_cmp_eq_u32_e64 s[10:11], 6, v0
	v_cndmask_b32_e64 v24, v24, v15, s[10:11]
	v_cmp_eq_u32_e64 s[12:13], 7, v0
	v_cndmask_b32_e64 v24, v24, v17, s[12:13]
	v_cmp_eq_u32_e64 s[14:15], 8, v0
	v_cndmask_b32_e64 v24, v24, v19, s[14:15]
	v_cmp_eq_u32_e64 s[16:17], 9, v0
	v_cndmask_b32_e64 v24, v24, v21, s[16:17]
	v_cmp_eq_u32_e64 s[18:19], 10, v0
	v_cndmask_b32_e64 v25, v24, v23, s[18:19]
	v_cndmask_b32_e32 v24, v2, v4, vcc
	v_cndmask_b32_e64 v24, v24, v6, s[0:1]
	v_cndmask_b32_e64 v24, v24, v8, s[4:5]
	;; [unrolled: 1-line block ×5, first 2 shown]
	ds_read_b64 v[26:27], v80
	v_cndmask_b32_e64 v24, v24, v16, s[12:13]
	v_cndmask_b32_e64 v24, v24, v18, s[14:15]
	;; [unrolled: 1-line block ×4, first 2 shown]
	s_waitcnt lgkmcnt(0)
	v_mul_f64 v[28:29], v[24:25], v[26:27]
	s_cbranch_execz .LBB10_9
	s_branch .LBB10_10
.LBB10_7:
                                        ; implicit-def: $vgpr24_vgpr25_vgpr26_vgpr27_vgpr28_vgpr29_vgpr30_vgpr31_vgpr32_vgpr33_vgpr34_vgpr35_vgpr36_vgpr37_vgpr38_vgpr39_vgpr40_vgpr41_vgpr42_vgpr43_vgpr44_vgpr45_vgpr46_vgpr47_vgpr48_vgpr49_vgpr50_vgpr51_vgpr52_vgpr53_vgpr54_vgpr55
	s_cbranch_execnz .LBB10_146
	s_branch .LBB10_249
.LBB10_8:
                                        ; implicit-def: $vgpr28_vgpr29
.LBB10_9:
	ds_read_b64 v[28:29], v80
.LBB10_10:
	v_mov_b32_e32 v24, 0
	ds_read_b64 v[30:31], v24 offset:72
	v_mov_b32_e32 v24, v2
	v_mov_b32_e32 v25, v3
	;; [unrolled: 1-line block ×4, first 2 shown]
	s_waitcnt lgkmcnt(0)
	v_mul_f64 v[42:43], v[28:29], v[30:31]
	v_mov_b32_e32 v28, v6
	v_mov_b32_e32 v29, v7
	;; [unrolled: 1-line block ×16, first 2 shown]
.LBB10_11:
	s_or_b64 exec, exec, s[20:21]
	v_cmp_lt_u32_e64 s[0:1], 8, v0
	ds_write_b64 v80, v[40:41]
	s_waitcnt lgkmcnt(0)
	; wave barrier
	s_and_saveexec_b64 s[24:25], s[0:1]
	s_cbranch_execz .LBB10_17
; %bb.12:
	s_andn2_b64 vcc, exec, s[22:23]
	s_cbranch_vccnz .LBB10_14
; %bb.13:
	v_cmp_eq_u32_e32 vcc, 1, v0
	v_cndmask_b32_e32 v46, v25, v27, vcc
	v_cmp_eq_u32_e64 s[4:5], 2, v0
	v_cndmask_b32_e64 v46, v46, v29, s[4:5]
	v_cmp_eq_u32_e64 s[6:7], 3, v0
	v_cndmask_b32_e64 v46, v46, v31, s[6:7]
	;; [unrolled: 2-line block ×7, first 2 shown]
	v_cndmask_b32_e32 v46, v24, v26, vcc
	v_cndmask_b32_e64 v46, v46, v28, s[4:5]
	v_cndmask_b32_e64 v46, v46, v30, s[6:7]
	;; [unrolled: 1-line block ×5, first 2 shown]
	ds_read_b64 v[46:47], v80
	v_cndmask_b32_e64 v48, v48, v38, s[14:15]
	v_cmp_eq_u32_e64 s[18:19], 9, v0
	v_cndmask_b32_e64 v40, v48, v40, s[16:17]
	v_cndmask_b32_e64 v41, v41, v43, s[18:19]
	v_cmp_eq_u32_e64 s[20:21], 10, v0
	v_cndmask_b32_e64 v40, v40, v42, s[18:19]
	v_cndmask_b32_e64 v41, v41, v45, s[20:21]
	;; [unrolled: 1-line block ×3, first 2 shown]
	s_waitcnt lgkmcnt(0)
	v_mul_f64 v[40:41], v[40:41], v[46:47]
	s_cbranch_execz .LBB10_15
	s_branch .LBB10_16
.LBB10_14:
                                        ; implicit-def: $vgpr40_vgpr41
.LBB10_15:
	ds_read_b64 v[40:41], v80
.LBB10_16:
	v_mov_b32_e32 v46, 0
	ds_read2_b64 v[46:49], v46 offset0:8 offset1:21
	s_waitcnt lgkmcnt(0)
	v_fma_f64 v[48:49], v[42:43], v[48:49], v[40:41]
	v_cndmask_b32_e64 v41, v41, v49, s[2:3]
	v_cndmask_b32_e64 v40, v40, v48, s[2:3]
	v_mul_f64 v[40:41], v[40:41], v[46:47]
.LBB10_17:
	s_or_b64 exec, exec, s[24:25]
	v_cmp_lt_u32_e64 s[2:3], 7, v0
	ds_write_b64 v80, v[38:39]
	s_waitcnt lgkmcnt(0)
	; wave barrier
	s_and_saveexec_b64 s[24:25], s[2:3]
	s_cbranch_execz .LBB10_33
; %bb.18:
	s_andn2_b64 vcc, exec, s[22:23]
	s_cbranch_vccnz .LBB10_20
; %bb.19:
	v_cmp_eq_u32_e32 vcc, 1, v0
	v_cndmask_b32_e32 v78, v25, v27, vcc
	v_cmp_eq_u32_e64 s[4:5], 2, v0
	v_cndmask_b32_e64 v78, v78, v29, s[4:5]
	v_cmp_eq_u32_e64 s[6:7], 3, v0
	v_cndmask_b32_e64 v78, v78, v31, s[6:7]
	;; [unrolled: 2-line block ×9, first 2 shown]
	v_cndmask_b32_e32 v78, v24, v26, vcc
	v_cndmask_b32_e64 v78, v78, v28, s[4:5]
	v_cndmask_b32_e64 v78, v78, v30, s[6:7]
	;; [unrolled: 1-line block ×5, first 2 shown]
	ds_read_b64 v[81:82], v80
	v_cndmask_b32_e64 v78, v78, v38, s[14:15]
	v_cndmask_b32_e64 v78, v78, v40, s[16:17]
	;; [unrolled: 1-line block ×4, first 2 shown]
	s_waitcnt lgkmcnt(0)
	v_mul_f64 v[78:79], v[78:79], v[81:82]
	s_cbranch_execz .LBB10_21
	s_branch .LBB10_22
.LBB10_20:
                                        ; implicit-def: $vgpr78_vgpr79
.LBB10_21:
	ds_read_b64 v[78:79], v80
.LBB10_22:
	s_and_saveexec_b64 s[4:5], s[0:1]
	s_cbranch_execz .LBB10_32
; %bb.23:
	v_add_u32_e32 v81, -9, v0
	v_cmp_lt_u32_e32 vcc, 6, v81
	v_mov_b32_e32 v81, 8
	s_and_saveexec_b64 s[0:1], vcc
	s_cbranch_execz .LBB10_27
; %bb.24:
	v_and_b32_e32 v81, 8, v0
	v_sub_u32_e32 v82, 0, v81
	s_mov_b64 s[6:7], 15
	s_movk_i32 s10, 0xa0
	s_mov_b64 s[8:9], 0
.LBB10_25:                              ; =>This Inner Loop Header: Depth=1
	s_lshl_b32 s11, s6, 1
	s_add_i32 s12, s11, -13
	v_mov_b32_e32 v81, s10
	s_add_i32 s13, s11, -14
	s_set_gpr_idx_on s12, gpr_idx(SRC0)
	v_mov_b32_e32 v92, v24
	s_set_gpr_idx_off
	s_set_gpr_idx_on s13, gpr_idx(SRC0)
	v_mov_b32_e32 v91, v24
	s_set_gpr_idx_off
	ds_read_b128 v[83:86], v81
	ds_read_b128 v[87:90], v81 offset:16
	s_add_i32 s12, s11, -11
	s_add_i32 s13, s11, -12
	s_waitcnt lgkmcnt(1)
	v_fma_f64 v[78:79], v[91:92], v[83:84], v[78:79]
	ds_read_b128 v[91:94], v81 offset:32
	ds_read_b128 v[95:98], v81 offset:48
	s_set_gpr_idx_on s12, gpr_idx(SRC0)
	v_mov_b32_e32 v84, v24
	s_set_gpr_idx_off
	s_set_gpr_idx_on s13, gpr_idx(SRC0)
	v_mov_b32_e32 v83, v24
	s_set_gpr_idx_off
	s_add_i32 s12, s11, -9
	s_add_i32 s13, s11, -10
	v_fma_f64 v[78:79], v[83:84], v[85:86], v[78:79]
	s_set_gpr_idx_on s12, gpr_idx(SRC0)
	v_mov_b32_e32 v84, v24
	s_set_gpr_idx_off
	s_set_gpr_idx_on s13, gpr_idx(SRC0)
	v_mov_b32_e32 v83, v24
	s_set_gpr_idx_off
	s_add_i32 s12, s11, -7
	s_add_i32 s13, s11, -8
	s_waitcnt lgkmcnt(2)
	v_fma_f64 v[78:79], v[83:84], v[87:88], v[78:79]
	s_set_gpr_idx_on s12, gpr_idx(SRC0)
	v_mov_b32_e32 v84, v24
	s_set_gpr_idx_off
	s_set_gpr_idx_on s13, gpr_idx(SRC0)
	v_mov_b32_e32 v83, v24
	s_set_gpr_idx_off
	s_add_i32 s12, s11, -5
	s_add_i32 s13, s11, -6
	v_fma_f64 v[78:79], v[83:84], v[89:90], v[78:79]
	s_set_gpr_idx_on s12, gpr_idx(SRC0)
	v_mov_b32_e32 v84, v24
	s_set_gpr_idx_off
	s_set_gpr_idx_on s13, gpr_idx(SRC0)
	v_mov_b32_e32 v83, v24
	s_set_gpr_idx_off
	s_add_i32 s12, s11, -3
	s_add_i32 s13, s11, -4
	s_waitcnt lgkmcnt(1)
	v_fma_f64 v[78:79], v[83:84], v[91:92], v[78:79]
	s_set_gpr_idx_on s12, gpr_idx(SRC0)
	v_mov_b32_e32 v84, v24
	s_set_gpr_idx_off
	s_set_gpr_idx_on s13, gpr_idx(SRC0)
	v_mov_b32_e32 v83, v24
	s_set_gpr_idx_off
	s_add_i32 s12, s11, -1
	s_add_i32 s13, s11, -2
	s_add_u32 s6, s6, 8
	v_add_u32_e32 v81, s6, v82
	s_addc_u32 s7, s7, 0
	v_fma_f64 v[78:79], v[83:84], v[93:94], v[78:79]
	s_set_gpr_idx_on s12, gpr_idx(SRC0)
	v_mov_b32_e32 v84, v24
	s_set_gpr_idx_off
	s_set_gpr_idx_on s13, gpr_idx(SRC0)
	v_mov_b32_e32 v83, v24
	s_set_gpr_idx_off
	s_add_i32 s10, s10, 64
	v_cmp_eq_u32_e32 vcc, 7, v81
	s_waitcnt lgkmcnt(0)
	v_fma_f64 v[78:79], v[83:84], v[95:96], v[78:79]
	s_set_gpr_idx_on s11, gpr_idx(SRC0)
	v_mov_b32_e32 v84, v25
	v_mov_b32_e32 v83, v24
	s_set_gpr_idx_off
	s_add_i32 s11, s6, -7
	s_or_b64 s[8:9], vcc, s[8:9]
	v_mov_b32_e32 v81, s11
	v_fma_f64 v[78:79], v[83:84], v[97:98], v[78:79]
	s_andn2_b64 exec, exec, s[8:9]
	s_cbranch_execnz .LBB10_25
; %bb.26:
	s_or_b64 exec, exec, s[8:9]
.LBB10_27:
	s_or_b64 exec, exec, s[0:1]
	v_and_b32_e32 v46, 7, v0
	v_cmp_ne_u32_e32 vcc, 0, v46
	s_and_saveexec_b64 s[6:7], vcc
	s_cbranch_execz .LBB10_31
; %bb.28:
	v_mov_b32_e32 v47, 0x60
	v_lshl_add_u32 v47, v81, 3, v47
	v_mov_b32_e32 v48, 0
	s_mov_b64 s[8:9], 0
.LBB10_29:                              ; =>This Inner Loop Header: Depth=1
	v_cmp_eq_u32_e32 vcc, 1, v81
	v_cndmask_b32_e32 v51, v25, v27, vcc
	v_cmp_eq_u32_e64 s[0:1], 2, v81
	v_cndmask_b32_e64 v51, v51, v29, s[0:1]
	v_cndmask_b32_e32 v52, v24, v26, vcc
	v_cmp_eq_u32_e32 vcc, 3, v81
	v_cndmask_b32_e32 v51, v51, v31, vcc
	v_cndmask_b32_e64 v52, v52, v28, s[0:1]
	v_cmp_eq_u32_e64 s[0:1], 4, v81
	v_cndmask_b32_e64 v51, v51, v33, s[0:1]
	v_cndmask_b32_e32 v52, v52, v30, vcc
	v_cmp_eq_u32_e32 vcc, 5, v81
	v_cndmask_b32_e32 v51, v51, v35, vcc
	v_cndmask_b32_e64 v52, v52, v32, s[0:1]
	v_cmp_eq_u32_e64 s[0:1], 6, v81
	v_cndmask_b32_e64 v51, v51, v37, s[0:1]
	v_cndmask_b32_e32 v52, v52, v34, vcc
	v_cmp_eq_u32_e32 vcc, 7, v81
	ds_read_b64 v[49:50], v47
	v_cndmask_b32_e32 v51, v51, v39, vcc
	v_cndmask_b32_e64 v52, v52, v36, s[0:1]
	v_cmp_eq_u32_e64 s[0:1], 8, v81
	v_cndmask_b32_e64 v51, v51, v41, s[0:1]
	v_cndmask_b32_e32 v52, v52, v38, vcc
	v_cmp_eq_u32_e32 vcc, 9, v81
	v_cndmask_b32_e32 v51, v51, v43, vcc
	v_cndmask_b32_e64 v53, v52, v40, s[0:1]
	v_cmp_eq_u32_e64 s[0:1], 10, v81
	v_cndmask_b32_e64 v52, v51, v45, s[0:1]
	v_cndmask_b32_e32 v51, v53, v42, vcc
	v_cndmask_b32_e64 v51, v51, v44, s[0:1]
	s_waitcnt lgkmcnt(0)
	v_fma_f64 v[78:79], v[51:52], v[49:50], v[78:79]
	v_add_u32_e32 v46, -1, v46
	v_cmp_eq_u32_e32 vcc, 0, v46
	s_or_b64 s[8:9], vcc, s[8:9]
	v_add_co_u32_e32 v81, vcc, 1, v81
	v_add_u32_e32 v47, 8, v47
	v_addc_co_u32_e32 v48, vcc, 0, v48, vcc
	s_andn2_b64 exec, exec, s[8:9]
	s_cbranch_execnz .LBB10_29
; %bb.30:
	s_or_b64 exec, exec, s[8:9]
.LBB10_31:
	s_or_b64 exec, exec, s[6:7]
.LBB10_32:
	s_or_b64 exec, exec, s[4:5]
	v_mov_b32_e32 v38, 0
	ds_read_b64 v[38:39], v38 offset:56
	s_waitcnt lgkmcnt(0)
	v_mul_f64 v[38:39], v[78:79], v[38:39]
.LBB10_33:
	s_or_b64 exec, exec, s[24:25]
	v_cmp_lt_u32_e64 s[0:1], 6, v0
	ds_write_b64 v80, v[36:37]
	s_waitcnt lgkmcnt(0)
	; wave barrier
	s_and_saveexec_b64 s[24:25], s[0:1]
	s_cbranch_execz .LBB10_49
; %bb.34:
	s_andn2_b64 vcc, exec, s[22:23]
	s_cbranch_vccnz .LBB10_36
; %bb.35:
	v_cmp_eq_u32_e32 vcc, 1, v0
	v_cndmask_b32_e32 v78, v25, v27, vcc
	v_cmp_eq_u32_e64 s[4:5], 2, v0
	v_cndmask_b32_e64 v78, v78, v29, s[4:5]
	v_cmp_eq_u32_e64 s[6:7], 3, v0
	v_cndmask_b32_e64 v78, v78, v31, s[6:7]
	;; [unrolled: 2-line block ×9, first 2 shown]
	v_cndmask_b32_e32 v78, v24, v26, vcc
	v_cndmask_b32_e64 v78, v78, v28, s[4:5]
	v_cndmask_b32_e64 v78, v78, v30, s[6:7]
	;; [unrolled: 1-line block ×5, first 2 shown]
	ds_read_b64 v[81:82], v80
	v_cndmask_b32_e64 v78, v78, v38, s[14:15]
	v_cndmask_b32_e64 v78, v78, v40, s[16:17]
	;; [unrolled: 1-line block ×4, first 2 shown]
	s_waitcnt lgkmcnt(0)
	v_mul_f64 v[78:79], v[78:79], v[81:82]
	s_cbranch_execz .LBB10_37
	s_branch .LBB10_38
.LBB10_36:
                                        ; implicit-def: $vgpr78_vgpr79
.LBB10_37:
	ds_read_b64 v[78:79], v80
.LBB10_38:
	s_and_saveexec_b64 s[4:5], s[2:3]
	s_cbranch_execz .LBB10_48
; %bb.39:
	v_add_u32_e32 v82, -8, v0
	v_add_u32_e32 v81, -7, v0
	v_cmp_lt_u32_e32 vcc, 6, v82
	v_mov_b32_e32 v82, 7
	s_and_saveexec_b64 s[2:3], vcc
	s_cbranch_execz .LBB10_43
; %bb.40:
	v_and_b32_e32 v82, -8, v81
	v_sub_u32_e32 v83, 0, v82
	s_mov_b64 s[6:7], 14
	s_movk_i32 s10, 0x98
	s_mov_b64 s[8:9], 0
.LBB10_41:                              ; =>This Inner Loop Header: Depth=1
	s_lshl_b32 s11, s6, 1
	s_add_i32 s12, s11, -13
	v_mov_b32_e32 v82, s10
	s_add_i32 s13, s11, -14
	s_set_gpr_idx_on s12, gpr_idx(SRC0)
	v_mov_b32_e32 v89, v24
	s_set_gpr_idx_off
	s_set_gpr_idx_on s13, gpr_idx(SRC0)
	v_mov_b32_e32 v88, v24
	s_set_gpr_idx_off
	ds_read2_b64 v[84:87], v82 offset1:1
	s_add_i32 s12, s11, -11
	s_add_i32 s13, s11, -12
	s_add_i32 s14, s11, -9
	s_add_i32 s15, s11, -10
	s_waitcnt lgkmcnt(0)
	v_fma_f64 v[78:79], v[88:89], v[84:85], v[78:79]
	s_set_gpr_idx_on s12, gpr_idx(SRC0)
	v_mov_b32_e32 v85, v24
	s_set_gpr_idx_off
	s_set_gpr_idx_on s13, gpr_idx(SRC0)
	v_mov_b32_e32 v84, v24
	s_set_gpr_idx_off
	s_add_i32 s12, s11, -7
	s_add_i32 s13, s11, -8
	v_fma_f64 v[78:79], v[84:85], v[86:87], v[78:79]
	s_set_gpr_idx_on s14, gpr_idx(SRC0)
	v_mov_b32_e32 v89, v24
	s_set_gpr_idx_off
	s_set_gpr_idx_on s15, gpr_idx(SRC0)
	v_mov_b32_e32 v88, v24
	s_set_gpr_idx_off
	ds_read2_b64 v[84:87], v82 offset0:2 offset1:3
	s_add_i32 s14, s11, -5
	s_add_i32 s15, s11, -6
	s_waitcnt lgkmcnt(0)
	v_fma_f64 v[78:79], v[88:89], v[84:85], v[78:79]
	s_set_gpr_idx_on s12, gpr_idx(SRC0)
	v_mov_b32_e32 v85, v24
	s_set_gpr_idx_off
	s_set_gpr_idx_on s13, gpr_idx(SRC0)
	v_mov_b32_e32 v84, v24
	s_set_gpr_idx_off
	s_add_i32 s12, s11, -3
	s_add_i32 s13, s11, -4
	v_fma_f64 v[78:79], v[84:85], v[86:87], v[78:79]
	s_set_gpr_idx_on s14, gpr_idx(SRC0)
	v_mov_b32_e32 v89, v24
	s_set_gpr_idx_off
	s_set_gpr_idx_on s15, gpr_idx(SRC0)
	v_mov_b32_e32 v88, v24
	s_set_gpr_idx_off
	ds_read2_b64 v[84:87], v82 offset0:4 offset1:5
	s_add_i32 s14, s11, -1
	s_add_i32 s15, s11, -2
	s_add_u32 s6, s6, 8
	s_addc_u32 s7, s7, 0
	s_waitcnt lgkmcnt(0)
	v_fma_f64 v[78:79], v[88:89], v[84:85], v[78:79]
	s_set_gpr_idx_on s12, gpr_idx(SRC0)
	v_mov_b32_e32 v85, v24
	s_set_gpr_idx_off
	s_set_gpr_idx_on s13, gpr_idx(SRC0)
	v_mov_b32_e32 v84, v24
	s_set_gpr_idx_off
	s_add_i32 s10, s10, 64
	v_fma_f64 v[78:79], v[84:85], v[86:87], v[78:79]
	s_set_gpr_idx_on s14, gpr_idx(SRC0)
	v_mov_b32_e32 v89, v24
	s_set_gpr_idx_off
	s_set_gpr_idx_on s15, gpr_idx(SRC0)
	v_mov_b32_e32 v88, v24
	s_set_gpr_idx_off
	ds_read2_b64 v[84:87], v82 offset0:6 offset1:7
	v_add_u32_e32 v82, s6, v83
	v_cmp_eq_u32_e32 vcc, 14, v82
	s_waitcnt lgkmcnt(0)
	v_fma_f64 v[78:79], v[88:89], v[84:85], v[78:79]
	s_set_gpr_idx_on s11, gpr_idx(SRC0)
	v_mov_b32_e32 v85, v25
	v_mov_b32_e32 v84, v24
	s_set_gpr_idx_off
	s_add_i32 s11, s6, -7
	s_or_b64 s[8:9], vcc, s[8:9]
	v_mov_b32_e32 v82, s11
	v_fma_f64 v[78:79], v[84:85], v[86:87], v[78:79]
	s_andn2_b64 exec, exec, s[8:9]
	s_cbranch_execnz .LBB10_41
; %bb.42:
	s_or_b64 exec, exec, s[8:9]
.LBB10_43:
	s_or_b64 exec, exec, s[2:3]
	v_and_b32_e32 v46, 7, v81
	v_cmp_ne_u32_e32 vcc, 0, v46
	s_and_saveexec_b64 s[6:7], vcc
	s_cbranch_execz .LBB10_47
; %bb.44:
	v_mov_b32_e32 v47, 0x60
	v_lshl_add_u32 v47, v82, 3, v47
	v_mov_b32_e32 v48, 0
	s_mov_b64 s[8:9], 0
.LBB10_45:                              ; =>This Inner Loop Header: Depth=1
	v_cmp_eq_u32_e32 vcc, 1, v82
	v_cndmask_b32_e32 v51, v25, v27, vcc
	v_cmp_eq_u32_e64 s[2:3], 2, v82
	v_cndmask_b32_e64 v51, v51, v29, s[2:3]
	v_cndmask_b32_e32 v52, v24, v26, vcc
	v_cmp_eq_u32_e32 vcc, 3, v82
	v_cndmask_b32_e32 v51, v51, v31, vcc
	v_cndmask_b32_e64 v52, v52, v28, s[2:3]
	v_cmp_eq_u32_e64 s[2:3], 4, v82
	v_cndmask_b32_e64 v51, v51, v33, s[2:3]
	v_cndmask_b32_e32 v52, v52, v30, vcc
	v_cmp_eq_u32_e32 vcc, 5, v82
	v_cndmask_b32_e32 v51, v51, v35, vcc
	v_cndmask_b32_e64 v52, v52, v32, s[2:3]
	v_cmp_eq_u32_e64 s[2:3], 6, v82
	v_cndmask_b32_e64 v51, v51, v37, s[2:3]
	v_cndmask_b32_e32 v52, v52, v34, vcc
	v_cmp_eq_u32_e32 vcc, 7, v82
	ds_read_b64 v[49:50], v47
	v_cndmask_b32_e32 v51, v51, v39, vcc
	v_cndmask_b32_e64 v52, v52, v36, s[2:3]
	v_cmp_eq_u32_e64 s[2:3], 8, v82
	v_cndmask_b32_e64 v51, v51, v41, s[2:3]
	v_cndmask_b32_e32 v52, v52, v38, vcc
	v_cmp_eq_u32_e32 vcc, 9, v82
	v_cndmask_b32_e32 v51, v51, v43, vcc
	v_cndmask_b32_e64 v53, v52, v40, s[2:3]
	v_cmp_eq_u32_e64 s[2:3], 10, v82
	v_cndmask_b32_e64 v52, v51, v45, s[2:3]
	v_cndmask_b32_e32 v51, v53, v42, vcc
	v_cndmask_b32_e64 v51, v51, v44, s[2:3]
	s_waitcnt lgkmcnt(0)
	v_fma_f64 v[78:79], v[51:52], v[49:50], v[78:79]
	v_add_u32_e32 v46, -1, v46
	v_cmp_eq_u32_e32 vcc, 0, v46
	s_or_b64 s[8:9], vcc, s[8:9]
	v_add_co_u32_e32 v82, vcc, 1, v82
	v_add_u32_e32 v47, 8, v47
	v_addc_co_u32_e32 v48, vcc, 0, v48, vcc
	s_andn2_b64 exec, exec, s[8:9]
	s_cbranch_execnz .LBB10_45
; %bb.46:
	s_or_b64 exec, exec, s[8:9]
.LBB10_47:
	s_or_b64 exec, exec, s[6:7]
.LBB10_48:
	s_or_b64 exec, exec, s[4:5]
	v_mov_b32_e32 v36, 0
	ds_read_b64 v[36:37], v36 offset:48
	s_waitcnt lgkmcnt(0)
	v_mul_f64 v[36:37], v[78:79], v[36:37]
.LBB10_49:
	s_or_b64 exec, exec, s[24:25]
	v_cmp_lt_u32_e64 s[2:3], 5, v0
	ds_write_b64 v80, v[34:35]
	s_waitcnt lgkmcnt(0)
	; wave barrier
	s_and_saveexec_b64 s[24:25], s[2:3]
	s_cbranch_execz .LBB10_65
; %bb.50:
	s_andn2_b64 vcc, exec, s[22:23]
	s_cbranch_vccnz .LBB10_52
; %bb.51:
	v_cmp_eq_u32_e32 vcc, 1, v0
	v_cndmask_b32_e32 v78, v25, v27, vcc
	v_cmp_eq_u32_e64 s[4:5], 2, v0
	v_cndmask_b32_e64 v78, v78, v29, s[4:5]
	v_cmp_eq_u32_e64 s[6:7], 3, v0
	v_cndmask_b32_e64 v78, v78, v31, s[6:7]
	;; [unrolled: 2-line block ×9, first 2 shown]
	v_cndmask_b32_e32 v78, v24, v26, vcc
	v_cndmask_b32_e64 v78, v78, v28, s[4:5]
	v_cndmask_b32_e64 v78, v78, v30, s[6:7]
	;; [unrolled: 1-line block ×5, first 2 shown]
	ds_read_b64 v[81:82], v80
	v_cndmask_b32_e64 v78, v78, v38, s[14:15]
	v_cndmask_b32_e64 v78, v78, v40, s[16:17]
	;; [unrolled: 1-line block ×4, first 2 shown]
	s_waitcnt lgkmcnt(0)
	v_mul_f64 v[78:79], v[78:79], v[81:82]
	s_cbranch_execz .LBB10_53
	s_branch .LBB10_54
.LBB10_52:
                                        ; implicit-def: $vgpr78_vgpr79
.LBB10_53:
	ds_read_b64 v[78:79], v80
.LBB10_54:
	s_and_saveexec_b64 s[4:5], s[0:1]
	s_cbranch_execz .LBB10_64
; %bb.55:
	v_add_u32_e32 v83, -7, v0
	v_add_u32_e32 v81, -6, v0
	v_mov_b32_e32 v82, 6
	v_cmp_lt_u32_e32 vcc, 6, v83
	s_and_saveexec_b64 s[0:1], vcc
	s_cbranch_execz .LBB10_59
; %bb.56:
	v_and_b32_e32 v82, -8, v81
	v_sub_u32_e32 v83, 0, v82
	s_mov_b64 s[6:7], 13
	s_movk_i32 s10, 0x90
	s_mov_b64 s[8:9], 0
.LBB10_57:                              ; =>This Inner Loop Header: Depth=1
	s_lshl_b32 s11, s6, 1
	s_add_i32 s12, s11, -13
	v_mov_b32_e32 v82, s10
	s_add_i32 s13, s11, -14
	s_set_gpr_idx_on s12, gpr_idx(SRC0)
	v_mov_b32_e32 v93, v24
	s_set_gpr_idx_off
	s_set_gpr_idx_on s13, gpr_idx(SRC0)
	v_mov_b32_e32 v92, v24
	s_set_gpr_idx_off
	ds_read_b128 v[84:87], v82
	ds_read_b128 v[88:91], v82 offset:16
	s_add_i32 s12, s11, -11
	s_add_i32 s13, s11, -12
	s_waitcnt lgkmcnt(1)
	v_fma_f64 v[78:79], v[92:93], v[84:85], v[78:79]
	ds_read_b128 v[92:95], v82 offset:32
	ds_read_b128 v[96:99], v82 offset:48
	s_set_gpr_idx_on s12, gpr_idx(SRC0)
	v_mov_b32_e32 v85, v24
	s_set_gpr_idx_off
	s_set_gpr_idx_on s13, gpr_idx(SRC0)
	v_mov_b32_e32 v84, v24
	s_set_gpr_idx_off
	s_add_i32 s12, s11, -9
	s_add_i32 s13, s11, -10
	v_fma_f64 v[78:79], v[84:85], v[86:87], v[78:79]
	s_set_gpr_idx_on s12, gpr_idx(SRC0)
	v_mov_b32_e32 v85, v24
	s_set_gpr_idx_off
	s_set_gpr_idx_on s13, gpr_idx(SRC0)
	v_mov_b32_e32 v84, v24
	s_set_gpr_idx_off
	s_add_i32 s12, s11, -7
	s_add_i32 s13, s11, -8
	s_waitcnt lgkmcnt(2)
	v_fma_f64 v[78:79], v[84:85], v[88:89], v[78:79]
	s_set_gpr_idx_on s12, gpr_idx(SRC0)
	v_mov_b32_e32 v85, v24
	s_set_gpr_idx_off
	s_set_gpr_idx_on s13, gpr_idx(SRC0)
	v_mov_b32_e32 v84, v24
	s_set_gpr_idx_off
	s_add_i32 s12, s11, -5
	s_add_i32 s13, s11, -6
	v_fma_f64 v[78:79], v[84:85], v[90:91], v[78:79]
	s_set_gpr_idx_on s12, gpr_idx(SRC0)
	v_mov_b32_e32 v85, v24
	s_set_gpr_idx_off
	s_set_gpr_idx_on s13, gpr_idx(SRC0)
	v_mov_b32_e32 v84, v24
	s_set_gpr_idx_off
	s_add_i32 s12, s11, -3
	s_add_i32 s13, s11, -4
	s_waitcnt lgkmcnt(1)
	v_fma_f64 v[78:79], v[84:85], v[92:93], v[78:79]
	s_set_gpr_idx_on s12, gpr_idx(SRC0)
	v_mov_b32_e32 v85, v24
	s_set_gpr_idx_off
	s_set_gpr_idx_on s13, gpr_idx(SRC0)
	v_mov_b32_e32 v84, v24
	s_set_gpr_idx_off
	s_add_i32 s12, s11, -1
	s_add_i32 s13, s11, -2
	s_add_u32 s6, s6, 8
	v_add_u32_e32 v82, s6, v83
	s_addc_u32 s7, s7, 0
	v_fma_f64 v[78:79], v[84:85], v[94:95], v[78:79]
	s_set_gpr_idx_on s12, gpr_idx(SRC0)
	v_mov_b32_e32 v85, v24
	s_set_gpr_idx_off
	s_set_gpr_idx_on s13, gpr_idx(SRC0)
	v_mov_b32_e32 v84, v24
	s_set_gpr_idx_off
	s_add_i32 s10, s10, 64
	v_cmp_eq_u32_e32 vcc, 13, v82
	s_waitcnt lgkmcnt(0)
	v_fma_f64 v[78:79], v[84:85], v[96:97], v[78:79]
	s_set_gpr_idx_on s11, gpr_idx(SRC0)
	v_mov_b32_e32 v85, v25
	v_mov_b32_e32 v84, v24
	s_set_gpr_idx_off
	s_add_i32 s11, s6, -7
	s_or_b64 s[8:9], vcc, s[8:9]
	v_mov_b32_e32 v82, s11
	v_fma_f64 v[78:79], v[84:85], v[98:99], v[78:79]
	s_andn2_b64 exec, exec, s[8:9]
	s_cbranch_execnz .LBB10_57
; %bb.58:
	s_or_b64 exec, exec, s[8:9]
.LBB10_59:
	s_or_b64 exec, exec, s[0:1]
	v_and_b32_e32 v46, 7, v81
	v_cmp_ne_u32_e32 vcc, 0, v46
	s_and_saveexec_b64 s[6:7], vcc
	s_cbranch_execz .LBB10_63
; %bb.60:
	v_mov_b32_e32 v47, 0x60
	v_lshl_add_u32 v47, v82, 3, v47
	v_mov_b32_e32 v48, 0
	s_mov_b64 s[8:9], 0
.LBB10_61:                              ; =>This Inner Loop Header: Depth=1
	v_cmp_eq_u32_e32 vcc, 1, v82
	v_cndmask_b32_e32 v51, v25, v27, vcc
	v_cmp_eq_u32_e64 s[0:1], 2, v82
	v_cndmask_b32_e64 v51, v51, v29, s[0:1]
	v_cndmask_b32_e32 v52, v24, v26, vcc
	v_cmp_eq_u32_e32 vcc, 3, v82
	v_cndmask_b32_e32 v51, v51, v31, vcc
	v_cndmask_b32_e64 v52, v52, v28, s[0:1]
	v_cmp_eq_u32_e64 s[0:1], 4, v82
	v_cndmask_b32_e64 v51, v51, v33, s[0:1]
	v_cndmask_b32_e32 v52, v52, v30, vcc
	v_cmp_eq_u32_e32 vcc, 5, v82
	v_cndmask_b32_e32 v51, v51, v35, vcc
	v_cndmask_b32_e64 v52, v52, v32, s[0:1]
	v_cmp_eq_u32_e64 s[0:1], 6, v82
	v_cndmask_b32_e64 v51, v51, v37, s[0:1]
	v_cndmask_b32_e32 v52, v52, v34, vcc
	v_cmp_eq_u32_e32 vcc, 7, v82
	ds_read_b64 v[49:50], v47
	v_cndmask_b32_e32 v51, v51, v39, vcc
	v_cndmask_b32_e64 v52, v52, v36, s[0:1]
	v_cmp_eq_u32_e64 s[0:1], 8, v82
	v_cndmask_b32_e64 v51, v51, v41, s[0:1]
	v_cndmask_b32_e32 v52, v52, v38, vcc
	v_cmp_eq_u32_e32 vcc, 9, v82
	v_cndmask_b32_e32 v51, v51, v43, vcc
	v_cndmask_b32_e64 v53, v52, v40, s[0:1]
	v_cmp_eq_u32_e64 s[0:1], 10, v82
	v_cndmask_b32_e64 v52, v51, v45, s[0:1]
	v_cndmask_b32_e32 v51, v53, v42, vcc
	v_cndmask_b32_e64 v51, v51, v44, s[0:1]
	s_waitcnt lgkmcnt(0)
	v_fma_f64 v[78:79], v[51:52], v[49:50], v[78:79]
	v_add_u32_e32 v46, -1, v46
	v_cmp_eq_u32_e32 vcc, 0, v46
	s_or_b64 s[8:9], vcc, s[8:9]
	v_add_co_u32_e32 v82, vcc, 1, v82
	v_add_u32_e32 v47, 8, v47
	v_addc_co_u32_e32 v48, vcc, 0, v48, vcc
	s_andn2_b64 exec, exec, s[8:9]
	s_cbranch_execnz .LBB10_61
; %bb.62:
	s_or_b64 exec, exec, s[8:9]
.LBB10_63:
	s_or_b64 exec, exec, s[6:7]
.LBB10_64:
	s_or_b64 exec, exec, s[4:5]
	v_mov_b32_e32 v34, 0
	ds_read_b64 v[34:35], v34 offset:40
	s_waitcnt lgkmcnt(0)
	v_mul_f64 v[34:35], v[78:79], v[34:35]
.LBB10_65:
	s_or_b64 exec, exec, s[24:25]
	v_cmp_lt_u32_e64 s[0:1], 4, v0
	ds_write_b64 v80, v[32:33]
	s_waitcnt lgkmcnt(0)
	; wave barrier
	s_and_saveexec_b64 s[24:25], s[0:1]
	s_cbranch_execz .LBB10_81
; %bb.66:
	s_andn2_b64 vcc, exec, s[22:23]
	s_cbranch_vccnz .LBB10_68
; %bb.67:
	v_cmp_eq_u32_e32 vcc, 1, v0
	v_cndmask_b32_e32 v78, v25, v27, vcc
	v_cmp_eq_u32_e64 s[4:5], 2, v0
	v_cndmask_b32_e64 v78, v78, v29, s[4:5]
	v_cmp_eq_u32_e64 s[6:7], 3, v0
	v_cndmask_b32_e64 v78, v78, v31, s[6:7]
	;; [unrolled: 2-line block ×9, first 2 shown]
	v_cndmask_b32_e32 v78, v24, v26, vcc
	v_cndmask_b32_e64 v78, v78, v28, s[4:5]
	v_cndmask_b32_e64 v78, v78, v30, s[6:7]
	;; [unrolled: 1-line block ×5, first 2 shown]
	ds_read_b64 v[81:82], v80
	v_cndmask_b32_e64 v78, v78, v38, s[14:15]
	v_cndmask_b32_e64 v78, v78, v40, s[16:17]
	;; [unrolled: 1-line block ×4, first 2 shown]
	s_waitcnt lgkmcnt(0)
	v_mul_f64 v[78:79], v[78:79], v[81:82]
	s_cbranch_execz .LBB10_69
	s_branch .LBB10_70
.LBB10_68:
                                        ; implicit-def: $vgpr78_vgpr79
.LBB10_69:
	ds_read_b64 v[78:79], v80
.LBB10_70:
	s_and_saveexec_b64 s[4:5], s[2:3]
	s_cbranch_execz .LBB10_80
; %bb.71:
	v_add_u32_e32 v82, -6, v0
	v_add_u32_e32 v81, -5, v0
	v_cmp_lt_u32_e32 vcc, 6, v82
	v_mov_b32_e32 v82, 5
	s_and_saveexec_b64 s[2:3], vcc
	s_cbranch_execz .LBB10_75
; %bb.72:
	v_and_b32_e32 v82, -8, v81
	v_sub_u32_e32 v83, 0, v82
	s_mov_b64 s[6:7], 12
	s_movk_i32 s10, 0x88
	s_mov_b64 s[8:9], 0
.LBB10_73:                              ; =>This Inner Loop Header: Depth=1
	s_lshl_b32 s11, s6, 1
	s_add_i32 s12, s11, -13
	v_mov_b32_e32 v82, s10
	s_add_i32 s13, s11, -14
	s_set_gpr_idx_on s12, gpr_idx(SRC0)
	v_mov_b32_e32 v89, v24
	s_set_gpr_idx_off
	s_set_gpr_idx_on s13, gpr_idx(SRC0)
	v_mov_b32_e32 v88, v24
	s_set_gpr_idx_off
	ds_read2_b64 v[84:87], v82 offset1:1
	s_add_i32 s12, s11, -11
	s_add_i32 s13, s11, -12
	;; [unrolled: 1-line block ×4, first 2 shown]
	s_waitcnt lgkmcnt(0)
	v_fma_f64 v[78:79], v[88:89], v[84:85], v[78:79]
	s_set_gpr_idx_on s12, gpr_idx(SRC0)
	v_mov_b32_e32 v85, v24
	s_set_gpr_idx_off
	s_set_gpr_idx_on s13, gpr_idx(SRC0)
	v_mov_b32_e32 v84, v24
	s_set_gpr_idx_off
	s_add_i32 s12, s11, -7
	s_add_i32 s13, s11, -8
	v_fma_f64 v[78:79], v[84:85], v[86:87], v[78:79]
	s_set_gpr_idx_on s14, gpr_idx(SRC0)
	v_mov_b32_e32 v89, v24
	s_set_gpr_idx_off
	s_set_gpr_idx_on s15, gpr_idx(SRC0)
	v_mov_b32_e32 v88, v24
	s_set_gpr_idx_off
	ds_read2_b64 v[84:87], v82 offset0:2 offset1:3
	s_add_i32 s14, s11, -5
	s_add_i32 s15, s11, -6
	s_waitcnt lgkmcnt(0)
	v_fma_f64 v[78:79], v[88:89], v[84:85], v[78:79]
	s_set_gpr_idx_on s12, gpr_idx(SRC0)
	v_mov_b32_e32 v85, v24
	s_set_gpr_idx_off
	s_set_gpr_idx_on s13, gpr_idx(SRC0)
	v_mov_b32_e32 v84, v24
	s_set_gpr_idx_off
	s_add_i32 s12, s11, -3
	s_add_i32 s13, s11, -4
	v_fma_f64 v[78:79], v[84:85], v[86:87], v[78:79]
	s_set_gpr_idx_on s14, gpr_idx(SRC0)
	v_mov_b32_e32 v89, v24
	s_set_gpr_idx_off
	s_set_gpr_idx_on s15, gpr_idx(SRC0)
	v_mov_b32_e32 v88, v24
	s_set_gpr_idx_off
	ds_read2_b64 v[84:87], v82 offset0:4 offset1:5
	s_add_i32 s14, s11, -1
	s_add_i32 s15, s11, -2
	s_add_u32 s6, s6, 8
	s_addc_u32 s7, s7, 0
	s_waitcnt lgkmcnt(0)
	v_fma_f64 v[78:79], v[88:89], v[84:85], v[78:79]
	s_set_gpr_idx_on s12, gpr_idx(SRC0)
	v_mov_b32_e32 v85, v24
	s_set_gpr_idx_off
	s_set_gpr_idx_on s13, gpr_idx(SRC0)
	v_mov_b32_e32 v84, v24
	s_set_gpr_idx_off
	s_add_i32 s10, s10, 64
	v_fma_f64 v[78:79], v[84:85], v[86:87], v[78:79]
	s_set_gpr_idx_on s14, gpr_idx(SRC0)
	v_mov_b32_e32 v89, v24
	s_set_gpr_idx_off
	s_set_gpr_idx_on s15, gpr_idx(SRC0)
	v_mov_b32_e32 v88, v24
	s_set_gpr_idx_off
	ds_read2_b64 v[84:87], v82 offset0:6 offset1:7
	v_add_u32_e32 v82, s6, v83
	v_cmp_eq_u32_e32 vcc, 12, v82
	s_waitcnt lgkmcnt(0)
	v_fma_f64 v[78:79], v[88:89], v[84:85], v[78:79]
	s_set_gpr_idx_on s11, gpr_idx(SRC0)
	v_mov_b32_e32 v85, v25
	v_mov_b32_e32 v84, v24
	s_set_gpr_idx_off
	s_add_i32 s11, s6, -7
	s_or_b64 s[8:9], vcc, s[8:9]
	v_mov_b32_e32 v82, s11
	v_fma_f64 v[78:79], v[84:85], v[86:87], v[78:79]
	s_andn2_b64 exec, exec, s[8:9]
	s_cbranch_execnz .LBB10_73
; %bb.74:
	s_or_b64 exec, exec, s[8:9]
.LBB10_75:
	s_or_b64 exec, exec, s[2:3]
	v_and_b32_e32 v46, 7, v81
	v_cmp_ne_u32_e32 vcc, 0, v46
	s_and_saveexec_b64 s[6:7], vcc
	s_cbranch_execz .LBB10_79
; %bb.76:
	v_mov_b32_e32 v47, 0x60
	v_lshl_add_u32 v47, v82, 3, v47
	v_mov_b32_e32 v48, 0
	s_mov_b64 s[8:9], 0
.LBB10_77:                              ; =>This Inner Loop Header: Depth=1
	v_cmp_eq_u32_e32 vcc, 1, v82
	v_cndmask_b32_e32 v51, v25, v27, vcc
	v_cmp_eq_u32_e64 s[2:3], 2, v82
	v_cndmask_b32_e64 v51, v51, v29, s[2:3]
	v_cndmask_b32_e32 v52, v24, v26, vcc
	v_cmp_eq_u32_e32 vcc, 3, v82
	v_cndmask_b32_e32 v51, v51, v31, vcc
	v_cndmask_b32_e64 v52, v52, v28, s[2:3]
	v_cmp_eq_u32_e64 s[2:3], 4, v82
	v_cndmask_b32_e64 v51, v51, v33, s[2:3]
	v_cndmask_b32_e32 v52, v52, v30, vcc
	v_cmp_eq_u32_e32 vcc, 5, v82
	v_cndmask_b32_e32 v51, v51, v35, vcc
	v_cndmask_b32_e64 v52, v52, v32, s[2:3]
	v_cmp_eq_u32_e64 s[2:3], 6, v82
	v_cndmask_b32_e64 v51, v51, v37, s[2:3]
	v_cndmask_b32_e32 v52, v52, v34, vcc
	v_cmp_eq_u32_e32 vcc, 7, v82
	ds_read_b64 v[49:50], v47
	v_cndmask_b32_e32 v51, v51, v39, vcc
	v_cndmask_b32_e64 v52, v52, v36, s[2:3]
	v_cmp_eq_u32_e64 s[2:3], 8, v82
	v_cndmask_b32_e64 v51, v51, v41, s[2:3]
	v_cndmask_b32_e32 v52, v52, v38, vcc
	v_cmp_eq_u32_e32 vcc, 9, v82
	v_cndmask_b32_e32 v51, v51, v43, vcc
	v_cndmask_b32_e64 v53, v52, v40, s[2:3]
	v_cmp_eq_u32_e64 s[2:3], 10, v82
	v_cndmask_b32_e64 v52, v51, v45, s[2:3]
	v_cndmask_b32_e32 v51, v53, v42, vcc
	v_cndmask_b32_e64 v51, v51, v44, s[2:3]
	s_waitcnt lgkmcnt(0)
	v_fma_f64 v[78:79], v[51:52], v[49:50], v[78:79]
	v_add_u32_e32 v46, -1, v46
	v_cmp_eq_u32_e32 vcc, 0, v46
	s_or_b64 s[8:9], vcc, s[8:9]
	v_add_co_u32_e32 v82, vcc, 1, v82
	v_add_u32_e32 v47, 8, v47
	v_addc_co_u32_e32 v48, vcc, 0, v48, vcc
	s_andn2_b64 exec, exec, s[8:9]
	s_cbranch_execnz .LBB10_77
; %bb.78:
	s_or_b64 exec, exec, s[8:9]
.LBB10_79:
	s_or_b64 exec, exec, s[6:7]
.LBB10_80:
	s_or_b64 exec, exec, s[4:5]
	v_mov_b32_e32 v32, 0
	ds_read_b64 v[32:33], v32 offset:32
	s_waitcnt lgkmcnt(0)
	v_mul_f64 v[32:33], v[78:79], v[32:33]
.LBB10_81:
	s_or_b64 exec, exec, s[24:25]
	v_cmp_lt_u32_e64 s[2:3], 3, v0
	ds_write_b64 v80, v[30:31]
	s_waitcnt lgkmcnt(0)
	; wave barrier
	s_and_saveexec_b64 s[24:25], s[2:3]
	s_cbranch_execz .LBB10_97
; %bb.82:
	s_andn2_b64 vcc, exec, s[22:23]
	s_cbranch_vccnz .LBB10_84
; %bb.83:
	v_cmp_eq_u32_e32 vcc, 1, v0
	v_cndmask_b32_e32 v78, v25, v27, vcc
	v_cmp_eq_u32_e64 s[4:5], 2, v0
	v_cndmask_b32_e64 v78, v78, v29, s[4:5]
	v_cmp_eq_u32_e64 s[6:7], 3, v0
	v_cndmask_b32_e64 v78, v78, v31, s[6:7]
	;; [unrolled: 2-line block ×9, first 2 shown]
	v_cndmask_b32_e32 v78, v24, v26, vcc
	v_cndmask_b32_e64 v78, v78, v28, s[4:5]
	v_cndmask_b32_e64 v78, v78, v30, s[6:7]
	;; [unrolled: 1-line block ×5, first 2 shown]
	ds_read_b64 v[81:82], v80
	v_cndmask_b32_e64 v78, v78, v38, s[14:15]
	v_cndmask_b32_e64 v78, v78, v40, s[16:17]
	;; [unrolled: 1-line block ×4, first 2 shown]
	s_waitcnt lgkmcnt(0)
	v_mul_f64 v[78:79], v[78:79], v[81:82]
	s_cbranch_execz .LBB10_85
	s_branch .LBB10_86
.LBB10_84:
                                        ; implicit-def: $vgpr78_vgpr79
.LBB10_85:
	ds_read_b64 v[78:79], v80
.LBB10_86:
	s_and_saveexec_b64 s[4:5], s[0:1]
	s_cbranch_execz .LBB10_96
; %bb.87:
	v_add_u32_e32 v82, -5, v0
	v_add_u32_e32 v81, -4, v0
	v_cmp_lt_u32_e32 vcc, 6, v82
	v_mov_b32_e32 v82, 4
	s_and_saveexec_b64 s[0:1], vcc
	s_cbranch_execz .LBB10_91
; %bb.88:
	v_and_b32_e32 v82, -8, v81
	v_sub_u32_e32 v83, 0, v82
	s_mov_b64 s[6:7], 5
	s_movk_i32 s10, 0x80
	s_mov_b64 s[8:9], 0
.LBB10_89:                              ; =>This Inner Loop Header: Depth=1
	s_lshl_b32 s11, s6, 1
	s_add_i32 s12, s11, -1
	v_mov_b32_e32 v82, s10
	s_add_i32 s13, s11, -2
	s_set_gpr_idx_on s12, gpr_idx(SRC0)
	v_mov_b32_e32 v93, v24
	s_set_gpr_idx_off
	s_set_gpr_idx_on s13, gpr_idx(SRC0)
	v_mov_b32_e32 v92, v24
	s_set_gpr_idx_off
	ds_read_b128 v[84:87], v82
	ds_read_b128 v[88:91], v82 offset:16
	s_add_i32 s12, s11, 3
	s_add_i32 s13, s11, 2
	s_waitcnt lgkmcnt(1)
	v_fma_f64 v[78:79], v[92:93], v[84:85], v[78:79]
	ds_read_b128 v[92:95], v82 offset:32
	ds_read_b128 v[96:99], v82 offset:48
	s_set_gpr_idx_on s11, gpr_idx(SRC0)
	v_mov_b32_e32 v85, v25
	v_mov_b32_e32 v84, v24
	s_set_gpr_idx_off
	v_fma_f64 v[78:79], v[84:85], v[86:87], v[78:79]
	s_set_gpr_idx_on s12, gpr_idx(SRC0)
	v_mov_b32_e32 v85, v24
	s_set_gpr_idx_off
	s_set_gpr_idx_on s13, gpr_idx(SRC0)
	v_mov_b32_e32 v84, v24
	s_set_gpr_idx_off
	s_add_i32 s12, s11, 5
	s_add_i32 s13, s11, 4
	s_waitcnt lgkmcnt(2)
	v_fma_f64 v[78:79], v[84:85], v[88:89], v[78:79]
	s_set_gpr_idx_on s12, gpr_idx(SRC0)
	v_mov_b32_e32 v85, v24
	s_set_gpr_idx_off
	s_set_gpr_idx_on s13, gpr_idx(SRC0)
	v_mov_b32_e32 v84, v24
	s_set_gpr_idx_off
	s_add_i32 s12, s11, 7
	s_add_i32 s13, s11, 6
	v_fma_f64 v[78:79], v[84:85], v[90:91], v[78:79]
	s_set_gpr_idx_on s12, gpr_idx(SRC0)
	v_mov_b32_e32 v85, v24
	s_set_gpr_idx_off
	s_set_gpr_idx_on s13, gpr_idx(SRC0)
	v_mov_b32_e32 v84, v24
	s_set_gpr_idx_off
	s_add_i32 s12, s11, 9
	s_add_i32 s13, s11, 8
	s_waitcnt lgkmcnt(1)
	v_fma_f64 v[78:79], v[84:85], v[92:93], v[78:79]
	s_set_gpr_idx_on s12, gpr_idx(SRC0)
	v_mov_b32_e32 v85, v24
	s_set_gpr_idx_off
	s_set_gpr_idx_on s13, gpr_idx(SRC0)
	v_mov_b32_e32 v84, v24
	s_set_gpr_idx_off
	s_add_i32 s12, s11, 11
	s_add_i32 s13, s11, 10
	v_fma_f64 v[78:79], v[84:85], v[94:95], v[78:79]
	s_set_gpr_idx_on s12, gpr_idx(SRC0)
	v_mov_b32_e32 v85, v24
	s_set_gpr_idx_off
	s_set_gpr_idx_on s13, gpr_idx(SRC0)
	v_mov_b32_e32 v84, v24
	s_set_gpr_idx_off
	s_add_i32 s12, s11, 13
	s_add_i32 s11, s11, 12
	s_add_u32 s6, s6, 8
	v_add_u32_e32 v82, s6, v83
	s_addc_u32 s7, s7, 0
	s_waitcnt lgkmcnt(0)
	v_fma_f64 v[78:79], v[84:85], v[96:97], v[78:79]
	s_set_gpr_idx_on s12, gpr_idx(SRC0)
	v_mov_b32_e32 v85, v24
	s_set_gpr_idx_off
	s_set_gpr_idx_on s11, gpr_idx(SRC0)
	v_mov_b32_e32 v84, v24
	s_set_gpr_idx_off
	s_add_i32 s10, s10, 64
	s_add_i32 s11, s6, -1
	v_cmp_eq_u32_e32 vcc, 5, v82
	s_or_b64 s[8:9], vcc, s[8:9]
	v_mov_b32_e32 v82, s11
	v_fma_f64 v[78:79], v[84:85], v[98:99], v[78:79]
	s_andn2_b64 exec, exec, s[8:9]
	s_cbranch_execnz .LBB10_89
; %bb.90:
	s_or_b64 exec, exec, s[8:9]
.LBB10_91:
	s_or_b64 exec, exec, s[0:1]
	v_and_b32_e32 v46, 7, v81
	v_cmp_ne_u32_e32 vcc, 0, v46
	s_and_saveexec_b64 s[6:7], vcc
	s_cbranch_execz .LBB10_95
; %bb.92:
	v_mov_b32_e32 v47, 0x60
	v_lshl_add_u32 v47, v82, 3, v47
	v_mov_b32_e32 v48, 0
	s_mov_b64 s[8:9], 0
.LBB10_93:                              ; =>This Inner Loop Header: Depth=1
	v_cmp_eq_u32_e32 vcc, 1, v82
	v_cndmask_b32_e32 v51, v25, v27, vcc
	v_cmp_eq_u32_e64 s[0:1], 2, v82
	v_cndmask_b32_e64 v51, v51, v29, s[0:1]
	v_cndmask_b32_e32 v52, v24, v26, vcc
	v_cmp_eq_u32_e32 vcc, 3, v82
	v_cndmask_b32_e32 v51, v51, v31, vcc
	v_cndmask_b32_e64 v52, v52, v28, s[0:1]
	v_cmp_eq_u32_e64 s[0:1], 4, v82
	v_cndmask_b32_e64 v51, v51, v33, s[0:1]
	v_cndmask_b32_e32 v52, v52, v30, vcc
	v_cmp_eq_u32_e32 vcc, 5, v82
	v_cndmask_b32_e32 v51, v51, v35, vcc
	v_cndmask_b32_e64 v52, v52, v32, s[0:1]
	v_cmp_eq_u32_e64 s[0:1], 6, v82
	v_cndmask_b32_e64 v51, v51, v37, s[0:1]
	v_cndmask_b32_e32 v52, v52, v34, vcc
	v_cmp_eq_u32_e32 vcc, 7, v82
	ds_read_b64 v[49:50], v47
	v_cndmask_b32_e32 v51, v51, v39, vcc
	v_cndmask_b32_e64 v52, v52, v36, s[0:1]
	v_cmp_eq_u32_e64 s[0:1], 8, v82
	v_cndmask_b32_e64 v51, v51, v41, s[0:1]
	v_cndmask_b32_e32 v52, v52, v38, vcc
	v_cmp_eq_u32_e32 vcc, 9, v82
	v_cndmask_b32_e32 v51, v51, v43, vcc
	v_cndmask_b32_e64 v53, v52, v40, s[0:1]
	v_cmp_eq_u32_e64 s[0:1], 10, v82
	v_cndmask_b32_e64 v52, v51, v45, s[0:1]
	v_cndmask_b32_e32 v51, v53, v42, vcc
	v_cndmask_b32_e64 v51, v51, v44, s[0:1]
	s_waitcnt lgkmcnt(0)
	v_fma_f64 v[78:79], v[51:52], v[49:50], v[78:79]
	v_add_u32_e32 v46, -1, v46
	v_cmp_eq_u32_e32 vcc, 0, v46
	s_or_b64 s[8:9], vcc, s[8:9]
	v_add_co_u32_e32 v82, vcc, 1, v82
	v_add_u32_e32 v47, 8, v47
	v_addc_co_u32_e32 v48, vcc, 0, v48, vcc
	s_andn2_b64 exec, exec, s[8:9]
	s_cbranch_execnz .LBB10_93
; %bb.94:
	s_or_b64 exec, exec, s[8:9]
.LBB10_95:
	s_or_b64 exec, exec, s[6:7]
.LBB10_96:
	s_or_b64 exec, exec, s[4:5]
	v_mov_b32_e32 v30, 0
	ds_read_b64 v[30:31], v30 offset:24
	s_waitcnt lgkmcnt(0)
	v_mul_f64 v[30:31], v[78:79], v[30:31]
.LBB10_97:
	s_or_b64 exec, exec, s[24:25]
	v_cmp_lt_u32_e64 s[0:1], 2, v0
	ds_write_b64 v80, v[28:29]
	s_waitcnt lgkmcnt(0)
	; wave barrier
	s_and_saveexec_b64 s[24:25], s[0:1]
	s_cbranch_execz .LBB10_113
; %bb.98:
	s_andn2_b64 vcc, exec, s[22:23]
	s_cbranch_vccnz .LBB10_100
; %bb.99:
	v_cmp_eq_u32_e32 vcc, 1, v0
	v_cndmask_b32_e32 v78, v25, v27, vcc
	v_cmp_eq_u32_e64 s[4:5], 2, v0
	v_cndmask_b32_e64 v78, v78, v29, s[4:5]
	v_cmp_eq_u32_e64 s[6:7], 3, v0
	v_cndmask_b32_e64 v78, v78, v31, s[6:7]
	;; [unrolled: 2-line block ×9, first 2 shown]
	v_cndmask_b32_e32 v78, v24, v26, vcc
	v_cndmask_b32_e64 v78, v78, v28, s[4:5]
	v_cndmask_b32_e64 v78, v78, v30, s[6:7]
	;; [unrolled: 1-line block ×5, first 2 shown]
	ds_read_b64 v[81:82], v80
	v_cndmask_b32_e64 v78, v78, v38, s[14:15]
	v_cndmask_b32_e64 v78, v78, v40, s[16:17]
	;; [unrolled: 1-line block ×4, first 2 shown]
	s_waitcnt lgkmcnt(0)
	v_mul_f64 v[78:79], v[78:79], v[81:82]
	s_cbranch_execz .LBB10_101
	s_branch .LBB10_102
.LBB10_100:
                                        ; implicit-def: $vgpr78_vgpr79
.LBB10_101:
	ds_read_b64 v[78:79], v80
.LBB10_102:
	s_and_saveexec_b64 s[4:5], s[2:3]
	s_cbranch_execz .LBB10_112
; %bb.103:
	v_add_u32_e32 v82, -4, v0
	v_add_u32_e32 v81, -3, v0
	v_cmp_lt_u32_e32 vcc, 6, v82
	v_mov_b32_e32 v82, 3
	s_and_saveexec_b64 s[2:3], vcc
	s_cbranch_execz .LBB10_107
; %bb.104:
	v_and_b32_e32 v82, -8, v81
	v_sub_u32_e32 v83, 0, v82
	s_mov_b64 s[6:7], 10
	s_movk_i32 s10, 0x78
	s_mov_b64 s[8:9], 0
.LBB10_105:                             ; =>This Inner Loop Header: Depth=1
	s_lshl_b32 s11, s6, 1
	s_add_i32 s12, s11, -13
	v_mov_b32_e32 v82, s10
	s_add_i32 s13, s11, -14
	s_set_gpr_idx_on s12, gpr_idx(SRC0)
	v_mov_b32_e32 v89, v24
	s_set_gpr_idx_off
	s_set_gpr_idx_on s13, gpr_idx(SRC0)
	v_mov_b32_e32 v88, v24
	s_set_gpr_idx_off
	ds_read2_b64 v[84:87], v82 offset1:1
	s_add_i32 s12, s11, -11
	s_add_i32 s13, s11, -12
	;; [unrolled: 1-line block ×4, first 2 shown]
	s_waitcnt lgkmcnt(0)
	v_fma_f64 v[78:79], v[88:89], v[84:85], v[78:79]
	s_set_gpr_idx_on s12, gpr_idx(SRC0)
	v_mov_b32_e32 v85, v24
	s_set_gpr_idx_off
	s_set_gpr_idx_on s13, gpr_idx(SRC0)
	v_mov_b32_e32 v84, v24
	s_set_gpr_idx_off
	s_add_i32 s12, s11, -7
	s_add_i32 s13, s11, -8
	v_fma_f64 v[78:79], v[84:85], v[86:87], v[78:79]
	s_set_gpr_idx_on s14, gpr_idx(SRC0)
	v_mov_b32_e32 v89, v24
	s_set_gpr_idx_off
	s_set_gpr_idx_on s15, gpr_idx(SRC0)
	v_mov_b32_e32 v88, v24
	s_set_gpr_idx_off
	ds_read2_b64 v[84:87], v82 offset0:2 offset1:3
	s_add_i32 s14, s11, -5
	s_add_i32 s15, s11, -6
	s_waitcnt lgkmcnt(0)
	v_fma_f64 v[78:79], v[88:89], v[84:85], v[78:79]
	s_set_gpr_idx_on s12, gpr_idx(SRC0)
	v_mov_b32_e32 v85, v24
	s_set_gpr_idx_off
	s_set_gpr_idx_on s13, gpr_idx(SRC0)
	v_mov_b32_e32 v84, v24
	s_set_gpr_idx_off
	s_add_i32 s12, s11, -3
	s_add_i32 s13, s11, -4
	v_fma_f64 v[78:79], v[84:85], v[86:87], v[78:79]
	s_set_gpr_idx_on s14, gpr_idx(SRC0)
	v_mov_b32_e32 v89, v24
	s_set_gpr_idx_off
	s_set_gpr_idx_on s15, gpr_idx(SRC0)
	v_mov_b32_e32 v88, v24
	s_set_gpr_idx_off
	ds_read2_b64 v[84:87], v82 offset0:4 offset1:5
	s_add_i32 s14, s11, -1
	s_add_i32 s15, s11, -2
	s_add_u32 s6, s6, 8
	s_addc_u32 s7, s7, 0
	s_waitcnt lgkmcnt(0)
	v_fma_f64 v[78:79], v[88:89], v[84:85], v[78:79]
	s_set_gpr_idx_on s12, gpr_idx(SRC0)
	v_mov_b32_e32 v85, v24
	s_set_gpr_idx_off
	s_set_gpr_idx_on s13, gpr_idx(SRC0)
	v_mov_b32_e32 v84, v24
	s_set_gpr_idx_off
	s_add_i32 s10, s10, 64
	v_fma_f64 v[78:79], v[84:85], v[86:87], v[78:79]
	s_set_gpr_idx_on s14, gpr_idx(SRC0)
	v_mov_b32_e32 v89, v24
	s_set_gpr_idx_off
	s_set_gpr_idx_on s15, gpr_idx(SRC0)
	v_mov_b32_e32 v88, v24
	s_set_gpr_idx_off
	ds_read2_b64 v[84:87], v82 offset0:6 offset1:7
	v_add_u32_e32 v82, s6, v83
	v_cmp_eq_u32_e32 vcc, 10, v82
	s_waitcnt lgkmcnt(0)
	v_fma_f64 v[78:79], v[88:89], v[84:85], v[78:79]
	s_set_gpr_idx_on s11, gpr_idx(SRC0)
	v_mov_b32_e32 v85, v25
	v_mov_b32_e32 v84, v24
	s_set_gpr_idx_off
	s_add_i32 s11, s6, -7
	s_or_b64 s[8:9], vcc, s[8:9]
	v_mov_b32_e32 v82, s11
	v_fma_f64 v[78:79], v[84:85], v[86:87], v[78:79]
	s_andn2_b64 exec, exec, s[8:9]
	s_cbranch_execnz .LBB10_105
; %bb.106:
	s_or_b64 exec, exec, s[8:9]
.LBB10_107:
	s_or_b64 exec, exec, s[2:3]
	v_and_b32_e32 v46, 7, v81
	v_cmp_ne_u32_e32 vcc, 0, v46
	s_and_saveexec_b64 s[6:7], vcc
	s_cbranch_execz .LBB10_111
; %bb.108:
	v_mov_b32_e32 v47, 0x60
	v_lshl_add_u32 v47, v82, 3, v47
	v_mov_b32_e32 v48, 0
	s_mov_b64 s[8:9], 0
.LBB10_109:                             ; =>This Inner Loop Header: Depth=1
	v_cmp_eq_u32_e32 vcc, 1, v82
	v_cndmask_b32_e32 v51, v25, v27, vcc
	v_cmp_eq_u32_e64 s[2:3], 2, v82
	v_cndmask_b32_e64 v51, v51, v29, s[2:3]
	v_cndmask_b32_e32 v52, v24, v26, vcc
	v_cmp_eq_u32_e32 vcc, 3, v82
	v_cndmask_b32_e32 v51, v51, v31, vcc
	v_cndmask_b32_e64 v52, v52, v28, s[2:3]
	v_cmp_eq_u32_e64 s[2:3], 4, v82
	v_cndmask_b32_e64 v51, v51, v33, s[2:3]
	v_cndmask_b32_e32 v52, v52, v30, vcc
	v_cmp_eq_u32_e32 vcc, 5, v82
	v_cndmask_b32_e32 v51, v51, v35, vcc
	v_cndmask_b32_e64 v52, v52, v32, s[2:3]
	v_cmp_eq_u32_e64 s[2:3], 6, v82
	v_cndmask_b32_e64 v51, v51, v37, s[2:3]
	v_cndmask_b32_e32 v52, v52, v34, vcc
	v_cmp_eq_u32_e32 vcc, 7, v82
	ds_read_b64 v[49:50], v47
	v_cndmask_b32_e32 v51, v51, v39, vcc
	v_cndmask_b32_e64 v52, v52, v36, s[2:3]
	v_cmp_eq_u32_e64 s[2:3], 8, v82
	v_cndmask_b32_e64 v51, v51, v41, s[2:3]
	v_cndmask_b32_e32 v52, v52, v38, vcc
	v_cmp_eq_u32_e32 vcc, 9, v82
	v_cndmask_b32_e32 v51, v51, v43, vcc
	v_cndmask_b32_e64 v53, v52, v40, s[2:3]
	v_cmp_eq_u32_e64 s[2:3], 10, v82
	v_cndmask_b32_e64 v52, v51, v45, s[2:3]
	v_cndmask_b32_e32 v51, v53, v42, vcc
	v_cndmask_b32_e64 v51, v51, v44, s[2:3]
	s_waitcnt lgkmcnt(0)
	v_fma_f64 v[78:79], v[51:52], v[49:50], v[78:79]
	v_add_u32_e32 v46, -1, v46
	v_cmp_eq_u32_e32 vcc, 0, v46
	s_or_b64 s[8:9], vcc, s[8:9]
	v_add_co_u32_e32 v82, vcc, 1, v82
	v_add_u32_e32 v47, 8, v47
	v_addc_co_u32_e32 v48, vcc, 0, v48, vcc
	s_andn2_b64 exec, exec, s[8:9]
	s_cbranch_execnz .LBB10_109
; %bb.110:
	s_or_b64 exec, exec, s[8:9]
.LBB10_111:
	s_or_b64 exec, exec, s[6:7]
.LBB10_112:
	s_or_b64 exec, exec, s[4:5]
	v_mov_b32_e32 v28, 0
	ds_read_b64 v[28:29], v28 offset:16
	s_waitcnt lgkmcnt(0)
	v_mul_f64 v[28:29], v[78:79], v[28:29]
.LBB10_113:
	s_or_b64 exec, exec, s[24:25]
	v_cmp_lt_u32_e64 s[2:3], 1, v0
	ds_write_b64 v80, v[26:27]
	s_waitcnt lgkmcnt(0)
	; wave barrier
	s_and_saveexec_b64 s[24:25], s[2:3]
	s_cbranch_execz .LBB10_129
; %bb.114:
	s_andn2_b64 vcc, exec, s[22:23]
	s_cbranch_vccnz .LBB10_116
; %bb.115:
	v_cmp_eq_u32_e32 vcc, 1, v0
	v_cndmask_b32_e32 v78, v25, v27, vcc
	v_cmp_eq_u32_e64 s[4:5], 2, v0
	v_cndmask_b32_e64 v78, v78, v29, s[4:5]
	v_cmp_eq_u32_e64 s[6:7], 3, v0
	v_cndmask_b32_e64 v78, v78, v31, s[6:7]
	;; [unrolled: 2-line block ×9, first 2 shown]
	v_cndmask_b32_e32 v78, v24, v26, vcc
	v_cndmask_b32_e64 v78, v78, v28, s[4:5]
	v_cndmask_b32_e64 v78, v78, v30, s[6:7]
	;; [unrolled: 1-line block ×5, first 2 shown]
	ds_read_b64 v[81:82], v80
	v_cndmask_b32_e64 v78, v78, v38, s[14:15]
	v_cndmask_b32_e64 v78, v78, v40, s[16:17]
	v_cndmask_b32_e64 v78, v78, v42, s[18:19]
	v_cndmask_b32_e64 v78, v78, v44, s[20:21]
	s_waitcnt lgkmcnt(0)
	v_mul_f64 v[78:79], v[78:79], v[81:82]
	s_cbranch_execz .LBB10_117
	s_branch .LBB10_118
.LBB10_116:
                                        ; implicit-def: $vgpr78_vgpr79
.LBB10_117:
	ds_read_b64 v[78:79], v80
.LBB10_118:
	s_and_saveexec_b64 s[4:5], s[0:1]
	s_cbranch_execz .LBB10_128
; %bb.119:
	v_add_u32_e32 v82, -3, v0
	v_add_u32_e32 v81, -2, v0
	v_cmp_lt_u32_e32 vcc, 6, v82
	v_mov_b32_e32 v82, 2
	s_and_saveexec_b64 s[0:1], vcc
	s_cbranch_execz .LBB10_123
; %bb.120:
	v_and_b32_e32 v82, -8, v81
	v_sub_u32_e32 v83, 0, v82
	s_mov_b64 s[6:7], 9
	s_movk_i32 s10, 0x70
	s_mov_b64 s[8:9], 0
.LBB10_121:                             ; =>This Inner Loop Header: Depth=1
	s_lshl_b32 s11, s6, 1
	s_add_i32 s12, s11, -13
	v_mov_b32_e32 v82, s10
	s_add_i32 s13, s11, -14
	s_set_gpr_idx_on s12, gpr_idx(SRC0)
	v_mov_b32_e32 v93, v24
	s_set_gpr_idx_off
	s_set_gpr_idx_on s13, gpr_idx(SRC0)
	v_mov_b32_e32 v92, v24
	s_set_gpr_idx_off
	ds_read_b128 v[84:87], v82
	ds_read_b128 v[88:91], v82 offset:16
	s_add_i32 s12, s11, -11
	s_add_i32 s13, s11, -12
	s_waitcnt lgkmcnt(1)
	v_fma_f64 v[78:79], v[92:93], v[84:85], v[78:79]
	ds_read_b128 v[92:95], v82 offset:32
	ds_read_b128 v[96:99], v82 offset:48
	s_set_gpr_idx_on s12, gpr_idx(SRC0)
	v_mov_b32_e32 v85, v24
	s_set_gpr_idx_off
	s_set_gpr_idx_on s13, gpr_idx(SRC0)
	v_mov_b32_e32 v84, v24
	s_set_gpr_idx_off
	s_add_i32 s12, s11, -9
	s_add_i32 s13, s11, -10
	v_fma_f64 v[78:79], v[84:85], v[86:87], v[78:79]
	s_set_gpr_idx_on s12, gpr_idx(SRC0)
	v_mov_b32_e32 v85, v24
	s_set_gpr_idx_off
	s_set_gpr_idx_on s13, gpr_idx(SRC0)
	v_mov_b32_e32 v84, v24
	s_set_gpr_idx_off
	s_add_i32 s12, s11, -7
	s_add_i32 s13, s11, -8
	s_waitcnt lgkmcnt(2)
	v_fma_f64 v[78:79], v[84:85], v[88:89], v[78:79]
	s_set_gpr_idx_on s12, gpr_idx(SRC0)
	v_mov_b32_e32 v85, v24
	s_set_gpr_idx_off
	s_set_gpr_idx_on s13, gpr_idx(SRC0)
	v_mov_b32_e32 v84, v24
	s_set_gpr_idx_off
	s_add_i32 s12, s11, -5
	s_add_i32 s13, s11, -6
	v_fma_f64 v[78:79], v[84:85], v[90:91], v[78:79]
	s_set_gpr_idx_on s12, gpr_idx(SRC0)
	v_mov_b32_e32 v85, v24
	s_set_gpr_idx_off
	s_set_gpr_idx_on s13, gpr_idx(SRC0)
	v_mov_b32_e32 v84, v24
	s_set_gpr_idx_off
	s_add_i32 s12, s11, -3
	s_add_i32 s13, s11, -4
	s_waitcnt lgkmcnt(1)
	v_fma_f64 v[78:79], v[84:85], v[92:93], v[78:79]
	s_set_gpr_idx_on s12, gpr_idx(SRC0)
	v_mov_b32_e32 v85, v24
	s_set_gpr_idx_off
	s_set_gpr_idx_on s13, gpr_idx(SRC0)
	v_mov_b32_e32 v84, v24
	s_set_gpr_idx_off
	s_add_i32 s12, s11, -1
	s_add_i32 s13, s11, -2
	s_add_u32 s6, s6, 8
	v_add_u32_e32 v82, s6, v83
	s_addc_u32 s7, s7, 0
	v_fma_f64 v[78:79], v[84:85], v[94:95], v[78:79]
	s_set_gpr_idx_on s12, gpr_idx(SRC0)
	v_mov_b32_e32 v85, v24
	s_set_gpr_idx_off
	s_set_gpr_idx_on s13, gpr_idx(SRC0)
	v_mov_b32_e32 v84, v24
	s_set_gpr_idx_off
	s_add_i32 s10, s10, 64
	v_cmp_eq_u32_e32 vcc, 9, v82
	s_waitcnt lgkmcnt(0)
	v_fma_f64 v[78:79], v[84:85], v[96:97], v[78:79]
	s_set_gpr_idx_on s11, gpr_idx(SRC0)
	v_mov_b32_e32 v85, v25
	v_mov_b32_e32 v84, v24
	s_set_gpr_idx_off
	s_add_i32 s11, s6, -7
	s_or_b64 s[8:9], vcc, s[8:9]
	v_mov_b32_e32 v82, s11
	v_fma_f64 v[78:79], v[84:85], v[98:99], v[78:79]
	s_andn2_b64 exec, exec, s[8:9]
	s_cbranch_execnz .LBB10_121
; %bb.122:
	s_or_b64 exec, exec, s[8:9]
.LBB10_123:
	s_or_b64 exec, exec, s[0:1]
	v_and_b32_e32 v46, 7, v81
	v_cmp_ne_u32_e32 vcc, 0, v46
	s_and_saveexec_b64 s[6:7], vcc
	s_cbranch_execz .LBB10_127
; %bb.124:
	v_mov_b32_e32 v47, 0x60
	v_lshl_add_u32 v47, v82, 3, v47
	v_mov_b32_e32 v48, 0
	s_mov_b64 s[8:9], 0
.LBB10_125:                             ; =>This Inner Loop Header: Depth=1
	v_cmp_eq_u32_e32 vcc, 1, v82
	v_cndmask_b32_e32 v51, v25, v27, vcc
	v_cmp_eq_u32_e64 s[0:1], 2, v82
	v_cndmask_b32_e64 v51, v51, v29, s[0:1]
	v_cndmask_b32_e32 v52, v24, v26, vcc
	v_cmp_eq_u32_e32 vcc, 3, v82
	v_cndmask_b32_e32 v51, v51, v31, vcc
	v_cndmask_b32_e64 v52, v52, v28, s[0:1]
	v_cmp_eq_u32_e64 s[0:1], 4, v82
	v_cndmask_b32_e64 v51, v51, v33, s[0:1]
	v_cndmask_b32_e32 v52, v52, v30, vcc
	v_cmp_eq_u32_e32 vcc, 5, v82
	v_cndmask_b32_e32 v51, v51, v35, vcc
	v_cndmask_b32_e64 v52, v52, v32, s[0:1]
	v_cmp_eq_u32_e64 s[0:1], 6, v82
	v_cndmask_b32_e64 v51, v51, v37, s[0:1]
	v_cndmask_b32_e32 v52, v52, v34, vcc
	v_cmp_eq_u32_e32 vcc, 7, v82
	ds_read_b64 v[49:50], v47
	v_cndmask_b32_e32 v51, v51, v39, vcc
	v_cndmask_b32_e64 v52, v52, v36, s[0:1]
	v_cmp_eq_u32_e64 s[0:1], 8, v82
	v_cndmask_b32_e64 v51, v51, v41, s[0:1]
	v_cndmask_b32_e32 v52, v52, v38, vcc
	v_cmp_eq_u32_e32 vcc, 9, v82
	v_cndmask_b32_e32 v51, v51, v43, vcc
	v_cndmask_b32_e64 v53, v52, v40, s[0:1]
	v_cmp_eq_u32_e64 s[0:1], 10, v82
	v_cndmask_b32_e64 v52, v51, v45, s[0:1]
	v_cndmask_b32_e32 v51, v53, v42, vcc
	v_cndmask_b32_e64 v51, v51, v44, s[0:1]
	s_waitcnt lgkmcnt(0)
	v_fma_f64 v[78:79], v[51:52], v[49:50], v[78:79]
	v_add_u32_e32 v46, -1, v46
	v_cmp_eq_u32_e32 vcc, 0, v46
	s_or_b64 s[8:9], vcc, s[8:9]
	v_add_co_u32_e32 v82, vcc, 1, v82
	v_add_u32_e32 v47, 8, v47
	v_addc_co_u32_e32 v48, vcc, 0, v48, vcc
	s_andn2_b64 exec, exec, s[8:9]
	s_cbranch_execnz .LBB10_125
; %bb.126:
	s_or_b64 exec, exec, s[8:9]
.LBB10_127:
	s_or_b64 exec, exec, s[6:7]
.LBB10_128:
	s_or_b64 exec, exec, s[4:5]
	v_mov_b32_e32 v26, 0
	ds_read_b64 v[26:27], v26 offset:8
	s_waitcnt lgkmcnt(0)
	v_mul_f64 v[26:27], v[78:79], v[26:27]
.LBB10_129:
	s_or_b64 exec, exec, s[24:25]
	v_cmp_ne_u32_e32 vcc, 0, v0
	ds_write_b64 v80, v[24:25]
	s_waitcnt lgkmcnt(0)
	; wave barrier
	s_and_saveexec_b64 s[20:21], vcc
	s_cbranch_execz .LBB10_145
; %bb.130:
	s_andn2_b64 vcc, exec, s[22:23]
	s_cbranch_vccnz .LBB10_132
; %bb.131:
	v_cmp_eq_u32_e32 vcc, 1, v0
	v_cndmask_b32_e32 v78, v25, v27, vcc
	v_cmp_eq_u32_e64 s[0:1], 2, v0
	v_cndmask_b32_e64 v78, v78, v29, s[0:1]
	v_cmp_eq_u32_e64 s[4:5], 3, v0
	v_cndmask_b32_e64 v78, v78, v31, s[4:5]
	;; [unrolled: 2-line block ×9, first 2 shown]
	v_cndmask_b32_e32 v78, v24, v26, vcc
	v_cndmask_b32_e64 v78, v78, v28, s[0:1]
	v_cndmask_b32_e64 v78, v78, v30, s[4:5]
	v_cndmask_b32_e64 v78, v78, v32, s[6:7]
	v_cndmask_b32_e64 v78, v78, v34, s[8:9]
	v_cndmask_b32_e64 v78, v78, v36, s[10:11]
	ds_read_b64 v[81:82], v80
	v_cndmask_b32_e64 v78, v78, v38, s[12:13]
	v_cndmask_b32_e64 v78, v78, v40, s[14:15]
	;; [unrolled: 1-line block ×4, first 2 shown]
	s_waitcnt lgkmcnt(0)
	v_mul_f64 v[78:79], v[78:79], v[81:82]
	s_cbranch_execz .LBB10_133
	s_branch .LBB10_134
.LBB10_132:
                                        ; implicit-def: $vgpr78_vgpr79
.LBB10_133:
	ds_read_b64 v[78:79], v80
.LBB10_134:
	s_and_saveexec_b64 s[4:5], s[2:3]
	s_cbranch_execz .LBB10_144
; %bb.135:
	v_add_u32_e32 v82, -2, v0
	v_add_u32_e32 v81, -1, v0
	v_cmp_lt_u32_e32 vcc, 6, v82
	v_mov_b32_e32 v82, 1
	s_and_saveexec_b64 s[0:1], vcc
	s_cbranch_execz .LBB10_139
; %bb.136:
	v_and_b32_e32 v82, -8, v81
	v_sub_u32_e32 v83, 0, v82
	s_mov_b64 s[2:3], 8
	s_movk_i32 s8, 0x68
	s_mov_b64 s[6:7], 0
.LBB10_137:                             ; =>This Inner Loop Header: Depth=1
	s_lshl_b32 s9, s2, 1
	s_add_i32 s10, s9, -13
	v_mov_b32_e32 v82, s8
	s_add_i32 s11, s9, -14
	s_set_gpr_idx_on s10, gpr_idx(SRC0)
	v_mov_b32_e32 v89, v24
	s_set_gpr_idx_off
	s_set_gpr_idx_on s11, gpr_idx(SRC0)
	v_mov_b32_e32 v88, v24
	s_set_gpr_idx_off
	ds_read2_b64 v[84:87], v82 offset1:1
	s_add_i32 s10, s9, -11
	s_add_i32 s11, s9, -12
	;; [unrolled: 1-line block ×4, first 2 shown]
	s_waitcnt lgkmcnt(0)
	v_fma_f64 v[78:79], v[88:89], v[84:85], v[78:79]
	s_set_gpr_idx_on s10, gpr_idx(SRC0)
	v_mov_b32_e32 v85, v24
	s_set_gpr_idx_off
	s_set_gpr_idx_on s11, gpr_idx(SRC0)
	v_mov_b32_e32 v84, v24
	s_set_gpr_idx_off
	s_add_i32 s10, s9, -7
	s_add_i32 s11, s9, -8
	v_fma_f64 v[78:79], v[84:85], v[86:87], v[78:79]
	s_set_gpr_idx_on s12, gpr_idx(SRC0)
	v_mov_b32_e32 v89, v24
	s_set_gpr_idx_off
	s_set_gpr_idx_on s13, gpr_idx(SRC0)
	v_mov_b32_e32 v88, v24
	s_set_gpr_idx_off
	ds_read2_b64 v[84:87], v82 offset0:2 offset1:3
	s_add_i32 s12, s9, -5
	s_add_i32 s13, s9, -6
	s_waitcnt lgkmcnt(0)
	v_fma_f64 v[78:79], v[88:89], v[84:85], v[78:79]
	s_set_gpr_idx_on s10, gpr_idx(SRC0)
	v_mov_b32_e32 v85, v24
	s_set_gpr_idx_off
	s_set_gpr_idx_on s11, gpr_idx(SRC0)
	v_mov_b32_e32 v84, v24
	s_set_gpr_idx_off
	s_add_i32 s10, s9, -3
	s_add_i32 s11, s9, -4
	v_fma_f64 v[78:79], v[84:85], v[86:87], v[78:79]
	s_set_gpr_idx_on s12, gpr_idx(SRC0)
	v_mov_b32_e32 v89, v24
	s_set_gpr_idx_off
	s_set_gpr_idx_on s13, gpr_idx(SRC0)
	v_mov_b32_e32 v88, v24
	s_set_gpr_idx_off
	ds_read2_b64 v[84:87], v82 offset0:4 offset1:5
	s_add_i32 s12, s9, -1
	s_add_i32 s13, s9, -2
	s_add_u32 s2, s2, 8
	s_addc_u32 s3, s3, 0
	s_waitcnt lgkmcnt(0)
	v_fma_f64 v[78:79], v[88:89], v[84:85], v[78:79]
	s_set_gpr_idx_on s10, gpr_idx(SRC0)
	v_mov_b32_e32 v85, v24
	s_set_gpr_idx_off
	s_set_gpr_idx_on s11, gpr_idx(SRC0)
	v_mov_b32_e32 v84, v24
	s_set_gpr_idx_off
	s_add_i32 s8, s8, 64
	v_fma_f64 v[78:79], v[84:85], v[86:87], v[78:79]
	s_set_gpr_idx_on s12, gpr_idx(SRC0)
	v_mov_b32_e32 v89, v24
	s_set_gpr_idx_off
	s_set_gpr_idx_on s13, gpr_idx(SRC0)
	v_mov_b32_e32 v88, v24
	s_set_gpr_idx_off
	ds_read2_b64 v[84:87], v82 offset0:6 offset1:7
	v_add_u32_e32 v82, s2, v83
	v_cmp_eq_u32_e32 vcc, 8, v82
	s_waitcnt lgkmcnt(0)
	v_fma_f64 v[78:79], v[88:89], v[84:85], v[78:79]
	s_set_gpr_idx_on s9, gpr_idx(SRC0)
	v_mov_b32_e32 v85, v25
	v_mov_b32_e32 v84, v24
	s_set_gpr_idx_off
	s_add_i32 s9, s2, -7
	s_or_b64 s[6:7], vcc, s[6:7]
	v_mov_b32_e32 v82, s9
	v_fma_f64 v[78:79], v[84:85], v[86:87], v[78:79]
	s_andn2_b64 exec, exec, s[6:7]
	s_cbranch_execnz .LBB10_137
; %bb.138:
	s_or_b64 exec, exec, s[6:7]
.LBB10_139:
	s_or_b64 exec, exec, s[0:1]
	v_and_b32_e32 v46, 7, v81
	v_cmp_ne_u32_e32 vcc, 0, v46
	s_and_saveexec_b64 s[2:3], vcc
	s_cbranch_execz .LBB10_143
; %bb.140:
	v_mov_b32_e32 v47, 0x60
	v_lshl_add_u32 v47, v82, 3, v47
	v_mov_b32_e32 v48, 0
	s_mov_b64 s[6:7], 0
.LBB10_141:                             ; =>This Inner Loop Header: Depth=1
	v_cmp_eq_u32_e32 vcc, 1, v82
	v_cndmask_b32_e32 v51, v25, v27, vcc
	v_cmp_eq_u32_e64 s[0:1], 2, v82
	v_cndmask_b32_e64 v51, v51, v29, s[0:1]
	v_cndmask_b32_e32 v52, v24, v26, vcc
	v_cmp_eq_u32_e32 vcc, 3, v82
	v_cndmask_b32_e32 v51, v51, v31, vcc
	v_cndmask_b32_e64 v52, v52, v28, s[0:1]
	v_cmp_eq_u32_e64 s[0:1], 4, v82
	v_cndmask_b32_e64 v51, v51, v33, s[0:1]
	v_cndmask_b32_e32 v52, v52, v30, vcc
	v_cmp_eq_u32_e32 vcc, 5, v82
	v_cndmask_b32_e32 v51, v51, v35, vcc
	v_cndmask_b32_e64 v52, v52, v32, s[0:1]
	v_cmp_eq_u32_e64 s[0:1], 6, v82
	v_cndmask_b32_e64 v51, v51, v37, s[0:1]
	v_cndmask_b32_e32 v52, v52, v34, vcc
	v_cmp_eq_u32_e32 vcc, 7, v82
	ds_read_b64 v[49:50], v47
	v_cndmask_b32_e32 v51, v51, v39, vcc
	v_cndmask_b32_e64 v52, v52, v36, s[0:1]
	v_cmp_eq_u32_e64 s[0:1], 8, v82
	v_cndmask_b32_e64 v51, v51, v41, s[0:1]
	v_cndmask_b32_e32 v52, v52, v38, vcc
	v_cmp_eq_u32_e32 vcc, 9, v82
	v_cndmask_b32_e32 v51, v51, v43, vcc
	v_cndmask_b32_e64 v53, v52, v40, s[0:1]
	v_cmp_eq_u32_e64 s[0:1], 10, v82
	v_cndmask_b32_e64 v52, v51, v45, s[0:1]
	v_cndmask_b32_e32 v51, v53, v42, vcc
	v_cndmask_b32_e64 v51, v51, v44, s[0:1]
	s_waitcnt lgkmcnt(0)
	v_fma_f64 v[78:79], v[51:52], v[49:50], v[78:79]
	v_add_u32_e32 v46, -1, v46
	v_cmp_eq_u32_e32 vcc, 0, v46
	s_or_b64 s[6:7], vcc, s[6:7]
	v_add_co_u32_e32 v82, vcc, 1, v82
	v_add_u32_e32 v47, 8, v47
	v_addc_co_u32_e32 v48, vcc, 0, v48, vcc
	s_andn2_b64 exec, exec, s[6:7]
	s_cbranch_execnz .LBB10_141
; %bb.142:
	s_or_b64 exec, exec, s[6:7]
.LBB10_143:
	s_or_b64 exec, exec, s[2:3]
.LBB10_144:
	s_or_b64 exec, exec, s[4:5]
	v_mov_b32_e32 v24, 0
	ds_read_b64 v[24:25], v24
	s_waitcnt lgkmcnt(0)
	v_mul_f64 v[24:25], v[78:79], v[24:25]
.LBB10_145:
	s_or_b64 exec, exec, s[20:21]
	s_branch .LBB10_249
.LBB10_146:
	v_cmp_eq_u32_e64 s[0:1], 0, v0
	s_waitcnt vmcnt(10)
	ds_write_b64 v80, v[4:5]
	s_waitcnt lgkmcnt(0)
	; wave barrier
	s_and_saveexec_b64 s[20:21], s[0:1]
	s_cbranch_execz .LBB10_152
; %bb.147:
	s_and_b64 vcc, exec, s[22:23]
	s_cbranch_vccz .LBB10_149
; %bb.148:
	v_cmp_eq_u32_e32 vcc, 1, v0
	s_waitcnt vmcnt(2)
	v_cndmask_b32_e32 v5, v3, v5, vcc
	v_cmp_eq_u32_e64 s[2:3], 2, v0
	v_cndmask_b32_e32 v4, v2, v4, vcc
	v_cndmask_b32_e64 v5, v5, v7, s[2:3]
	v_cmp_eq_u32_e64 s[4:5], 3, v0
	v_cndmask_b32_e64 v4, v4, v6, s[2:3]
	v_cndmask_b32_e64 v5, v5, v9, s[4:5]
	v_cmp_eq_u32_e64 s[6:7], 4, v0
	v_cndmask_b32_e64 v4, v4, v8, s[4:5]
	;; [unrolled: 3-line block ×5, first 2 shown]
	ds_read_b64 v[24:25], v80
	v_cndmask_b32_e64 v5, v5, v17, s[12:13]
	v_cmp_eq_u32_e64 s[14:15], 8, v0
	v_cndmask_b32_e64 v4, v4, v16, s[12:13]
	v_cndmask_b32_e64 v5, v5, v19, s[14:15]
	v_cmp_eq_u32_e64 s[16:17], 9, v0
	v_cndmask_b32_e64 v4, v4, v18, s[14:15]
	s_waitcnt vmcnt(1)
	v_cndmask_b32_e64 v5, v5, v21, s[16:17]
	v_cmp_eq_u32_e64 s[18:19], 10, v0
	v_cndmask_b32_e64 v4, v4, v20, s[16:17]
	s_waitcnt vmcnt(0)
	v_cndmask_b32_e64 v5, v5, v23, s[18:19]
	v_cndmask_b32_e64 v4, v4, v22, s[18:19]
	s_waitcnt lgkmcnt(0)
	v_mul_f64 v[4:5], v[4:5], v[24:25]
	s_cbranch_execz .LBB10_150
	s_branch .LBB10_151
.LBB10_149:
                                        ; implicit-def: $vgpr4_vgpr5
.LBB10_150:
	ds_read_b64 v[4:5], v80
.LBB10_151:
	v_mov_b32_e32 v24, 0
	ds_read_b64 v[24:25], v24 offset:8
	s_waitcnt lgkmcnt(0)
	v_mul_f64 v[4:5], v[4:5], v[24:25]
.LBB10_152:
	s_or_b64 exec, exec, s[20:21]
	v_cndmask_b32_e64 v24, 0, 1, s[22:23]
	v_cmp_gt_u32_e32 vcc, 2, v0
	v_cmp_ne_u32_e64 s[2:3], 1, v24
	s_waitcnt vmcnt(9)
	ds_write_b64 v80, v[6:7]
	s_waitcnt lgkmcnt(0)
	; wave barrier
	s_and_saveexec_b64 s[22:23], vcc
	s_cbranch_execz .LBB10_158
; %bb.153:
	s_and_b64 vcc, exec, s[2:3]
	s_cbranch_vccnz .LBB10_155
; %bb.154:
	v_cmp_eq_u32_e32 vcc, 1, v0
	s_waitcnt vmcnt(2)
	v_cndmask_b32_e32 v24, v3, v5, vcc
	v_cmp_eq_u32_e64 s[4:5], 2, v0
	v_cndmask_b32_e64 v7, v24, v7, s[4:5]
	v_cndmask_b32_e32 v24, v2, v4, vcc
	v_cmp_eq_u32_e64 s[6:7], 3, v0
	v_cndmask_b32_e64 v6, v24, v6, s[4:5]
	v_cndmask_b32_e64 v7, v7, v9, s[6:7]
	v_cmp_eq_u32_e64 s[8:9], 4, v0
	v_cndmask_b32_e64 v6, v6, v8, s[6:7]
	v_cndmask_b32_e64 v7, v7, v11, s[8:9]
	v_cmp_eq_u32_e64 s[10:11], 5, v0
	v_cndmask_b32_e64 v6, v6, v10, s[8:9]
	v_cndmask_b32_e64 v7, v7, v13, s[10:11]
	v_cmp_eq_u32_e64 s[12:13], 6, v0
	v_cndmask_b32_e64 v6, v6, v12, s[10:11]
	v_cndmask_b32_e64 v7, v7, v15, s[12:13]
	v_cmp_eq_u32_e64 s[14:15], 7, v0
	v_cndmask_b32_e64 v6, v6, v14, s[12:13]
	ds_read_b64 v[24:25], v80
	v_cndmask_b32_e64 v7, v7, v17, s[14:15]
	v_cmp_eq_u32_e64 s[16:17], 8, v0
	v_cndmask_b32_e64 v6, v6, v16, s[14:15]
	v_cndmask_b32_e64 v7, v7, v19, s[16:17]
	v_cmp_eq_u32_e64 s[18:19], 9, v0
	v_cndmask_b32_e64 v6, v6, v18, s[16:17]
	s_waitcnt vmcnt(1)
	v_cndmask_b32_e64 v7, v7, v21, s[18:19]
	v_cmp_eq_u32_e64 s[20:21], 10, v0
	v_cndmask_b32_e64 v6, v6, v20, s[18:19]
	s_waitcnt vmcnt(0)
	v_cndmask_b32_e64 v7, v7, v23, s[20:21]
	v_cndmask_b32_e64 v6, v6, v22, s[20:21]
	s_waitcnt lgkmcnt(0)
	v_mul_f64 v[6:7], v[6:7], v[24:25]
	s_cbranch_execz .LBB10_156
	s_branch .LBB10_157
.LBB10_155:
                                        ; implicit-def: $vgpr6_vgpr7
.LBB10_156:
	ds_read_b64 v[6:7], v80
.LBB10_157:
	v_mov_b32_e32 v24, 0
	ds_read2_b64 v[24:27], v24 offset0:2 offset1:13
	s_waitcnt lgkmcnt(0)
	v_fma_f64 v[26:27], v[4:5], v[26:27], v[6:7]
	v_cndmask_b32_e64 v7, v7, v27, s[0:1]
	v_cndmask_b32_e64 v6, v6, v26, s[0:1]
	v_mul_f64 v[6:7], v[6:7], v[24:25]
.LBB10_158:
	s_or_b64 exec, exec, s[22:23]
	v_add_u32_e32 v28, 1, v0
	v_cmp_gt_u32_e64 s[4:5], 3, v0
	s_waitcnt vmcnt(8)
	ds_write_b64 v80, v[8:9]
	s_waitcnt lgkmcnt(0)
	; wave barrier
	s_and_saveexec_b64 s[24:25], s[4:5]
	s_cbranch_execz .LBB10_166
; %bb.159:
	s_and_b64 vcc, exec, s[2:3]
	s_cbranch_vccnz .LBB10_161
; %bb.160:
	v_cmp_eq_u32_e32 vcc, 1, v0
	s_waitcnt vmcnt(2)
	v_cndmask_b32_e32 v24, v3, v5, vcc
	v_cmp_eq_u32_e64 s[6:7], 2, v0
	v_cndmask_b32_e64 v24, v24, v7, s[6:7]
	v_cmp_eq_u32_e64 s[8:9], 3, v0
	v_cndmask_b32_e64 v24, v24, v9, s[8:9]
	;; [unrolled: 2-line block ×7, first 2 shown]
	v_cmp_eq_u32_e64 s[20:21], 9, v0
	s_waitcnt vmcnt(1)
	v_cndmask_b32_e64 v24, v24, v21, s[20:21]
	v_cmp_eq_u32_e64 s[22:23], 10, v0
	s_waitcnt vmcnt(0)
	v_cndmask_b32_e64 v25, v24, v23, s[22:23]
	v_cndmask_b32_e32 v24, v2, v4, vcc
	v_cndmask_b32_e64 v24, v24, v6, s[6:7]
	v_cndmask_b32_e64 v24, v24, v8, s[8:9]
	;; [unrolled: 1-line block ×5, first 2 shown]
	ds_read_b64 v[26:27], v80
	v_cndmask_b32_e64 v24, v24, v16, s[16:17]
	v_cndmask_b32_e64 v24, v24, v18, s[18:19]
	;; [unrolled: 1-line block ×4, first 2 shown]
	s_waitcnt lgkmcnt(0)
	v_mul_f64 v[24:25], v[24:25], v[26:27]
	s_cbranch_execz .LBB10_162
	s_branch .LBB10_163
.LBB10_161:
                                        ; implicit-def: $vgpr24_vgpr25
.LBB10_162:
	ds_read_b64 v[24:25], v80
.LBB10_163:
	v_cmp_ne_u32_e32 vcc, 2, v0
	s_and_saveexec_b64 s[26:27], vcc
	s_cbranch_execz .LBB10_165
; %bb.164:
	v_cmp_eq_u32_e32 vcc, 1, v28
	s_waitcnt vmcnt(2)
	v_cndmask_b32_e32 v26, v3, v5, vcc
	v_cmp_eq_u32_e64 s[6:7], 2, v28
	v_cndmask_b32_e64 v26, v26, v7, s[6:7]
	v_cmp_eq_u32_e64 s[8:9], 3, v28
	v_cndmask_b32_e64 v9, v26, v9, s[8:9]
	v_cndmask_b32_e32 v26, v2, v4, vcc
	v_cndmask_b32_e64 v26, v26, v6, s[6:7]
	v_cmp_eq_u32_e64 s[10:11], 4, v28
	v_cndmask_b32_e64 v8, v26, v8, s[8:9]
	v_cndmask_b32_e64 v9, v9, v11, s[10:11]
	v_cmp_eq_u32_e64 s[12:13], 5, v28
	v_cndmask_b32_e64 v8, v8, v10, s[10:11]
	;; [unrolled: 3-line block ×4, first 2 shown]
	ds_read_b64 v[26:27], v80 offset:8
	v_cndmask_b32_e64 v9, v9, v17, s[16:17]
	v_cmp_eq_u32_e64 s[18:19], 8, v28
	v_cndmask_b32_e64 v8, v8, v16, s[16:17]
	v_cndmask_b32_e64 v9, v9, v19, s[18:19]
	v_cmp_eq_u32_e64 s[20:21], 9, v28
	v_cndmask_b32_e64 v8, v8, v18, s[18:19]
	s_waitcnt vmcnt(1)
	v_cndmask_b32_e64 v9, v9, v21, s[20:21]
	v_cmp_eq_u32_e64 s[22:23], 10, v28
	v_cndmask_b32_e64 v8, v8, v20, s[20:21]
	s_waitcnt vmcnt(0)
	v_cndmask_b32_e64 v9, v9, v23, s[22:23]
	v_cndmask_b32_e64 v8, v8, v22, s[22:23]
	v_mov_b32_e32 v29, 0
	ds_read_b64 v[29:30], v29 offset:112
	s_waitcnt lgkmcnt(1)
	v_fma_f64 v[8:9], v[8:9], v[26:27], v[24:25]
	s_waitcnt lgkmcnt(0)
	v_fma_f64 v[24:25], v[6:7], v[29:30], v[8:9]
	v_cndmask_b32_e64 v25, v9, v25, s[0:1]
	v_cndmask_b32_e64 v24, v8, v24, s[0:1]
.LBB10_165:
	s_or_b64 exec, exec, s[26:27]
	v_mov_b32_e32 v8, 0
	ds_read_b64 v[8:9], v8 offset:24
	s_waitcnt lgkmcnt(0)
	v_mul_f64 v[8:9], v[24:25], v[8:9]
.LBB10_166:
	s_or_b64 exec, exec, s[24:25]
	v_cmp_gt_u32_e32 vcc, 4, v0
	s_waitcnt vmcnt(7)
	ds_write_b64 v80, v[10:11]
	s_waitcnt lgkmcnt(0)
	; wave barrier
	s_and_saveexec_b64 s[24:25], vcc
	s_cbranch_execz .LBB10_176
; %bb.167:
	s_and_b64 vcc, exec, s[2:3]
	s_cbranch_vccnz .LBB10_169
; %bb.168:
	v_cmp_eq_u32_e32 vcc, 1, v0
	s_waitcnt vmcnt(2)
	v_cndmask_b32_e32 v24, v3, v5, vcc
	v_cmp_eq_u32_e64 s[6:7], 2, v0
	v_cndmask_b32_e64 v24, v24, v7, s[6:7]
	v_cmp_eq_u32_e64 s[8:9], 3, v0
	v_cndmask_b32_e64 v24, v24, v9, s[8:9]
	;; [unrolled: 2-line block ×7, first 2 shown]
	v_cmp_eq_u32_e64 s[20:21], 9, v0
	s_waitcnt vmcnt(1)
	v_cndmask_b32_e64 v24, v24, v21, s[20:21]
	v_cmp_eq_u32_e64 s[22:23], 10, v0
	s_waitcnt vmcnt(0)
	v_cndmask_b32_e64 v25, v24, v23, s[22:23]
	v_cndmask_b32_e32 v24, v2, v4, vcc
	v_cndmask_b32_e64 v24, v24, v6, s[6:7]
	v_cndmask_b32_e64 v24, v24, v8, s[8:9]
	;; [unrolled: 1-line block ×5, first 2 shown]
	ds_read_b64 v[26:27], v80
	v_cndmask_b32_e64 v24, v24, v16, s[16:17]
	v_cndmask_b32_e64 v24, v24, v18, s[18:19]
	;; [unrolled: 1-line block ×4, first 2 shown]
	s_waitcnt lgkmcnt(0)
	v_mul_f64 v[24:25], v[24:25], v[26:27]
	s_cbranch_execz .LBB10_170
	s_branch .LBB10_171
.LBB10_169:
                                        ; implicit-def: $vgpr24_vgpr25
.LBB10_170:
	ds_read_b64 v[24:25], v80
.LBB10_171:
	v_cmp_ne_u32_e32 vcc, 3, v0
	s_and_saveexec_b64 s[8:9], vcc
	s_cbranch_execz .LBB10_175
; %bb.172:
	v_mov_b32_e32 v26, 0x68
	v_lshl_add_u32 v29, v0, 3, v26
	v_mov_b32_e32 v27, v1
	s_mov_b64 s[10:11], 0
	v_mov_b32_e32 v26, v0
.LBB10_173:                             ; =>This Inner Loop Header: Depth=1
	v_add_co_u32_e32 v26, vcc, 1, v26
	v_addc_co_u32_e32 v27, vcc, 0, v27, vcc
	v_cmp_eq_u32_e32 vcc, 1, v26
	s_waitcnt vmcnt(2)
	v_cndmask_b32_e32 v32, v3, v5, vcc
	v_cmp_eq_u32_e64 s[6:7], 2, v26
	v_cndmask_b32_e64 v32, v32, v7, s[6:7]
	v_cndmask_b32_e32 v33, v2, v4, vcc
	v_cmp_eq_u32_e32 vcc, 3, v26
	v_cndmask_b32_e32 v32, v32, v9, vcc
	v_cndmask_b32_e64 v33, v33, v6, s[6:7]
	v_cmp_eq_u32_e64 s[6:7], 4, v26
	v_cndmask_b32_e64 v32, v32, v11, s[6:7]
	v_cndmask_b32_e32 v33, v33, v8, vcc
	v_cmp_eq_u32_e32 vcc, 5, v26
	v_cndmask_b32_e32 v32, v32, v13, vcc
	v_cndmask_b32_e64 v33, v33, v10, s[6:7]
	v_cmp_eq_u32_e64 s[6:7], 6, v26
	v_cndmask_b32_e64 v32, v32, v15, s[6:7]
	v_cndmask_b32_e32 v33, v33, v12, vcc
	v_cmp_eq_u32_e32 vcc, 7, v26
	ds_read_b64 v[30:31], v29
	v_cndmask_b32_e32 v32, v32, v17, vcc
	v_cndmask_b32_e64 v33, v33, v14, s[6:7]
	v_cmp_eq_u32_e64 s[6:7], 8, v26
	v_cndmask_b32_e64 v32, v32, v19, s[6:7]
	v_cndmask_b32_e32 v33, v33, v16, vcc
	v_cmp_eq_u32_e32 vcc, 9, v26
	s_waitcnt vmcnt(1)
	v_cndmask_b32_e32 v32, v32, v21, vcc
	v_cndmask_b32_e64 v34, v33, v18, s[6:7]
	v_cmp_eq_u32_e64 s[6:7], 10, v26
	s_waitcnt vmcnt(0)
	v_cndmask_b32_e64 v33, v32, v23, s[6:7]
	v_cndmask_b32_e32 v32, v34, v20, vcc
	v_cndmask_b32_e64 v32, v32, v22, s[6:7]
	s_waitcnt lgkmcnt(0)
	v_fma_f64 v[24:25], v[32:33], v[30:31], v[24:25]
	v_cmp_lt_u32_e32 vcc, 2, v26
	s_or_b64 s[10:11], vcc, s[10:11]
	v_add_u32_e32 v29, 8, v29
	s_andn2_b64 exec, exec, s[10:11]
	s_cbranch_execnz .LBB10_173
; %bb.174:
	s_or_b64 exec, exec, s[10:11]
.LBB10_175:
	s_or_b64 exec, exec, s[8:9]
	v_mov_b32_e32 v10, 0
	ds_read_b64 v[10:11], v10 offset:32
	s_waitcnt lgkmcnt(0)
	v_mul_f64 v[10:11], v[24:25], v[10:11]
.LBB10_176:
	s_or_b64 exec, exec, s[24:25]
	v_cmp_gt_u32_e64 s[6:7], 5, v0
	s_waitcnt vmcnt(6)
	ds_write_b64 v80, v[12:13]
	s_waitcnt lgkmcnt(0)
	; wave barrier
	s_and_saveexec_b64 s[26:27], s[6:7]
	s_cbranch_execz .LBB10_186
; %bb.177:
	s_and_b64 vcc, exec, s[2:3]
	s_cbranch_vccnz .LBB10_179
; %bb.178:
	v_cmp_eq_u32_e32 vcc, 1, v0
	s_waitcnt vmcnt(2)
	v_cndmask_b32_e32 v24, v3, v5, vcc
	v_cmp_eq_u32_e64 s[8:9], 2, v0
	v_cndmask_b32_e64 v24, v24, v7, s[8:9]
	v_cmp_eq_u32_e64 s[10:11], 3, v0
	v_cndmask_b32_e64 v24, v24, v9, s[10:11]
	v_cmp_eq_u32_e64 s[12:13], 4, v0
	v_cndmask_b32_e64 v24, v24, v11, s[12:13]
	v_cmp_eq_u32_e64 s[14:15], 5, v0
	v_cndmask_b32_e64 v24, v24, v13, s[14:15]
	v_cmp_eq_u32_e64 s[16:17], 6, v0
	v_cndmask_b32_e64 v24, v24, v15, s[16:17]
	v_cmp_eq_u32_e64 s[18:19], 7, v0
	v_cndmask_b32_e64 v24, v24, v17, s[18:19]
	v_cmp_eq_u32_e64 s[20:21], 8, v0
	v_cndmask_b32_e64 v24, v24, v19, s[20:21]
	v_cmp_eq_u32_e64 s[22:23], 9, v0
	s_waitcnt vmcnt(1)
	v_cndmask_b32_e64 v24, v24, v21, s[22:23]
	v_cmp_eq_u32_e64 s[24:25], 10, v0
	s_waitcnt vmcnt(0)
	v_cndmask_b32_e64 v25, v24, v23, s[24:25]
	v_cndmask_b32_e32 v24, v2, v4, vcc
	v_cndmask_b32_e64 v24, v24, v6, s[8:9]
	v_cndmask_b32_e64 v24, v24, v8, s[10:11]
	;; [unrolled: 1-line block ×5, first 2 shown]
	ds_read_b64 v[26:27], v80
	v_cndmask_b32_e64 v24, v24, v16, s[18:19]
	v_cndmask_b32_e64 v24, v24, v18, s[20:21]
	;; [unrolled: 1-line block ×4, first 2 shown]
	s_waitcnt lgkmcnt(0)
	v_mul_f64 v[24:25], v[24:25], v[26:27]
	s_cbranch_execz .LBB10_180
	s_branch .LBB10_181
.LBB10_179:
                                        ; implicit-def: $vgpr24_vgpr25
.LBB10_180:
	ds_read_b64 v[24:25], v80
.LBB10_181:
	v_cmp_ne_u32_e32 vcc, 4, v0
	s_and_saveexec_b64 s[10:11], vcc
	s_cbranch_execz .LBB10_185
; %bb.182:
	v_mov_b32_e32 v26, 0x68
	v_lshl_add_u32 v29, v0, 3, v26
	v_mov_b32_e32 v27, v1
	s_mov_b64 s[12:13], 0
	v_mov_b32_e32 v26, v0
.LBB10_183:                             ; =>This Inner Loop Header: Depth=1
	v_add_co_u32_e32 v26, vcc, 1, v26
	v_addc_co_u32_e32 v27, vcc, 0, v27, vcc
	v_cmp_eq_u32_e32 vcc, 1, v26
	s_waitcnt vmcnt(2)
	v_cndmask_b32_e32 v32, v3, v5, vcc
	v_cmp_eq_u32_e64 s[8:9], 2, v26
	v_cndmask_b32_e64 v32, v32, v7, s[8:9]
	v_cndmask_b32_e32 v33, v2, v4, vcc
	v_cmp_eq_u32_e32 vcc, 3, v26
	v_cndmask_b32_e32 v32, v32, v9, vcc
	v_cndmask_b32_e64 v33, v33, v6, s[8:9]
	v_cmp_eq_u32_e64 s[8:9], 4, v26
	v_cndmask_b32_e64 v32, v32, v11, s[8:9]
	v_cndmask_b32_e32 v33, v33, v8, vcc
	v_cmp_eq_u32_e32 vcc, 5, v26
	v_cndmask_b32_e32 v32, v32, v13, vcc
	v_cndmask_b32_e64 v33, v33, v10, s[8:9]
	v_cmp_eq_u32_e64 s[8:9], 6, v26
	v_cndmask_b32_e64 v32, v32, v15, s[8:9]
	v_cndmask_b32_e32 v33, v33, v12, vcc
	v_cmp_eq_u32_e32 vcc, 7, v26
	ds_read_b64 v[30:31], v29
	v_cndmask_b32_e32 v32, v32, v17, vcc
	v_cndmask_b32_e64 v33, v33, v14, s[8:9]
	v_cmp_eq_u32_e64 s[8:9], 8, v26
	v_cndmask_b32_e64 v32, v32, v19, s[8:9]
	v_cndmask_b32_e32 v33, v33, v16, vcc
	v_cmp_eq_u32_e32 vcc, 9, v26
	s_waitcnt vmcnt(1)
	v_cndmask_b32_e32 v32, v32, v21, vcc
	v_cndmask_b32_e64 v34, v33, v18, s[8:9]
	v_cmp_eq_u32_e64 s[8:9], 10, v26
	s_waitcnt vmcnt(0)
	v_cndmask_b32_e64 v33, v32, v23, s[8:9]
	v_cndmask_b32_e32 v32, v34, v20, vcc
	v_cndmask_b32_e64 v32, v32, v22, s[8:9]
	s_waitcnt lgkmcnt(0)
	v_fma_f64 v[24:25], v[32:33], v[30:31], v[24:25]
	v_cmp_lt_u32_e32 vcc, 3, v26
	s_or_b64 s[12:13], vcc, s[12:13]
	v_add_u32_e32 v29, 8, v29
	s_andn2_b64 exec, exec, s[12:13]
	s_cbranch_execnz .LBB10_183
; %bb.184:
	s_or_b64 exec, exec, s[12:13]
.LBB10_185:
	s_or_b64 exec, exec, s[10:11]
	v_mov_b32_e32 v12, 0
	ds_read_b64 v[12:13], v12 offset:40
	s_waitcnt lgkmcnt(0)
	v_mul_f64 v[12:13], v[24:25], v[12:13]
.LBB10_186:
	s_or_b64 exec, exec, s[26:27]
	v_cmp_gt_u32_e32 vcc, 6, v0
	s_waitcnt vmcnt(5)
	ds_write_b64 v80, v[14:15]
	s_waitcnt lgkmcnt(0)
	; wave barrier
	s_and_saveexec_b64 s[26:27], vcc
	s_cbranch_execz .LBB10_196
; %bb.187:
	s_and_b64 vcc, exec, s[2:3]
	s_cbranch_vccnz .LBB10_189
; %bb.188:
	v_cmp_eq_u32_e32 vcc, 1, v0
	s_waitcnt vmcnt(2)
	v_cndmask_b32_e32 v24, v3, v5, vcc
	v_cmp_eq_u32_e64 s[8:9], 2, v0
	v_cndmask_b32_e64 v24, v24, v7, s[8:9]
	v_cmp_eq_u32_e64 s[10:11], 3, v0
	v_cndmask_b32_e64 v24, v24, v9, s[10:11]
	v_cmp_eq_u32_e64 s[12:13], 4, v0
	v_cndmask_b32_e64 v24, v24, v11, s[12:13]
	v_cmp_eq_u32_e64 s[14:15], 5, v0
	v_cndmask_b32_e64 v24, v24, v13, s[14:15]
	v_cmp_eq_u32_e64 s[16:17], 6, v0
	v_cndmask_b32_e64 v24, v24, v15, s[16:17]
	v_cmp_eq_u32_e64 s[18:19], 7, v0
	v_cndmask_b32_e64 v24, v24, v17, s[18:19]
	v_cmp_eq_u32_e64 s[20:21], 8, v0
	v_cndmask_b32_e64 v24, v24, v19, s[20:21]
	v_cmp_eq_u32_e64 s[22:23], 9, v0
	s_waitcnt vmcnt(1)
	v_cndmask_b32_e64 v24, v24, v21, s[22:23]
	v_cmp_eq_u32_e64 s[24:25], 10, v0
	s_waitcnt vmcnt(0)
	v_cndmask_b32_e64 v25, v24, v23, s[24:25]
	v_cndmask_b32_e32 v24, v2, v4, vcc
	v_cndmask_b32_e64 v24, v24, v6, s[8:9]
	v_cndmask_b32_e64 v24, v24, v8, s[10:11]
	;; [unrolled: 1-line block ×5, first 2 shown]
	ds_read_b64 v[26:27], v80
	v_cndmask_b32_e64 v24, v24, v16, s[18:19]
	v_cndmask_b32_e64 v24, v24, v18, s[20:21]
	;; [unrolled: 1-line block ×4, first 2 shown]
	s_waitcnt lgkmcnt(0)
	v_mul_f64 v[24:25], v[24:25], v[26:27]
	s_cbranch_execz .LBB10_190
	s_branch .LBB10_191
.LBB10_189:
                                        ; implicit-def: $vgpr24_vgpr25
.LBB10_190:
	ds_read_b64 v[24:25], v80
.LBB10_191:
	v_cmp_ne_u32_e32 vcc, 5, v0
	s_and_saveexec_b64 s[10:11], vcc
	s_cbranch_execz .LBB10_195
; %bb.192:
	v_mov_b32_e32 v26, 0x68
	v_lshl_add_u32 v29, v0, 3, v26
	v_mov_b32_e32 v27, v1
	s_mov_b64 s[12:13], 0
	v_mov_b32_e32 v26, v0
.LBB10_193:                             ; =>This Inner Loop Header: Depth=1
	v_add_co_u32_e32 v26, vcc, 1, v26
	v_addc_co_u32_e32 v27, vcc, 0, v27, vcc
	v_cmp_eq_u32_e32 vcc, 1, v26
	s_waitcnt vmcnt(2)
	v_cndmask_b32_e32 v32, v3, v5, vcc
	v_cmp_eq_u32_e64 s[8:9], 2, v26
	v_cndmask_b32_e64 v32, v32, v7, s[8:9]
	v_cndmask_b32_e32 v33, v2, v4, vcc
	v_cmp_eq_u32_e32 vcc, 3, v26
	v_cndmask_b32_e32 v32, v32, v9, vcc
	v_cndmask_b32_e64 v33, v33, v6, s[8:9]
	v_cmp_eq_u32_e64 s[8:9], 4, v26
	v_cndmask_b32_e64 v32, v32, v11, s[8:9]
	v_cndmask_b32_e32 v33, v33, v8, vcc
	v_cmp_eq_u32_e32 vcc, 5, v26
	v_cndmask_b32_e32 v32, v32, v13, vcc
	v_cndmask_b32_e64 v33, v33, v10, s[8:9]
	v_cmp_eq_u32_e64 s[8:9], 6, v26
	v_cndmask_b32_e64 v32, v32, v15, s[8:9]
	v_cndmask_b32_e32 v33, v33, v12, vcc
	v_cmp_eq_u32_e32 vcc, 7, v26
	ds_read_b64 v[30:31], v29
	v_cndmask_b32_e32 v32, v32, v17, vcc
	v_cndmask_b32_e64 v33, v33, v14, s[8:9]
	v_cmp_eq_u32_e64 s[8:9], 8, v26
	v_cndmask_b32_e64 v32, v32, v19, s[8:9]
	v_cndmask_b32_e32 v33, v33, v16, vcc
	v_cmp_eq_u32_e32 vcc, 9, v26
	s_waitcnt vmcnt(1)
	v_cndmask_b32_e32 v32, v32, v21, vcc
	v_cndmask_b32_e64 v34, v33, v18, s[8:9]
	v_cmp_eq_u32_e64 s[8:9], 10, v26
	s_waitcnt vmcnt(0)
	v_cndmask_b32_e64 v33, v32, v23, s[8:9]
	v_cndmask_b32_e32 v32, v34, v20, vcc
	v_cndmask_b32_e64 v32, v32, v22, s[8:9]
	s_waitcnt lgkmcnt(0)
	v_fma_f64 v[24:25], v[32:33], v[30:31], v[24:25]
	v_cmp_lt_u32_e32 vcc, 4, v26
	s_or_b64 s[12:13], vcc, s[12:13]
	v_add_u32_e32 v29, 8, v29
	s_andn2_b64 exec, exec, s[12:13]
	s_cbranch_execnz .LBB10_193
; %bb.194:
	s_or_b64 exec, exec, s[12:13]
.LBB10_195:
	s_or_b64 exec, exec, s[10:11]
	v_mov_b32_e32 v14, 0
	ds_read_b64 v[14:15], v14 offset:48
	s_waitcnt lgkmcnt(0)
	v_mul_f64 v[14:15], v[24:25], v[14:15]
.LBB10_196:
	s_or_b64 exec, exec, s[26:27]
	v_cmp_gt_u32_e64 s[8:9], 7, v0
	s_waitcnt vmcnt(4)
	ds_write_b64 v80, v[16:17]
	s_waitcnt lgkmcnt(0)
	; wave barrier
	s_and_saveexec_b64 s[28:29], s[8:9]
	s_cbranch_execz .LBB10_206
; %bb.197:
	s_and_b64 vcc, exec, s[2:3]
	s_cbranch_vccnz .LBB10_199
; %bb.198:
	v_cmp_eq_u32_e32 vcc, 1, v0
	s_waitcnt vmcnt(2)
	v_cndmask_b32_e32 v24, v3, v5, vcc
	v_cmp_eq_u32_e64 s[10:11], 2, v0
	v_cndmask_b32_e64 v24, v24, v7, s[10:11]
	v_cmp_eq_u32_e64 s[12:13], 3, v0
	v_cndmask_b32_e64 v24, v24, v9, s[12:13]
	;; [unrolled: 2-line block ×7, first 2 shown]
	v_cmp_eq_u32_e64 s[24:25], 9, v0
	s_waitcnt vmcnt(1)
	v_cndmask_b32_e64 v24, v24, v21, s[24:25]
	v_cmp_eq_u32_e64 s[26:27], 10, v0
	s_waitcnt vmcnt(0)
	v_cndmask_b32_e64 v25, v24, v23, s[26:27]
	v_cndmask_b32_e32 v24, v2, v4, vcc
	v_cndmask_b32_e64 v24, v24, v6, s[10:11]
	v_cndmask_b32_e64 v24, v24, v8, s[12:13]
	;; [unrolled: 1-line block ×5, first 2 shown]
	ds_read_b64 v[26:27], v80
	v_cndmask_b32_e64 v24, v24, v16, s[20:21]
	v_cndmask_b32_e64 v24, v24, v18, s[22:23]
	;; [unrolled: 1-line block ×4, first 2 shown]
	s_waitcnt lgkmcnt(0)
	v_mul_f64 v[24:25], v[24:25], v[26:27]
	s_cbranch_execz .LBB10_200
	s_branch .LBB10_201
.LBB10_199:
                                        ; implicit-def: $vgpr24_vgpr25
.LBB10_200:
	ds_read_b64 v[24:25], v80
.LBB10_201:
	v_cmp_ne_u32_e32 vcc, 6, v0
	s_and_saveexec_b64 s[12:13], vcc
	s_cbranch_execz .LBB10_205
; %bb.202:
	v_mov_b32_e32 v26, 0x68
	v_lshl_add_u32 v29, v0, 3, v26
	v_mov_b32_e32 v27, v1
	s_mov_b64 s[14:15], 0
	v_mov_b32_e32 v26, v0
.LBB10_203:                             ; =>This Inner Loop Header: Depth=1
	v_add_co_u32_e32 v26, vcc, 1, v26
	v_addc_co_u32_e32 v27, vcc, 0, v27, vcc
	v_cmp_eq_u32_e32 vcc, 1, v26
	s_waitcnt vmcnt(2)
	v_cndmask_b32_e32 v32, v3, v5, vcc
	v_cmp_eq_u32_e64 s[10:11], 2, v26
	v_cndmask_b32_e64 v32, v32, v7, s[10:11]
	v_cndmask_b32_e32 v33, v2, v4, vcc
	v_cmp_eq_u32_e32 vcc, 3, v26
	v_cndmask_b32_e32 v32, v32, v9, vcc
	v_cndmask_b32_e64 v33, v33, v6, s[10:11]
	v_cmp_eq_u32_e64 s[10:11], 4, v26
	v_cndmask_b32_e64 v32, v32, v11, s[10:11]
	v_cndmask_b32_e32 v33, v33, v8, vcc
	v_cmp_eq_u32_e32 vcc, 5, v26
	v_cndmask_b32_e32 v32, v32, v13, vcc
	v_cndmask_b32_e64 v33, v33, v10, s[10:11]
	v_cmp_eq_u32_e64 s[10:11], 6, v26
	v_cndmask_b32_e64 v32, v32, v15, s[10:11]
	v_cndmask_b32_e32 v33, v33, v12, vcc
	v_cmp_eq_u32_e32 vcc, 7, v26
	ds_read_b64 v[30:31], v29
	v_cndmask_b32_e32 v32, v32, v17, vcc
	v_cndmask_b32_e64 v33, v33, v14, s[10:11]
	v_cmp_eq_u32_e64 s[10:11], 8, v26
	v_cndmask_b32_e64 v32, v32, v19, s[10:11]
	v_cndmask_b32_e32 v33, v33, v16, vcc
	v_cmp_eq_u32_e32 vcc, 9, v26
	s_waitcnt vmcnt(1)
	v_cndmask_b32_e32 v32, v32, v21, vcc
	v_cndmask_b32_e64 v34, v33, v18, s[10:11]
	v_cmp_eq_u32_e64 s[10:11], 10, v26
	s_waitcnt vmcnt(0)
	v_cndmask_b32_e64 v33, v32, v23, s[10:11]
	v_cndmask_b32_e32 v32, v34, v20, vcc
	v_cndmask_b32_e64 v32, v32, v22, s[10:11]
	s_waitcnt lgkmcnt(0)
	v_fma_f64 v[24:25], v[32:33], v[30:31], v[24:25]
	v_cmp_lt_u32_e32 vcc, 5, v26
	s_or_b64 s[14:15], vcc, s[14:15]
	v_add_u32_e32 v29, 8, v29
	s_andn2_b64 exec, exec, s[14:15]
	s_cbranch_execnz .LBB10_203
; %bb.204:
	s_or_b64 exec, exec, s[14:15]
.LBB10_205:
	s_or_b64 exec, exec, s[12:13]
	v_mov_b32_e32 v16, 0
	ds_read_b64 v[16:17], v16 offset:56
	s_waitcnt lgkmcnt(0)
	v_mul_f64 v[16:17], v[24:25], v[16:17]
.LBB10_206:
	s_or_b64 exec, exec, s[28:29]
	v_cmp_gt_u32_e32 vcc, 8, v0
	s_waitcnt vmcnt(3)
	ds_write_b64 v80, v[18:19]
	s_waitcnt lgkmcnt(0)
	; wave barrier
	s_and_saveexec_b64 s[28:29], vcc
	s_cbranch_execz .LBB10_216
; %bb.207:
	s_and_b64 vcc, exec, s[2:3]
	s_cbranch_vccnz .LBB10_209
; %bb.208:
	v_cmp_eq_u32_e32 vcc, 1, v0
	s_waitcnt vmcnt(2)
	v_cndmask_b32_e32 v24, v3, v5, vcc
	v_cmp_eq_u32_e64 s[10:11], 2, v0
	v_cndmask_b32_e64 v24, v24, v7, s[10:11]
	v_cmp_eq_u32_e64 s[12:13], 3, v0
	v_cndmask_b32_e64 v24, v24, v9, s[12:13]
	;; [unrolled: 2-line block ×7, first 2 shown]
	v_cmp_eq_u32_e64 s[24:25], 9, v0
	s_waitcnt vmcnt(1)
	v_cndmask_b32_e64 v24, v24, v21, s[24:25]
	v_cmp_eq_u32_e64 s[26:27], 10, v0
	s_waitcnt vmcnt(0)
	v_cndmask_b32_e64 v25, v24, v23, s[26:27]
	v_cndmask_b32_e32 v24, v2, v4, vcc
	v_cndmask_b32_e64 v24, v24, v6, s[10:11]
	v_cndmask_b32_e64 v24, v24, v8, s[12:13]
	;; [unrolled: 1-line block ×5, first 2 shown]
	ds_read_b64 v[26:27], v80
	v_cndmask_b32_e64 v24, v24, v16, s[20:21]
	v_cndmask_b32_e64 v24, v24, v18, s[22:23]
	;; [unrolled: 1-line block ×4, first 2 shown]
	s_waitcnt lgkmcnt(0)
	v_mul_f64 v[24:25], v[24:25], v[26:27]
	s_cbranch_execz .LBB10_210
	s_branch .LBB10_211
.LBB10_209:
                                        ; implicit-def: $vgpr24_vgpr25
.LBB10_210:
	ds_read_b64 v[24:25], v80
.LBB10_211:
	v_cmp_ne_u32_e32 vcc, 7, v0
	s_and_saveexec_b64 s[12:13], vcc
	s_cbranch_execz .LBB10_215
; %bb.212:
	v_mov_b32_e32 v26, 0x68
	v_lshl_add_u32 v29, v0, 3, v26
	v_mov_b32_e32 v27, v1
	s_mov_b64 s[14:15], 0
	v_mov_b32_e32 v26, v0
.LBB10_213:                             ; =>This Inner Loop Header: Depth=1
	v_add_co_u32_e32 v26, vcc, 1, v26
	v_addc_co_u32_e32 v27, vcc, 0, v27, vcc
	v_cmp_eq_u32_e32 vcc, 1, v26
	s_waitcnt vmcnt(2)
	v_cndmask_b32_e32 v32, v3, v5, vcc
	v_cmp_eq_u32_e64 s[10:11], 2, v26
	v_cndmask_b32_e64 v32, v32, v7, s[10:11]
	v_cndmask_b32_e32 v33, v2, v4, vcc
	v_cmp_eq_u32_e32 vcc, 3, v26
	v_cndmask_b32_e32 v32, v32, v9, vcc
	v_cndmask_b32_e64 v33, v33, v6, s[10:11]
	v_cmp_eq_u32_e64 s[10:11], 4, v26
	v_cndmask_b32_e64 v32, v32, v11, s[10:11]
	v_cndmask_b32_e32 v33, v33, v8, vcc
	v_cmp_eq_u32_e32 vcc, 5, v26
	v_cndmask_b32_e32 v32, v32, v13, vcc
	v_cndmask_b32_e64 v33, v33, v10, s[10:11]
	v_cmp_eq_u32_e64 s[10:11], 6, v26
	v_cndmask_b32_e64 v32, v32, v15, s[10:11]
	v_cndmask_b32_e32 v33, v33, v12, vcc
	v_cmp_eq_u32_e32 vcc, 7, v26
	ds_read_b64 v[30:31], v29
	v_cndmask_b32_e32 v32, v32, v17, vcc
	v_cndmask_b32_e64 v33, v33, v14, s[10:11]
	v_cmp_eq_u32_e64 s[10:11], 8, v26
	v_cndmask_b32_e64 v32, v32, v19, s[10:11]
	v_cndmask_b32_e32 v33, v33, v16, vcc
	v_cmp_eq_u32_e32 vcc, 9, v26
	s_waitcnt vmcnt(1)
	v_cndmask_b32_e32 v32, v32, v21, vcc
	v_cndmask_b32_e64 v34, v33, v18, s[10:11]
	v_cmp_eq_u32_e64 s[10:11], 10, v26
	s_waitcnt vmcnt(0)
	v_cndmask_b32_e64 v33, v32, v23, s[10:11]
	v_cndmask_b32_e32 v32, v34, v20, vcc
	v_cndmask_b32_e64 v32, v32, v22, s[10:11]
	s_waitcnt lgkmcnt(0)
	v_fma_f64 v[24:25], v[32:33], v[30:31], v[24:25]
	v_cmp_lt_u32_e32 vcc, 6, v26
	s_or_b64 s[14:15], vcc, s[14:15]
	v_add_u32_e32 v29, 8, v29
	s_andn2_b64 exec, exec, s[14:15]
	s_cbranch_execnz .LBB10_213
; %bb.214:
	s_or_b64 exec, exec, s[14:15]
.LBB10_215:
	s_or_b64 exec, exec, s[12:13]
	v_mov_b32_e32 v18, 0
	ds_read_b64 v[18:19], v18 offset:64
	s_waitcnt lgkmcnt(0)
	v_mul_f64 v[18:19], v[24:25], v[18:19]
.LBB10_216:
	s_or_b64 exec, exec, s[28:29]
	v_cmp_gt_u32_e64 s[10:11], 9, v0
	s_waitcnt vmcnt(1)
	ds_write_b64 v80, v[20:21]
	s_waitcnt lgkmcnt(0)
	; wave barrier
	s_and_saveexec_b64 s[30:31], s[10:11]
	s_cbranch_execz .LBB10_238
; %bb.217:
	s_and_b64 vcc, exec, s[2:3]
	s_cbranch_vccnz .LBB10_219
; %bb.218:
	v_cmp_eq_u32_e32 vcc, 1, v0
	v_cndmask_b32_e32 v24, v3, v5, vcc
	v_cmp_eq_u32_e64 s[12:13], 2, v0
	v_cndmask_b32_e64 v24, v24, v7, s[12:13]
	v_cmp_eq_u32_e64 s[14:15], 3, v0
	v_cndmask_b32_e64 v24, v24, v9, s[14:15]
	;; [unrolled: 2-line block ×8, first 2 shown]
	v_cmp_eq_u32_e64 s[28:29], 10, v0
	s_waitcnt vmcnt(0)
	v_cndmask_b32_e64 v25, v24, v23, s[28:29]
	v_cndmask_b32_e32 v24, v2, v4, vcc
	v_cndmask_b32_e64 v24, v24, v6, s[12:13]
	v_cndmask_b32_e64 v24, v24, v8, s[14:15]
	;; [unrolled: 1-line block ×5, first 2 shown]
	ds_read_b64 v[26:27], v80
	v_cndmask_b32_e64 v24, v24, v16, s[22:23]
	v_cndmask_b32_e64 v24, v24, v18, s[24:25]
	;; [unrolled: 1-line block ×4, first 2 shown]
	s_waitcnt lgkmcnt(0)
	v_mul_f64 v[24:25], v[24:25], v[26:27]
	s_cbranch_execz .LBB10_220
	s_branch .LBB10_221
.LBB10_219:
                                        ; implicit-def: $vgpr24_vgpr25
.LBB10_220:
	ds_read_b64 v[24:25], v80
.LBB10_221:
	v_cmp_ne_u32_e32 vcc, 8, v0
	s_and_saveexec_b64 s[34:35], vcc
	s_cbranch_execz .LBB10_237
; %bb.222:
	v_cmp_eq_u32_e32 vcc, 1, v28
	v_cndmask_b32_e32 v26, v3, v5, vcc
	v_cmp_eq_u32_e64 s[12:13], 2, v28
	v_cndmask_b32_e64 v26, v26, v7, s[12:13]
	v_cmp_eq_u32_e64 s[14:15], 3, v28
	v_cndmask_b32_e64 v26, v26, v9, s[14:15]
	;; [unrolled: 2-line block ×8, first 2 shown]
	v_cmp_eq_u32_e64 s[28:29], 10, v28
	s_waitcnt vmcnt(0)
	v_cndmask_b32_e64 v27, v26, v23, s[28:29]
	v_cndmask_b32_e32 v26, v2, v4, vcc
	v_cndmask_b32_e64 v26, v26, v6, s[12:13]
	v_cndmask_b32_e64 v26, v26, v8, s[14:15]
	;; [unrolled: 1-line block ×5, first 2 shown]
	ds_read_b64 v[28:29], v80 offset:8
	v_cndmask_b32_e64 v26, v26, v16, s[22:23]
	v_cndmask_b32_e64 v26, v26, v18, s[24:25]
	;; [unrolled: 1-line block ×4, first 2 shown]
	s_waitcnt lgkmcnt(0)
	v_fma_f64 v[24:25], v[26:27], v[28:29], v[24:25]
	s_and_saveexec_b64 s[28:29], s[8:9]
	s_cbranch_execz .LBB10_236
; %bb.223:
	v_add_u32_e32 v26, 2, v0
	v_cmp_eq_u32_e32 vcc, 1, v26
	v_cndmask_b32_e32 v27, v3, v5, vcc
	v_cmp_eq_u32_e64 s[8:9], 2, v26
	v_cmp_eq_u32_e64 s[12:13], 3, v26
	;; [unrolled: 1-line block ×9, first 2 shown]
	v_cndmask_b32_e32 v26, v2, v4, vcc
	v_cndmask_b32_e64 v27, v27, v7, s[8:9]
	v_cndmask_b32_e64 v26, v26, v6, s[8:9]
	;; [unrolled: 1-line block ×10, first 2 shown]
	ds_read_b64 v[28:29], v80 offset:16
	v_cndmask_b32_e64 v27, v27, v17, s[20:21]
	v_cndmask_b32_e64 v26, v26, v16, s[20:21]
	;; [unrolled: 1-line block ×8, first 2 shown]
	s_waitcnt lgkmcnt(0)
	v_fma_f64 v[24:25], v[26:27], v[28:29], v[24:25]
	v_cmp_ne_u32_e32 vcc, 6, v0
	s_and_saveexec_b64 s[36:37], vcc
	s_cbranch_execz .LBB10_235
; %bb.224:
	v_add_u32_e32 v26, 3, v0
	v_cmp_eq_u32_e32 vcc, 1, v26
	v_cndmask_b32_e32 v27, v3, v5, vcc
	v_cmp_eq_u32_e64 s[8:9], 2, v26
	v_cmp_eq_u32_e64 s[12:13], 3, v26
	;; [unrolled: 1-line block ×9, first 2 shown]
	v_cndmask_b32_e32 v26, v2, v4, vcc
	v_cndmask_b32_e64 v27, v27, v7, s[8:9]
	v_cndmask_b32_e64 v26, v26, v6, s[8:9]
	;; [unrolled: 1-line block ×10, first 2 shown]
	ds_read_b64 v[28:29], v80 offset:24
	v_cndmask_b32_e64 v27, v27, v17, s[20:21]
	v_cndmask_b32_e64 v26, v26, v16, s[20:21]
	;; [unrolled: 1-line block ×8, first 2 shown]
	s_waitcnt lgkmcnt(0)
	v_fma_f64 v[24:25], v[26:27], v[28:29], v[24:25]
	s_and_saveexec_b64 s[26:27], s[6:7]
	s_cbranch_execz .LBB10_234
; %bb.225:
	v_add_u32_e32 v26, 4, v0
	v_cmp_eq_u32_e32 vcc, 1, v26
	v_cndmask_b32_e32 v27, v3, v5, vcc
	v_cmp_eq_u32_e64 s[6:7], 2, v26
	v_cmp_eq_u32_e64 s[8:9], 3, v26
	;; [unrolled: 1-line block ×9, first 2 shown]
	v_cndmask_b32_e32 v26, v2, v4, vcc
	v_cndmask_b32_e64 v27, v27, v7, s[6:7]
	v_cndmask_b32_e64 v26, v26, v6, s[6:7]
	;; [unrolled: 1-line block ×10, first 2 shown]
	ds_read_b64 v[28:29], v80 offset:32
	v_cndmask_b32_e64 v27, v27, v17, s[18:19]
	v_cndmask_b32_e64 v26, v26, v16, s[18:19]
	v_cndmask_b32_e64 v27, v27, v19, s[20:21]
	v_cndmask_b32_e64 v26, v26, v18, s[20:21]
	v_cndmask_b32_e64 v27, v27, v21, s[22:23]
	v_cndmask_b32_e64 v26, v26, v20, s[22:23]
	v_cndmask_b32_e64 v27, v27, v23, s[24:25]
	v_cndmask_b32_e64 v26, v26, v22, s[24:25]
	s_waitcnt lgkmcnt(0)
	v_fma_f64 v[24:25], v[26:27], v[28:29], v[24:25]
	v_cmp_ne_u32_e32 vcc, 4, v0
	s_and_saveexec_b64 s[38:39], vcc
	s_cbranch_execz .LBB10_233
; %bb.226:
	v_add_u32_e32 v26, 5, v0
	v_cmp_eq_u32_e32 vcc, 1, v26
	v_cndmask_b32_e32 v27, v3, v5, vcc
	v_cmp_eq_u32_e64 s[6:7], 2, v26
	v_cmp_eq_u32_e64 s[8:9], 3, v26
	;; [unrolled: 1-line block ×9, first 2 shown]
	v_cndmask_b32_e32 v26, v2, v4, vcc
	v_cndmask_b32_e64 v27, v27, v7, s[6:7]
	v_cndmask_b32_e64 v26, v26, v6, s[6:7]
	;; [unrolled: 1-line block ×10, first 2 shown]
	ds_read_b64 v[28:29], v80 offset:40
	v_cndmask_b32_e64 v27, v27, v17, s[18:19]
	v_cndmask_b32_e64 v26, v26, v16, s[18:19]
	;; [unrolled: 1-line block ×8, first 2 shown]
	s_waitcnt lgkmcnt(0)
	v_fma_f64 v[24:25], v[26:27], v[28:29], v[24:25]
	s_and_saveexec_b64 s[24:25], s[4:5]
	s_cbranch_execz .LBB10_232
; %bb.227:
	v_add_u32_e32 v26, 6, v0
	v_cmp_eq_u32_e32 vcc, 1, v26
	v_cndmask_b32_e32 v27, v3, v5, vcc
	v_cmp_eq_u32_e64 s[4:5], 2, v26
	v_cmp_eq_u32_e64 s[6:7], 3, v26
	;; [unrolled: 1-line block ×9, first 2 shown]
	v_cndmask_b32_e32 v26, v2, v4, vcc
	v_cndmask_b32_e64 v27, v27, v7, s[4:5]
	v_cndmask_b32_e64 v26, v26, v6, s[4:5]
	v_cndmask_b32_e64 v27, v27, v9, s[6:7]
	v_cndmask_b32_e64 v26, v26, v8, s[6:7]
	v_cndmask_b32_e64 v27, v27, v11, s[8:9]
	v_cndmask_b32_e64 v26, v26, v10, s[8:9]
	v_cndmask_b32_e64 v27, v27, v13, s[12:13]
	v_cndmask_b32_e64 v26, v26, v12, s[12:13]
	v_cndmask_b32_e64 v27, v27, v15, s[14:15]
	v_cndmask_b32_e64 v26, v26, v14, s[14:15]
	ds_read_b64 v[28:29], v80 offset:48
	v_cndmask_b32_e64 v27, v27, v17, s[16:17]
	v_cndmask_b32_e64 v26, v26, v16, s[16:17]
	;; [unrolled: 1-line block ×8, first 2 shown]
	s_waitcnt lgkmcnt(0)
	v_fma_f64 v[24:25], v[26:27], v[28:29], v[24:25]
	v_cmp_ne_u32_e32 vcc, 2, v0
	s_and_saveexec_b64 s[40:41], vcc
	s_cbranch_execz .LBB10_231
; %bb.228:
	v_add_u32_e32 v26, 7, v0
	v_cmp_eq_u32_e32 vcc, 1, v26
	v_cndmask_b32_e32 v27, v3, v5, vcc
	v_cmp_eq_u32_e64 s[4:5], 2, v26
	v_cndmask_b32_e64 v27, v27, v7, s[4:5]
	v_cmp_eq_u32_e64 s[6:7], 3, v26
	v_cndmask_b32_e64 v27, v27, v9, s[6:7]
	v_cmp_eq_u32_e64 s[8:9], 4, v26
	v_cndmask_b32_e64 v27, v27, v11, s[8:9]
	v_cmp_eq_u32_e64 s[12:13], 5, v26
	v_cmp_eq_u32_e64 s[14:15], 6, v26
	;; [unrolled: 1-line block ×6, first 2 shown]
	v_cndmask_b32_e32 v26, v2, v4, vcc
	v_cndmask_b32_e64 v27, v27, v13, s[12:13]
	v_cndmask_b32_e64 v26, v26, v6, s[4:5]
	;; [unrolled: 1-line block ×10, first 2 shown]
	ds_read_b64 v[26:27], v80 offset:56
	v_cndmask_b32_e64 v28, v28, v16, s[16:17]
	v_cndmask_b32_e64 v28, v28, v18, s[18:19]
	;; [unrolled: 1-line block ×5, first 2 shown]
	s_waitcnt lgkmcnt(0)
	v_fma_f64 v[24:25], v[20:21], v[26:27], v[24:25]
	s_and_saveexec_b64 s[4:5], s[0:1]
	s_cbranch_execz .LBB10_230
; %bb.229:
	ds_read_b64 v[20:21], v80 offset:64
	s_waitcnt lgkmcnt(0)
	v_fma_f64 v[24:25], v[18:19], v[20:21], v[24:25]
.LBB10_230:
	s_or_b64 exec, exec, s[4:5]
.LBB10_231:
	s_or_b64 exec, exec, s[40:41]
.LBB10_232:
	s_or_b64 exec, exec, s[24:25]
.LBB10_233:
	s_or_b64 exec, exec, s[38:39]
.LBB10_234:
	s_or_b64 exec, exec, s[26:27]
.LBB10_235:
	s_or_b64 exec, exec, s[36:37]
.LBB10_236:
	s_or_b64 exec, exec, s[28:29]
.LBB10_237:
	s_or_b64 exec, exec, s[34:35]
	v_mov_b32_e32 v20, 0
	ds_read_b64 v[20:21], v20 offset:72
	s_waitcnt lgkmcnt(0)
	v_mul_f64 v[20:21], v[24:25], v[20:21]
.LBB10_238:
	s_or_b64 exec, exec, s[30:31]
	v_cmp_ne_u32_e32 vcc, 10, v0
	s_waitcnt vmcnt(0)
	ds_write_b64 v80, v[22:23]
	s_waitcnt lgkmcnt(0)
	; wave barrier
	s_and_saveexec_b64 s[20:21], vcc
	s_cbranch_execz .LBB10_248
; %bb.239:
	s_and_b64 vcc, exec, s[2:3]
	s_cbranch_vccnz .LBB10_241
; %bb.240:
	v_cmp_eq_u32_e32 vcc, 1, v0
	v_cndmask_b32_e32 v24, v3, v5, vcc
	v_cmp_eq_u32_e64 s[0:1], 2, v0
	v_cndmask_b32_e64 v24, v24, v7, s[0:1]
	v_cmp_eq_u32_e64 s[2:3], 3, v0
	v_cndmask_b32_e64 v24, v24, v9, s[2:3]
	v_cmp_eq_u32_e64 s[4:5], 4, v0
	v_cndmask_b32_e64 v24, v24, v11, s[4:5]
	v_cmp_eq_u32_e64 s[6:7], 5, v0
	v_cndmask_b32_e64 v24, v24, v13, s[6:7]
	v_cmp_eq_u32_e64 s[8:9], 6, v0
	v_cndmask_b32_e64 v24, v24, v15, s[8:9]
	v_cmp_eq_u32_e64 s[12:13], 7, v0
	v_cndmask_b32_e64 v24, v24, v17, s[12:13]
	v_cmp_eq_u32_e64 s[14:15], 8, v0
	v_cndmask_b32_e64 v24, v24, v19, s[14:15]
	v_cmp_eq_u32_e64 s[16:17], 9, v0
	v_cndmask_b32_e64 v24, v24, v21, s[16:17]
	v_cmp_eq_u32_e64 s[18:19], 10, v0
	v_cndmask_b32_e64 v25, v24, v23, s[18:19]
	v_cndmask_b32_e32 v24, v2, v4, vcc
	v_cndmask_b32_e64 v24, v24, v6, s[0:1]
	v_cndmask_b32_e64 v24, v24, v8, s[2:3]
	;; [unrolled: 1-line block ×5, first 2 shown]
	ds_read_b64 v[26:27], v80
	v_cndmask_b32_e64 v24, v24, v16, s[12:13]
	v_cndmask_b32_e64 v24, v24, v18, s[14:15]
	;; [unrolled: 1-line block ×4, first 2 shown]
	s_waitcnt lgkmcnt(0)
	v_mul_f64 v[24:25], v[24:25], v[26:27]
	s_cbranch_execz .LBB10_242
	s_branch .LBB10_243
.LBB10_241:
                                        ; implicit-def: $vgpr24_vgpr25
.LBB10_242:
	ds_read_b64 v[24:25], v80
.LBB10_243:
	s_and_saveexec_b64 s[2:3], s[10:11]
	s_cbranch_execz .LBB10_247
; %bb.244:
	v_mov_b32_e32 v26, 0x68
	v_lshl_add_u32 v26, v0, 3, v26
	s_mov_b64 s[4:5], 0
.LBB10_245:                             ; =>This Inner Loop Header: Depth=1
	v_add_co_u32_e32 v0, vcc, 1, v0
	v_addc_co_u32_e32 v1, vcc, 0, v1, vcc
	v_cmp_eq_u32_e32 vcc, 1, v0
	v_cndmask_b32_e32 v29, v3, v5, vcc
	v_cmp_eq_u32_e64 s[0:1], 2, v0
	v_cndmask_b32_e64 v29, v29, v7, s[0:1]
	v_cndmask_b32_e32 v30, v2, v4, vcc
	v_cmp_eq_u32_e32 vcc, 3, v0
	v_cndmask_b32_e32 v29, v29, v9, vcc
	v_cndmask_b32_e64 v30, v30, v6, s[0:1]
	v_cmp_eq_u32_e64 s[0:1], 4, v0
	v_cndmask_b32_e64 v29, v29, v11, s[0:1]
	v_cndmask_b32_e32 v30, v30, v8, vcc
	v_cmp_eq_u32_e32 vcc, 5, v0
	v_cndmask_b32_e32 v29, v29, v13, vcc
	v_cndmask_b32_e64 v30, v30, v10, s[0:1]
	v_cmp_eq_u32_e64 s[0:1], 6, v0
	v_cndmask_b32_e64 v29, v29, v15, s[0:1]
	v_cndmask_b32_e32 v30, v30, v12, vcc
	v_cmp_eq_u32_e32 vcc, 7, v0
	ds_read_b64 v[27:28], v26
	v_cndmask_b32_e32 v29, v29, v17, vcc
	v_cndmask_b32_e64 v30, v30, v14, s[0:1]
	v_cmp_eq_u32_e64 s[0:1], 8, v0
	v_cndmask_b32_e64 v29, v29, v19, s[0:1]
	v_cndmask_b32_e32 v30, v30, v16, vcc
	v_cmp_eq_u32_e32 vcc, 9, v0
	v_cndmask_b32_e32 v29, v29, v21, vcc
	v_cndmask_b32_e64 v31, v30, v18, s[0:1]
	v_cmp_eq_u32_e64 s[0:1], 10, v0
	v_cndmask_b32_e64 v30, v29, v23, s[0:1]
	v_cndmask_b32_e32 v29, v31, v20, vcc
	v_cndmask_b32_e64 v29, v29, v22, s[0:1]
	s_waitcnt lgkmcnt(0)
	v_fma_f64 v[24:25], v[29:30], v[27:28], v[24:25]
	v_cmp_lt_u32_e32 vcc, 8, v0
	s_or_b64 s[4:5], vcc, s[4:5]
	v_add_u32_e32 v26, 8, v26
	s_andn2_b64 exec, exec, s[4:5]
	s_cbranch_execnz .LBB10_245
; %bb.246:
	s_or_b64 exec, exec, s[4:5]
.LBB10_247:
	s_or_b64 exec, exec, s[2:3]
	v_mov_b32_e32 v0, 0
	ds_read_b64 v[0:1], v0 offset:80
	s_waitcnt lgkmcnt(0)
	v_mul_f64 v[22:23], v[24:25], v[0:1]
.LBB10_248:
	s_or_b64 exec, exec, s[20:21]
	v_mov_b32_e32 v55, v33
	v_mov_b32_e32 v54, v32
	;; [unrolled: 1-line block ×32, first 2 shown]
.LBB10_249:
	global_store_dwordx2 v[74:75], v[24:25], off
	global_store_dwordx2 v[76:77], v[26:27], off
	;; [unrolled: 1-line block ×11, first 2 shown]
.LBB10_250:
	s_endpgm
	.section	.rodata,"a",@progbits
	.p2align	6, 0x0
	.amdhsa_kernel _ZN9rocsolver6v33100L18trti2_kernel_smallILi11EdPdEEv13rocblas_fill_17rocblas_diagonal_T1_iil
		.amdhsa_group_segment_fixed_size 184
		.amdhsa_private_segment_fixed_size 0
		.amdhsa_kernarg_size 32
		.amdhsa_user_sgpr_count 6
		.amdhsa_user_sgpr_private_segment_buffer 1
		.amdhsa_user_sgpr_dispatch_ptr 0
		.amdhsa_user_sgpr_queue_ptr 0
		.amdhsa_user_sgpr_kernarg_segment_ptr 1
		.amdhsa_user_sgpr_dispatch_id 0
		.amdhsa_user_sgpr_flat_scratch_init 0
		.amdhsa_user_sgpr_private_segment_size 0
		.amdhsa_uses_dynamic_stack 0
		.amdhsa_system_sgpr_private_segment_wavefront_offset 0
		.amdhsa_system_sgpr_workgroup_id_x 1
		.amdhsa_system_sgpr_workgroup_id_y 0
		.amdhsa_system_sgpr_workgroup_id_z 0
		.amdhsa_system_sgpr_workgroup_info 0
		.amdhsa_system_vgpr_workitem_id 0
		.amdhsa_next_free_vgpr 100
		.amdhsa_next_free_sgpr 42
		.amdhsa_reserve_vcc 1
		.amdhsa_reserve_flat_scratch 0
		.amdhsa_float_round_mode_32 0
		.amdhsa_float_round_mode_16_64 0
		.amdhsa_float_denorm_mode_32 3
		.amdhsa_float_denorm_mode_16_64 3
		.amdhsa_dx10_clamp 1
		.amdhsa_ieee_mode 1
		.amdhsa_fp16_overflow 0
		.amdhsa_exception_fp_ieee_invalid_op 0
		.amdhsa_exception_fp_denorm_src 0
		.amdhsa_exception_fp_ieee_div_zero 0
		.amdhsa_exception_fp_ieee_overflow 0
		.amdhsa_exception_fp_ieee_underflow 0
		.amdhsa_exception_fp_ieee_inexact 0
		.amdhsa_exception_int_div_zero 0
	.end_amdhsa_kernel
	.section	.text._ZN9rocsolver6v33100L18trti2_kernel_smallILi11EdPdEEv13rocblas_fill_17rocblas_diagonal_T1_iil,"axG",@progbits,_ZN9rocsolver6v33100L18trti2_kernel_smallILi11EdPdEEv13rocblas_fill_17rocblas_diagonal_T1_iil,comdat
.Lfunc_end10:
	.size	_ZN9rocsolver6v33100L18trti2_kernel_smallILi11EdPdEEv13rocblas_fill_17rocblas_diagonal_T1_iil, .Lfunc_end10-_ZN9rocsolver6v33100L18trti2_kernel_smallILi11EdPdEEv13rocblas_fill_17rocblas_diagonal_T1_iil
                                        ; -- End function
	.set _ZN9rocsolver6v33100L18trti2_kernel_smallILi11EdPdEEv13rocblas_fill_17rocblas_diagonal_T1_iil.num_vgpr, 100
	.set _ZN9rocsolver6v33100L18trti2_kernel_smallILi11EdPdEEv13rocblas_fill_17rocblas_diagonal_T1_iil.num_agpr, 0
	.set _ZN9rocsolver6v33100L18trti2_kernel_smallILi11EdPdEEv13rocblas_fill_17rocblas_diagonal_T1_iil.numbered_sgpr, 42
	.set _ZN9rocsolver6v33100L18trti2_kernel_smallILi11EdPdEEv13rocblas_fill_17rocblas_diagonal_T1_iil.num_named_barrier, 0
	.set _ZN9rocsolver6v33100L18trti2_kernel_smallILi11EdPdEEv13rocblas_fill_17rocblas_diagonal_T1_iil.private_seg_size, 0
	.set _ZN9rocsolver6v33100L18trti2_kernel_smallILi11EdPdEEv13rocblas_fill_17rocblas_diagonal_T1_iil.uses_vcc, 1
	.set _ZN9rocsolver6v33100L18trti2_kernel_smallILi11EdPdEEv13rocblas_fill_17rocblas_diagonal_T1_iil.uses_flat_scratch, 0
	.set _ZN9rocsolver6v33100L18trti2_kernel_smallILi11EdPdEEv13rocblas_fill_17rocblas_diagonal_T1_iil.has_dyn_sized_stack, 0
	.set _ZN9rocsolver6v33100L18trti2_kernel_smallILi11EdPdEEv13rocblas_fill_17rocblas_diagonal_T1_iil.has_recursion, 0
	.set _ZN9rocsolver6v33100L18trti2_kernel_smallILi11EdPdEEv13rocblas_fill_17rocblas_diagonal_T1_iil.has_indirect_call, 0
	.section	.AMDGPU.csdata,"",@progbits
; Kernel info:
; codeLenInByte = 18064
; TotalNumSgprs: 46
; NumVgprs: 100
; ScratchSize: 0
; MemoryBound: 0
; FloatMode: 240
; IeeeMode: 1
; LDSByteSize: 184 bytes/workgroup (compile time only)
; SGPRBlocks: 5
; VGPRBlocks: 24
; NumSGPRsForWavesPerEU: 46
; NumVGPRsForWavesPerEU: 100
; Occupancy: 2
; WaveLimiterHint : 0
; COMPUTE_PGM_RSRC2:SCRATCH_EN: 0
; COMPUTE_PGM_RSRC2:USER_SGPR: 6
; COMPUTE_PGM_RSRC2:TRAP_HANDLER: 0
; COMPUTE_PGM_RSRC2:TGID_X_EN: 1
; COMPUTE_PGM_RSRC2:TGID_Y_EN: 0
; COMPUTE_PGM_RSRC2:TGID_Z_EN: 0
; COMPUTE_PGM_RSRC2:TIDIG_COMP_CNT: 0
	.section	.text._ZN9rocsolver6v33100L18trti2_kernel_smallILi12EdPdEEv13rocblas_fill_17rocblas_diagonal_T1_iil,"axG",@progbits,_ZN9rocsolver6v33100L18trti2_kernel_smallILi12EdPdEEv13rocblas_fill_17rocblas_diagonal_T1_iil,comdat
	.globl	_ZN9rocsolver6v33100L18trti2_kernel_smallILi12EdPdEEv13rocblas_fill_17rocblas_diagonal_T1_iil ; -- Begin function _ZN9rocsolver6v33100L18trti2_kernel_smallILi12EdPdEEv13rocblas_fill_17rocblas_diagonal_T1_iil
	.p2align	8
	.type	_ZN9rocsolver6v33100L18trti2_kernel_smallILi12EdPdEEv13rocblas_fill_17rocblas_diagonal_T1_iil,@function
_ZN9rocsolver6v33100L18trti2_kernel_smallILi12EdPdEEv13rocblas_fill_17rocblas_diagonal_T1_iil: ; @_ZN9rocsolver6v33100L18trti2_kernel_smallILi12EdPdEEv13rocblas_fill_17rocblas_diagonal_T1_iil
; %bb.0:
	v_cmp_gt_u32_e32 vcc, 12, v0
	s_and_saveexec_b64 s[0:1], vcc
	s_cbranch_execz .LBB11_276
; %bb.1:
	s_load_dwordx8 s[24:31], s[4:5], 0x0
	s_ashr_i32 s2, s6, 31
	v_lshlrev_b32_e32 v28, 3, v0
	v_mov_b32_e32 v26, 0
	v_mov_b32_e32 v27, 0xbff00000
	s_waitcnt lgkmcnt(0)
	s_mul_hi_u32 s3, s30, s6
	s_mul_i32 s2, s30, s2
	s_add_i32 s2, s3, s2
	s_mul_i32 s3, s31, s6
	s_add_i32 s3, s2, s3
	s_mul_i32 s2, s30, s6
	s_ashr_i32 s1, s28, 31
	s_lshl_b64 s[2:3], s[2:3], 3
	s_mov_b32 s0, s28
	s_add_u32 s2, s26, s2
	s_addc_u32 s3, s27, s3
	s_lshl_b64 s[0:1], s[0:1], 3
	s_add_u32 s0, s2, s0
	s_addc_u32 s1, s3, s1
	s_add_i32 s2, s29, s29
	v_add_u32_e32 v1, s2, v0
	v_ashrrev_i32_e32 v2, 31, v1
	v_lshlrev_b64 v[2:3], 3, v[1:2]
	v_add_u32_e32 v1, s29, v1
	v_mov_b32_e32 v4, s1
	v_add_co_u32_e32 v58, vcc, s0, v2
	v_ashrrev_i32_e32 v2, 31, v1
	v_addc_co_u32_e32 v59, vcc, v4, v3, vcc
	v_lshlrev_b64 v[2:3], 3, v[1:2]
	v_add_u32_e32 v1, s29, v1
	v_add_co_u32_e32 v60, vcc, s0, v2
	v_ashrrev_i32_e32 v2, 31, v1
	v_addc_co_u32_e32 v61, vcc, v4, v3, vcc
	v_lshlrev_b64 v[2:3], 3, v[1:2]
	v_add_u32_e32 v1, s29, v1
	;; [unrolled: 5-line block ×8, first 2 shown]
	v_add_co_u32_e32 v74, vcc, s0, v2
	v_ashrrev_i32_e32 v2, 31, v1
	v_lshlrev_b64 v[1:2], 3, v[1:2]
	v_addc_co_u32_e32 v75, vcc, v4, v3, vcc
	v_mov_b32_e32 v3, s1
	v_add_co_u32_e32 v76, vcc, s0, v1
	v_addc_co_u32_e32 v77, vcc, v3, v2, vcc
	v_mov_b32_e32 v1, s1
	v_add_co_u32_e32 v78, vcc, s0, v28
	s_ashr_i32 s3, s29, 31
	s_mov_b32 s2, s29
	v_addc_co_u32_e32 v79, vcc, 0, v1, vcc
	s_lshl_b64 s[2:3], s[2:3], 3
	v_mov_b32_e32 v1, s3
	v_add_co_u32_e32 v80, vcc, s2, v78
	v_addc_co_u32_e32 v81, vcc, v79, v1, vcc
	global_load_dwordx2 v[4:5], v[80:81], off
	global_load_dwordx2 v[6:7], v[58:59], off
	;; [unrolled: 1-line block ×8, first 2 shown]
	global_load_dwordx2 v[2:3], v28, s[0:1]
	global_load_dwordx2 v[20:21], v[72:73], off
	global_load_dwordx2 v[22:23], v[74:75], off
	;; [unrolled: 1-line block ×3, first 2 shown]
	s_cmpk_lg_i32 s25, 0x84
	s_cselect_b64 s[26:27], -1, 0
	s_cmpk_eq_i32 s25, 0x84
	v_mov_b32_e32 v1, 0
	s_cbranch_scc1 .LBB11_3
; %bb.2:
	v_cmp_eq_u32_e64 s[0:1], 1, v0
	s_waitcnt vmcnt(3)
	v_cndmask_b32_e64 v26, v3, v5, s[0:1]
	v_cmp_eq_u32_e64 s[2:3], 2, v0
	v_cndmask_b32_e64 v26, v26, v7, s[2:3]
	v_cmp_eq_u32_e64 s[4:5], 3, v0
	;; [unrolled: 2-line block ×8, first 2 shown]
	s_waitcnt vmcnt(2)
	v_cndmask_b32_e64 v26, v26, v21, s[16:17]
	v_cmp_eq_u32_e64 s[18:19], 10, v0
	s_waitcnt vmcnt(1)
	v_cndmask_b32_e64 v26, v26, v23, s[18:19]
	v_cmp_eq_u32_e64 s[20:21], 11, v0
	s_waitcnt vmcnt(0)
	v_cndmask_b32_e64 v27, v26, v25, s[20:21]
	v_cndmask_b32_e64 v26, v2, v4, s[0:1]
	;; [unrolled: 1-line block ×12, first 2 shown]
	v_div_scale_f64 v[29:30], s[22:23], v[26:27], v[26:27], 1.0
	v_rcp_f64_e32 v[31:32], v[29:30]
	v_fma_f64 v[33:34], -v[29:30], v[31:32], 1.0
	v_fma_f64 v[31:32], v[31:32], v[33:34], v[31:32]
	v_div_scale_f64 v[33:34], vcc, 1.0, v[26:27], 1.0
	v_fma_f64 v[35:36], -v[29:30], v[31:32], 1.0
	v_fma_f64 v[31:32], v[31:32], v[35:36], v[31:32]
	v_mul_f64 v[35:36], v[33:34], v[31:32]
	v_fma_f64 v[29:30], -v[29:30], v[35:36], v[33:34]
	v_div_fmas_f64 v[29:30], v[29:30], v[31:32], v[35:36]
	v_cmp_eq_u32_e32 vcc, 0, v0
	v_div_fixup_f64 v[26:27], v[29:30], v[26:27], 1.0
	v_cndmask_b32_e64 v25, v25, v27, s[20:21]
	v_cndmask_b32_e64 v24, v24, v26, s[20:21]
	;; [unrolled: 1-line block ×22, first 2 shown]
	v_cndmask_b32_e32 v3, v3, v27, vcc
	v_cndmask_b32_e32 v2, v2, v26, vcc
	v_xor_b32_e32 v27, 0x80000000, v27
.LBB11_3:
	s_cmpk_eq_i32 s24, 0x79
	v_add_u32_e32 v84, 0x60, v28
	ds_write_b64 v28, v[26:27]
	s_cbranch_scc1 .LBB11_7
; %bb.4:
	s_waitcnt vmcnt(0)
	v_mov_b32_e32 v57, v33
	v_mov_b32_e32 v56, v32
	;; [unrolled: 1-line block ×32, first 2 shown]
	v_cmp_eq_u32_e64 s[0:1], 11, v0
	ds_write_b64 v84, v[22:23]
	s_waitcnt lgkmcnt(0)
	; wave barrier
	s_and_saveexec_b64 s[22:23], s[0:1]
	s_cbranch_execz .LBB11_11
; %bb.5:
	s_and_b64 vcc, exec, s[26:27]
	s_cbranch_vccz .LBB11_8
; %bb.6:
	v_cmp_eq_u32_e32 vcc, 1, v0
	v_cndmask_b32_e32 v26, v3, v5, vcc
	v_cmp_eq_u32_e64 s[2:3], 2, v0
	v_cndmask_b32_e64 v26, v26, v7, s[2:3]
	v_cmp_eq_u32_e64 s[4:5], 3, v0
	v_cndmask_b32_e64 v26, v26, v9, s[4:5]
	;; [unrolled: 2-line block ×10, first 2 shown]
	v_cndmask_b32_e32 v26, v2, v4, vcc
	v_cndmask_b32_e64 v26, v26, v6, s[2:3]
	v_cndmask_b32_e64 v26, v26, v8, s[4:5]
	;; [unrolled: 1-line block ×6, first 2 shown]
	ds_read_b64 v[28:29], v84
	v_cndmask_b32_e64 v26, v26, v18, s[14:15]
	v_cndmask_b32_e64 v26, v26, v20, s[16:17]
	v_cndmask_b32_e64 v26, v26, v22, s[18:19]
	v_cndmask_b32_e64 v26, v26, v24, s[20:21]
	s_waitcnt lgkmcnt(0)
	v_mul_f64 v[30:31], v[26:27], v[28:29]
	s_cbranch_execz .LBB11_9
	s_branch .LBB11_10
.LBB11_7:
                                        ; implicit-def: $vgpr26_vgpr27_vgpr28_vgpr29_vgpr30_vgpr31_vgpr32_vgpr33_vgpr34_vgpr35_vgpr36_vgpr37_vgpr38_vgpr39_vgpr40_vgpr41_vgpr42_vgpr43_vgpr44_vgpr45_vgpr46_vgpr47_vgpr48_vgpr49_vgpr50_vgpr51_vgpr52_vgpr53_vgpr54_vgpr55_vgpr56_vgpr57
	s_cbranch_execnz .LBB11_162
	s_branch .LBB11_275
.LBB11_8:
                                        ; implicit-def: $vgpr30_vgpr31
.LBB11_9:
	ds_read_b64 v[30:31], v84
.LBB11_10:
	v_mov_b32_e32 v26, 0
	ds_read_b64 v[32:33], v26 offset:80
	v_mov_b32_e32 v26, v2
	v_mov_b32_e32 v27, v3
	;; [unrolled: 1-line block ×4, first 2 shown]
	s_waitcnt lgkmcnt(0)
	v_mul_f64 v[46:47], v[30:31], v[32:33]
	v_mov_b32_e32 v30, v6
	v_mov_b32_e32 v31, v7
	;; [unrolled: 1-line block ×18, first 2 shown]
.LBB11_11:
	s_or_b64 exec, exec, s[22:23]
	v_cmp_lt_u32_e64 s[2:3], 9, v0
	ds_write_b64 v84, v[44:45]
	s_waitcnt lgkmcnt(0)
	; wave barrier
	s_and_saveexec_b64 s[24:25], s[2:3]
	s_cbranch_execz .LBB11_17
; %bb.12:
	s_andn2_b64 vcc, exec, s[26:27]
	s_cbranch_vccnz .LBB11_14
; %bb.13:
	v_cmp_eq_u32_e32 vcc, 1, v0
	v_cndmask_b32_e32 v50, v27, v29, vcc
	v_cmp_eq_u32_e64 s[4:5], 2, v0
	v_cndmask_b32_e64 v50, v50, v31, s[4:5]
	v_cmp_eq_u32_e64 s[6:7], 3, v0
	v_cndmask_b32_e64 v50, v50, v33, s[6:7]
	;; [unrolled: 2-line block ×8, first 2 shown]
	v_cndmask_b32_e32 v50, v26, v28, vcc
	v_cndmask_b32_e64 v50, v50, v30, s[4:5]
	v_cndmask_b32_e64 v50, v50, v32, s[6:7]
	v_cndmask_b32_e64 v50, v50, v34, s[8:9]
	v_cndmask_b32_e64 v50, v50, v36, s[10:11]
	v_cndmask_b32_e64 v50, v50, v38, s[12:13]
	v_cndmask_b32_e64 v52, v50, v40, s[14:15]
	ds_read_b64 v[50:51], v84
	v_cndmask_b32_e64 v52, v52, v42, s[16:17]
	v_cmp_eq_u32_e64 s[20:21], 10, v0
	v_cndmask_b32_e64 v44, v52, v44, s[18:19]
	v_cndmask_b32_e64 v45, v45, v47, s[20:21]
	v_cmp_eq_u32_e64 s[22:23], 11, v0
	v_cndmask_b32_e64 v44, v44, v46, s[20:21]
	v_cndmask_b32_e64 v45, v45, v49, s[22:23]
	;; [unrolled: 1-line block ×3, first 2 shown]
	s_waitcnt lgkmcnt(0)
	v_mul_f64 v[44:45], v[44:45], v[50:51]
	s_cbranch_execz .LBB11_15
	s_branch .LBB11_16
.LBB11_14:
                                        ; implicit-def: $vgpr44_vgpr45
.LBB11_15:
	ds_read_b64 v[44:45], v84
.LBB11_16:
	v_mov_b32_e32 v50, 0
	ds_read2_b64 v[50:53], v50 offset0:9 offset1:22
	s_waitcnt lgkmcnt(0)
	v_fma_f64 v[52:53], v[46:47], v[52:53], v[44:45]
	v_cndmask_b32_e64 v45, v45, v53, s[0:1]
	v_cndmask_b32_e64 v44, v44, v52, s[0:1]
	v_mul_f64 v[44:45], v[44:45], v[50:51]
.LBB11_17:
	s_or_b64 exec, exec, s[24:25]
	v_cmp_lt_u32_e64 s[0:1], 8, v0
	ds_write_b64 v84, v[42:43]
	s_waitcnt lgkmcnt(0)
	; wave barrier
	s_and_saveexec_b64 s[24:25], s[0:1]
	s_cbranch_execz .LBB11_33
; %bb.18:
	s_andn2_b64 vcc, exec, s[26:27]
	s_cbranch_vccnz .LBB11_20
; %bb.19:
	v_cmp_eq_u32_e32 vcc, 1, v0
	v_cndmask_b32_e32 v82, v27, v29, vcc
	v_cmp_eq_u32_e64 s[4:5], 2, v0
	v_cndmask_b32_e64 v82, v82, v31, s[4:5]
	v_cmp_eq_u32_e64 s[6:7], 3, v0
	v_cndmask_b32_e64 v82, v82, v33, s[6:7]
	;; [unrolled: 2-line block ×10, first 2 shown]
	v_cndmask_b32_e32 v82, v26, v28, vcc
	v_cndmask_b32_e64 v82, v82, v30, s[4:5]
	v_cndmask_b32_e64 v82, v82, v32, s[6:7]
	;; [unrolled: 1-line block ×6, first 2 shown]
	ds_read_b64 v[85:86], v84
	v_cndmask_b32_e64 v82, v82, v42, s[16:17]
	v_cndmask_b32_e64 v82, v82, v44, s[18:19]
	v_cndmask_b32_e64 v82, v82, v46, s[20:21]
	v_cndmask_b32_e64 v82, v82, v48, s[22:23]
	s_waitcnt lgkmcnt(0)
	v_mul_f64 v[82:83], v[82:83], v[85:86]
	s_cbranch_execz .LBB11_21
	s_branch .LBB11_22
.LBB11_20:
                                        ; implicit-def: $vgpr82_vgpr83
.LBB11_21:
	ds_read_b64 v[82:83], v84
.LBB11_22:
	s_and_saveexec_b64 s[4:5], s[2:3]
	s_cbranch_execz .LBB11_32
; %bb.23:
	v_add_u32_e32 v86, -10, v0
	v_add_u32_e32 v85, -9, v0
	v_cmp_lt_u32_e32 vcc, 6, v86
	v_mov_b32_e32 v86, 9
	s_and_saveexec_b64 s[2:3], vcc
	s_cbranch_execz .LBB11_27
; %bb.24:
	v_and_b32_e32 v86, -8, v85
	v_sub_u32_e32 v87, 0, v86
	s_mov_b64 s[6:7], 16
	s_movk_i32 s10, 0xa8
	s_mov_b64 s[8:9], 0
.LBB11_25:                              ; =>This Inner Loop Header: Depth=1
	s_lshl_b32 s11, s6, 1
	s_add_i32 s12, s11, -13
	v_mov_b32_e32 v86, s10
	s_add_i32 s13, s11, -14
	s_set_gpr_idx_on s12, gpr_idx(SRC0)
	v_mov_b32_e32 v93, v26
	s_set_gpr_idx_off
	s_set_gpr_idx_on s13, gpr_idx(SRC0)
	v_mov_b32_e32 v92, v26
	s_set_gpr_idx_off
	ds_read2_b64 v[88:91], v86 offset1:1
	s_add_i32 s12, s11, -11
	s_add_i32 s13, s11, -12
	;; [unrolled: 1-line block ×4, first 2 shown]
	s_waitcnt lgkmcnt(0)
	v_fma_f64 v[82:83], v[92:93], v[88:89], v[82:83]
	s_set_gpr_idx_on s12, gpr_idx(SRC0)
	v_mov_b32_e32 v89, v26
	s_set_gpr_idx_off
	s_set_gpr_idx_on s13, gpr_idx(SRC0)
	v_mov_b32_e32 v88, v26
	s_set_gpr_idx_off
	s_add_i32 s12, s11, -7
	s_add_i32 s13, s11, -8
	v_fma_f64 v[82:83], v[88:89], v[90:91], v[82:83]
	s_set_gpr_idx_on s14, gpr_idx(SRC0)
	v_mov_b32_e32 v93, v26
	s_set_gpr_idx_off
	s_set_gpr_idx_on s15, gpr_idx(SRC0)
	v_mov_b32_e32 v92, v26
	s_set_gpr_idx_off
	ds_read2_b64 v[88:91], v86 offset0:2 offset1:3
	s_add_i32 s14, s11, -5
	s_add_i32 s15, s11, -6
	s_waitcnt lgkmcnt(0)
	v_fma_f64 v[82:83], v[92:93], v[88:89], v[82:83]
	s_set_gpr_idx_on s12, gpr_idx(SRC0)
	v_mov_b32_e32 v89, v26
	s_set_gpr_idx_off
	s_set_gpr_idx_on s13, gpr_idx(SRC0)
	v_mov_b32_e32 v88, v26
	s_set_gpr_idx_off
	s_add_i32 s12, s11, -3
	s_add_i32 s13, s11, -4
	v_fma_f64 v[82:83], v[88:89], v[90:91], v[82:83]
	s_set_gpr_idx_on s14, gpr_idx(SRC0)
	v_mov_b32_e32 v93, v26
	s_set_gpr_idx_off
	s_set_gpr_idx_on s15, gpr_idx(SRC0)
	v_mov_b32_e32 v92, v26
	s_set_gpr_idx_off
	ds_read2_b64 v[88:91], v86 offset0:4 offset1:5
	s_add_i32 s14, s11, -1
	s_add_i32 s15, s11, -2
	s_add_u32 s6, s6, 8
	s_addc_u32 s7, s7, 0
	s_waitcnt lgkmcnt(0)
	v_fma_f64 v[82:83], v[92:93], v[88:89], v[82:83]
	s_set_gpr_idx_on s12, gpr_idx(SRC0)
	v_mov_b32_e32 v89, v26
	s_set_gpr_idx_off
	s_set_gpr_idx_on s13, gpr_idx(SRC0)
	v_mov_b32_e32 v88, v26
	s_set_gpr_idx_off
	s_add_i32 s10, s10, 64
	v_fma_f64 v[82:83], v[88:89], v[90:91], v[82:83]
	s_set_gpr_idx_on s14, gpr_idx(SRC0)
	v_mov_b32_e32 v93, v26
	s_set_gpr_idx_off
	s_set_gpr_idx_on s15, gpr_idx(SRC0)
	v_mov_b32_e32 v92, v26
	s_set_gpr_idx_off
	ds_read2_b64 v[88:91], v86 offset0:6 offset1:7
	v_add_u32_e32 v86, s6, v87
	v_cmp_eq_u32_e32 vcc, 16, v86
	s_waitcnt lgkmcnt(0)
	v_fma_f64 v[82:83], v[92:93], v[88:89], v[82:83]
	s_set_gpr_idx_on s11, gpr_idx(SRC0)
	v_mov_b32_e32 v89, v27
	v_mov_b32_e32 v88, v26
	s_set_gpr_idx_off
	s_add_i32 s11, s6, -7
	s_or_b64 s[8:9], vcc, s[8:9]
	v_mov_b32_e32 v86, s11
	v_fma_f64 v[82:83], v[88:89], v[90:91], v[82:83]
	s_andn2_b64 exec, exec, s[8:9]
	s_cbranch_execnz .LBB11_25
; %bb.26:
	s_or_b64 exec, exec, s[8:9]
.LBB11_27:
	s_or_b64 exec, exec, s[2:3]
	v_and_b32_e32 v50, 7, v85
	v_cmp_ne_u32_e32 vcc, 0, v50
	s_and_saveexec_b64 s[6:7], vcc
	s_cbranch_execz .LBB11_31
; %bb.28:
	v_mov_b32_e32 v51, 0x60
	v_lshl_add_u32 v51, v86, 3, v51
	v_mov_b32_e32 v52, 0
	s_mov_b64 s[8:9], 0
.LBB11_29:                              ; =>This Inner Loop Header: Depth=1
	v_cmp_eq_u32_e32 vcc, 1, v86
	v_cndmask_b32_e32 v55, v27, v29, vcc
	v_cmp_eq_u32_e64 s[2:3], 2, v86
	v_cndmask_b32_e64 v55, v55, v31, s[2:3]
	v_cndmask_b32_e32 v56, v26, v28, vcc
	v_cmp_eq_u32_e32 vcc, 3, v86
	v_cndmask_b32_e32 v55, v55, v33, vcc
	v_cndmask_b32_e64 v56, v56, v30, s[2:3]
	v_cmp_eq_u32_e64 s[2:3], 4, v86
	v_cndmask_b32_e64 v55, v55, v35, s[2:3]
	v_cndmask_b32_e32 v56, v56, v32, vcc
	v_cmp_eq_u32_e32 vcc, 5, v86
	v_cndmask_b32_e32 v55, v55, v37, vcc
	v_cndmask_b32_e64 v56, v56, v34, s[2:3]
	;; [unrolled: 6-line block ×3, first 2 shown]
	v_cmp_eq_u32_e64 s[2:3], 8, v86
	ds_read_b64 v[53:54], v51
	v_cndmask_b32_e64 v55, v55, v43, s[2:3]
	v_cndmask_b32_e32 v56, v56, v40, vcc
	v_cmp_eq_u32_e32 vcc, 9, v86
	v_cndmask_b32_e32 v55, v55, v45, vcc
	v_cndmask_b32_e64 v56, v56, v42, s[2:3]
	v_cmp_eq_u32_e64 s[2:3], 10, v86
	v_cndmask_b32_e64 v55, v55, v47, s[2:3]
	v_cndmask_b32_e32 v57, v56, v44, vcc
	v_cmp_eq_u32_e32 vcc, 11, v86
	v_cndmask_b32_e32 v56, v55, v49, vcc
	v_cndmask_b32_e64 v55, v57, v46, s[2:3]
	v_cndmask_b32_e32 v55, v55, v48, vcc
	s_waitcnt lgkmcnt(0)
	v_fma_f64 v[82:83], v[55:56], v[53:54], v[82:83]
	v_add_u32_e32 v50, -1, v50
	v_cmp_eq_u32_e32 vcc, 0, v50
	s_or_b64 s[8:9], vcc, s[8:9]
	v_add_co_u32_e32 v86, vcc, 1, v86
	v_add_u32_e32 v51, 8, v51
	v_addc_co_u32_e32 v52, vcc, 0, v52, vcc
	s_andn2_b64 exec, exec, s[8:9]
	s_cbranch_execnz .LBB11_29
; %bb.30:
	s_or_b64 exec, exec, s[8:9]
.LBB11_31:
	s_or_b64 exec, exec, s[6:7]
.LBB11_32:
	s_or_b64 exec, exec, s[4:5]
	v_mov_b32_e32 v42, 0
	ds_read_b64 v[42:43], v42 offset:64
	s_waitcnt lgkmcnt(0)
	v_mul_f64 v[42:43], v[82:83], v[42:43]
.LBB11_33:
	s_or_b64 exec, exec, s[24:25]
	v_cmp_lt_u32_e64 s[2:3], 7, v0
	ds_write_b64 v84, v[40:41]
	s_waitcnt lgkmcnt(0)
	; wave barrier
	s_and_saveexec_b64 s[24:25], s[2:3]
	s_cbranch_execz .LBB11_49
; %bb.34:
	s_andn2_b64 vcc, exec, s[26:27]
	s_cbranch_vccnz .LBB11_36
; %bb.35:
	v_cmp_eq_u32_e32 vcc, 1, v0
	v_cndmask_b32_e32 v82, v27, v29, vcc
	v_cmp_eq_u32_e64 s[4:5], 2, v0
	v_cndmask_b32_e64 v82, v82, v31, s[4:5]
	v_cmp_eq_u32_e64 s[6:7], 3, v0
	v_cndmask_b32_e64 v82, v82, v33, s[6:7]
	;; [unrolled: 2-line block ×10, first 2 shown]
	v_cndmask_b32_e32 v82, v26, v28, vcc
	v_cndmask_b32_e64 v82, v82, v30, s[4:5]
	v_cndmask_b32_e64 v82, v82, v32, s[6:7]
	;; [unrolled: 1-line block ×6, first 2 shown]
	ds_read_b64 v[85:86], v84
	v_cndmask_b32_e64 v82, v82, v42, s[16:17]
	v_cndmask_b32_e64 v82, v82, v44, s[18:19]
	;; [unrolled: 1-line block ×4, first 2 shown]
	s_waitcnt lgkmcnt(0)
	v_mul_f64 v[82:83], v[82:83], v[85:86]
	s_cbranch_execz .LBB11_37
	s_branch .LBB11_38
.LBB11_36:
                                        ; implicit-def: $vgpr82_vgpr83
.LBB11_37:
	ds_read_b64 v[82:83], v84
.LBB11_38:
	s_and_saveexec_b64 s[4:5], s[0:1]
	s_cbranch_execz .LBB11_48
; %bb.39:
	v_add_u32_e32 v85, -9, v0
	v_cmp_lt_u32_e32 vcc, 6, v85
	v_mov_b32_e32 v85, 8
	s_and_saveexec_b64 s[0:1], vcc
	s_cbranch_execz .LBB11_43
; %bb.40:
	v_and_b32_e32 v85, 8, v0
	v_sub_u32_e32 v86, 0, v85
	s_mov_b64 s[6:7], 15
	s_movk_i32 s10, 0xa0
	s_mov_b64 s[8:9], 0
.LBB11_41:                              ; =>This Inner Loop Header: Depth=1
	s_lshl_b32 s11, s6, 1
	s_add_i32 s12, s11, -13
	v_mov_b32_e32 v85, s10
	s_add_i32 s13, s11, -14
	s_set_gpr_idx_on s12, gpr_idx(SRC0)
	v_mov_b32_e32 v96, v26
	s_set_gpr_idx_off
	s_set_gpr_idx_on s13, gpr_idx(SRC0)
	v_mov_b32_e32 v95, v26
	s_set_gpr_idx_off
	ds_read_b128 v[87:90], v85
	ds_read_b128 v[91:94], v85 offset:16
	s_add_i32 s12, s11, -11
	s_add_i32 s13, s11, -12
	s_waitcnt lgkmcnt(1)
	v_fma_f64 v[82:83], v[95:96], v[87:88], v[82:83]
	ds_read_b128 v[95:98], v85 offset:32
	ds_read_b128 v[99:102], v85 offset:48
	s_set_gpr_idx_on s12, gpr_idx(SRC0)
	v_mov_b32_e32 v88, v26
	s_set_gpr_idx_off
	s_set_gpr_idx_on s13, gpr_idx(SRC0)
	v_mov_b32_e32 v87, v26
	s_set_gpr_idx_off
	s_add_i32 s12, s11, -9
	s_add_i32 s13, s11, -10
	v_fma_f64 v[82:83], v[87:88], v[89:90], v[82:83]
	s_set_gpr_idx_on s12, gpr_idx(SRC0)
	v_mov_b32_e32 v88, v26
	s_set_gpr_idx_off
	s_set_gpr_idx_on s13, gpr_idx(SRC0)
	v_mov_b32_e32 v87, v26
	s_set_gpr_idx_off
	s_add_i32 s12, s11, -7
	s_add_i32 s13, s11, -8
	s_waitcnt lgkmcnt(2)
	v_fma_f64 v[82:83], v[87:88], v[91:92], v[82:83]
	s_set_gpr_idx_on s12, gpr_idx(SRC0)
	v_mov_b32_e32 v88, v26
	s_set_gpr_idx_off
	s_set_gpr_idx_on s13, gpr_idx(SRC0)
	v_mov_b32_e32 v87, v26
	s_set_gpr_idx_off
	s_add_i32 s12, s11, -5
	s_add_i32 s13, s11, -6
	v_fma_f64 v[82:83], v[87:88], v[93:94], v[82:83]
	s_set_gpr_idx_on s12, gpr_idx(SRC0)
	v_mov_b32_e32 v88, v26
	s_set_gpr_idx_off
	s_set_gpr_idx_on s13, gpr_idx(SRC0)
	v_mov_b32_e32 v87, v26
	s_set_gpr_idx_off
	s_add_i32 s12, s11, -3
	s_add_i32 s13, s11, -4
	s_waitcnt lgkmcnt(1)
	v_fma_f64 v[82:83], v[87:88], v[95:96], v[82:83]
	s_set_gpr_idx_on s12, gpr_idx(SRC0)
	v_mov_b32_e32 v88, v26
	s_set_gpr_idx_off
	s_set_gpr_idx_on s13, gpr_idx(SRC0)
	v_mov_b32_e32 v87, v26
	s_set_gpr_idx_off
	s_add_i32 s12, s11, -1
	s_add_i32 s13, s11, -2
	s_add_u32 s6, s6, 8
	v_add_u32_e32 v85, s6, v86
	s_addc_u32 s7, s7, 0
	v_fma_f64 v[82:83], v[87:88], v[97:98], v[82:83]
	s_set_gpr_idx_on s12, gpr_idx(SRC0)
	v_mov_b32_e32 v88, v26
	s_set_gpr_idx_off
	s_set_gpr_idx_on s13, gpr_idx(SRC0)
	v_mov_b32_e32 v87, v26
	s_set_gpr_idx_off
	s_add_i32 s10, s10, 64
	v_cmp_eq_u32_e32 vcc, 7, v85
	s_waitcnt lgkmcnt(0)
	v_fma_f64 v[82:83], v[87:88], v[99:100], v[82:83]
	s_set_gpr_idx_on s11, gpr_idx(SRC0)
	v_mov_b32_e32 v88, v27
	v_mov_b32_e32 v87, v26
	s_set_gpr_idx_off
	s_add_i32 s11, s6, -7
	s_or_b64 s[8:9], vcc, s[8:9]
	v_mov_b32_e32 v85, s11
	v_fma_f64 v[82:83], v[87:88], v[101:102], v[82:83]
	s_andn2_b64 exec, exec, s[8:9]
	s_cbranch_execnz .LBB11_41
; %bb.42:
	s_or_b64 exec, exec, s[8:9]
.LBB11_43:
	s_or_b64 exec, exec, s[0:1]
	v_and_b32_e32 v50, 7, v0
	v_cmp_ne_u32_e32 vcc, 0, v50
	s_and_saveexec_b64 s[6:7], vcc
	s_cbranch_execz .LBB11_47
; %bb.44:
	v_mov_b32_e32 v51, 0x60
	v_lshl_add_u32 v51, v85, 3, v51
	v_mov_b32_e32 v52, 0
	s_mov_b64 s[8:9], 0
.LBB11_45:                              ; =>This Inner Loop Header: Depth=1
	v_cmp_eq_u32_e32 vcc, 1, v85
	v_cndmask_b32_e32 v55, v27, v29, vcc
	v_cmp_eq_u32_e64 s[0:1], 2, v85
	v_cndmask_b32_e64 v55, v55, v31, s[0:1]
	v_cndmask_b32_e32 v56, v26, v28, vcc
	v_cmp_eq_u32_e32 vcc, 3, v85
	v_cndmask_b32_e32 v55, v55, v33, vcc
	v_cndmask_b32_e64 v56, v56, v30, s[0:1]
	v_cmp_eq_u32_e64 s[0:1], 4, v85
	v_cndmask_b32_e64 v55, v55, v35, s[0:1]
	v_cndmask_b32_e32 v56, v56, v32, vcc
	v_cmp_eq_u32_e32 vcc, 5, v85
	v_cndmask_b32_e32 v55, v55, v37, vcc
	v_cndmask_b32_e64 v56, v56, v34, s[0:1]
	;; [unrolled: 6-line block ×3, first 2 shown]
	v_cmp_eq_u32_e64 s[0:1], 8, v85
	ds_read_b64 v[53:54], v51
	v_cndmask_b32_e64 v55, v55, v43, s[0:1]
	v_cndmask_b32_e32 v56, v56, v40, vcc
	v_cmp_eq_u32_e32 vcc, 9, v85
	v_cndmask_b32_e32 v55, v55, v45, vcc
	v_cndmask_b32_e64 v56, v56, v42, s[0:1]
	v_cmp_eq_u32_e64 s[0:1], 10, v85
	v_cndmask_b32_e64 v55, v55, v47, s[0:1]
	v_cndmask_b32_e32 v57, v56, v44, vcc
	v_cmp_eq_u32_e32 vcc, 11, v85
	v_cndmask_b32_e32 v56, v55, v49, vcc
	v_cndmask_b32_e64 v55, v57, v46, s[0:1]
	v_cndmask_b32_e32 v55, v55, v48, vcc
	s_waitcnt lgkmcnt(0)
	v_fma_f64 v[82:83], v[55:56], v[53:54], v[82:83]
	v_add_u32_e32 v50, -1, v50
	v_cmp_eq_u32_e32 vcc, 0, v50
	s_or_b64 s[8:9], vcc, s[8:9]
	v_add_co_u32_e32 v85, vcc, 1, v85
	v_add_u32_e32 v51, 8, v51
	v_addc_co_u32_e32 v52, vcc, 0, v52, vcc
	s_andn2_b64 exec, exec, s[8:9]
	s_cbranch_execnz .LBB11_45
; %bb.46:
	s_or_b64 exec, exec, s[8:9]
.LBB11_47:
	s_or_b64 exec, exec, s[6:7]
.LBB11_48:
	s_or_b64 exec, exec, s[4:5]
	v_mov_b32_e32 v40, 0
	ds_read_b64 v[40:41], v40 offset:56
	s_waitcnt lgkmcnt(0)
	v_mul_f64 v[40:41], v[82:83], v[40:41]
.LBB11_49:
	s_or_b64 exec, exec, s[24:25]
	v_cmp_lt_u32_e64 s[0:1], 6, v0
	ds_write_b64 v84, v[38:39]
	s_waitcnt lgkmcnt(0)
	; wave barrier
	s_and_saveexec_b64 s[24:25], s[0:1]
	s_cbranch_execz .LBB11_65
; %bb.50:
	s_andn2_b64 vcc, exec, s[26:27]
	s_cbranch_vccnz .LBB11_52
; %bb.51:
	v_cmp_eq_u32_e32 vcc, 1, v0
	v_cndmask_b32_e32 v82, v27, v29, vcc
	v_cmp_eq_u32_e64 s[4:5], 2, v0
	v_cndmask_b32_e64 v82, v82, v31, s[4:5]
	v_cmp_eq_u32_e64 s[6:7], 3, v0
	v_cndmask_b32_e64 v82, v82, v33, s[6:7]
	;; [unrolled: 2-line block ×10, first 2 shown]
	v_cndmask_b32_e32 v82, v26, v28, vcc
	v_cndmask_b32_e64 v82, v82, v30, s[4:5]
	v_cndmask_b32_e64 v82, v82, v32, s[6:7]
	;; [unrolled: 1-line block ×6, first 2 shown]
	ds_read_b64 v[85:86], v84
	v_cndmask_b32_e64 v82, v82, v42, s[16:17]
	v_cndmask_b32_e64 v82, v82, v44, s[18:19]
	;; [unrolled: 1-line block ×4, first 2 shown]
	s_waitcnt lgkmcnt(0)
	v_mul_f64 v[82:83], v[82:83], v[85:86]
	s_cbranch_execz .LBB11_53
	s_branch .LBB11_54
.LBB11_52:
                                        ; implicit-def: $vgpr82_vgpr83
.LBB11_53:
	ds_read_b64 v[82:83], v84
.LBB11_54:
	s_and_saveexec_b64 s[4:5], s[2:3]
	s_cbranch_execz .LBB11_64
; %bb.55:
	v_add_u32_e32 v86, -8, v0
	v_add_u32_e32 v85, -7, v0
	v_cmp_lt_u32_e32 vcc, 6, v86
	v_mov_b32_e32 v86, 7
	s_and_saveexec_b64 s[2:3], vcc
	s_cbranch_execz .LBB11_59
; %bb.56:
	v_and_b32_e32 v86, -8, v85
	v_sub_u32_e32 v87, 0, v86
	s_mov_b64 s[6:7], 14
	s_movk_i32 s10, 0x98
	s_mov_b64 s[8:9], 0
.LBB11_57:                              ; =>This Inner Loop Header: Depth=1
	s_lshl_b32 s11, s6, 1
	s_add_i32 s12, s11, -13
	v_mov_b32_e32 v86, s10
	s_add_i32 s13, s11, -14
	s_set_gpr_idx_on s12, gpr_idx(SRC0)
	v_mov_b32_e32 v93, v26
	s_set_gpr_idx_off
	s_set_gpr_idx_on s13, gpr_idx(SRC0)
	v_mov_b32_e32 v92, v26
	s_set_gpr_idx_off
	ds_read2_b64 v[88:91], v86 offset1:1
	s_add_i32 s12, s11, -11
	s_add_i32 s13, s11, -12
	;; [unrolled: 1-line block ×4, first 2 shown]
	s_waitcnt lgkmcnt(0)
	v_fma_f64 v[82:83], v[92:93], v[88:89], v[82:83]
	s_set_gpr_idx_on s12, gpr_idx(SRC0)
	v_mov_b32_e32 v89, v26
	s_set_gpr_idx_off
	s_set_gpr_idx_on s13, gpr_idx(SRC0)
	v_mov_b32_e32 v88, v26
	s_set_gpr_idx_off
	s_add_i32 s12, s11, -7
	s_add_i32 s13, s11, -8
	v_fma_f64 v[82:83], v[88:89], v[90:91], v[82:83]
	s_set_gpr_idx_on s14, gpr_idx(SRC0)
	v_mov_b32_e32 v93, v26
	s_set_gpr_idx_off
	s_set_gpr_idx_on s15, gpr_idx(SRC0)
	v_mov_b32_e32 v92, v26
	s_set_gpr_idx_off
	ds_read2_b64 v[88:91], v86 offset0:2 offset1:3
	s_add_i32 s14, s11, -5
	s_add_i32 s15, s11, -6
	s_waitcnt lgkmcnt(0)
	v_fma_f64 v[82:83], v[92:93], v[88:89], v[82:83]
	s_set_gpr_idx_on s12, gpr_idx(SRC0)
	v_mov_b32_e32 v89, v26
	s_set_gpr_idx_off
	s_set_gpr_idx_on s13, gpr_idx(SRC0)
	v_mov_b32_e32 v88, v26
	s_set_gpr_idx_off
	s_add_i32 s12, s11, -3
	s_add_i32 s13, s11, -4
	v_fma_f64 v[82:83], v[88:89], v[90:91], v[82:83]
	s_set_gpr_idx_on s14, gpr_idx(SRC0)
	v_mov_b32_e32 v93, v26
	s_set_gpr_idx_off
	s_set_gpr_idx_on s15, gpr_idx(SRC0)
	v_mov_b32_e32 v92, v26
	s_set_gpr_idx_off
	ds_read2_b64 v[88:91], v86 offset0:4 offset1:5
	s_add_i32 s14, s11, -1
	s_add_i32 s15, s11, -2
	s_add_u32 s6, s6, 8
	s_addc_u32 s7, s7, 0
	s_waitcnt lgkmcnt(0)
	v_fma_f64 v[82:83], v[92:93], v[88:89], v[82:83]
	s_set_gpr_idx_on s12, gpr_idx(SRC0)
	v_mov_b32_e32 v89, v26
	s_set_gpr_idx_off
	s_set_gpr_idx_on s13, gpr_idx(SRC0)
	v_mov_b32_e32 v88, v26
	s_set_gpr_idx_off
	s_add_i32 s10, s10, 64
	v_fma_f64 v[82:83], v[88:89], v[90:91], v[82:83]
	s_set_gpr_idx_on s14, gpr_idx(SRC0)
	v_mov_b32_e32 v93, v26
	s_set_gpr_idx_off
	s_set_gpr_idx_on s15, gpr_idx(SRC0)
	v_mov_b32_e32 v92, v26
	s_set_gpr_idx_off
	ds_read2_b64 v[88:91], v86 offset0:6 offset1:7
	v_add_u32_e32 v86, s6, v87
	v_cmp_eq_u32_e32 vcc, 14, v86
	s_waitcnt lgkmcnt(0)
	v_fma_f64 v[82:83], v[92:93], v[88:89], v[82:83]
	s_set_gpr_idx_on s11, gpr_idx(SRC0)
	v_mov_b32_e32 v89, v27
	v_mov_b32_e32 v88, v26
	s_set_gpr_idx_off
	s_add_i32 s11, s6, -7
	s_or_b64 s[8:9], vcc, s[8:9]
	v_mov_b32_e32 v86, s11
	v_fma_f64 v[82:83], v[88:89], v[90:91], v[82:83]
	s_andn2_b64 exec, exec, s[8:9]
	s_cbranch_execnz .LBB11_57
; %bb.58:
	s_or_b64 exec, exec, s[8:9]
.LBB11_59:
	s_or_b64 exec, exec, s[2:3]
	v_and_b32_e32 v50, 7, v85
	v_cmp_ne_u32_e32 vcc, 0, v50
	s_and_saveexec_b64 s[6:7], vcc
	s_cbranch_execz .LBB11_63
; %bb.60:
	v_mov_b32_e32 v51, 0x60
	v_lshl_add_u32 v51, v86, 3, v51
	v_mov_b32_e32 v52, 0
	s_mov_b64 s[8:9], 0
.LBB11_61:                              ; =>This Inner Loop Header: Depth=1
	v_cmp_eq_u32_e32 vcc, 1, v86
	v_cndmask_b32_e32 v55, v27, v29, vcc
	v_cmp_eq_u32_e64 s[2:3], 2, v86
	v_cndmask_b32_e64 v55, v55, v31, s[2:3]
	v_cndmask_b32_e32 v56, v26, v28, vcc
	v_cmp_eq_u32_e32 vcc, 3, v86
	v_cndmask_b32_e32 v55, v55, v33, vcc
	v_cndmask_b32_e64 v56, v56, v30, s[2:3]
	v_cmp_eq_u32_e64 s[2:3], 4, v86
	v_cndmask_b32_e64 v55, v55, v35, s[2:3]
	v_cndmask_b32_e32 v56, v56, v32, vcc
	v_cmp_eq_u32_e32 vcc, 5, v86
	v_cndmask_b32_e32 v55, v55, v37, vcc
	v_cndmask_b32_e64 v56, v56, v34, s[2:3]
	v_cmp_eq_u32_e64 s[2:3], 6, v86
	v_cndmask_b32_e64 v55, v55, v39, s[2:3]
	v_cndmask_b32_e32 v56, v56, v36, vcc
	v_cmp_eq_u32_e32 vcc, 7, v86
	v_cndmask_b32_e32 v55, v55, v41, vcc
	v_cndmask_b32_e64 v56, v56, v38, s[2:3]
	v_cmp_eq_u32_e64 s[2:3], 8, v86
	ds_read_b64 v[53:54], v51
	v_cndmask_b32_e64 v55, v55, v43, s[2:3]
	v_cndmask_b32_e32 v56, v56, v40, vcc
	v_cmp_eq_u32_e32 vcc, 9, v86
	v_cndmask_b32_e32 v55, v55, v45, vcc
	v_cndmask_b32_e64 v56, v56, v42, s[2:3]
	v_cmp_eq_u32_e64 s[2:3], 10, v86
	v_cndmask_b32_e64 v55, v55, v47, s[2:3]
	v_cndmask_b32_e32 v57, v56, v44, vcc
	v_cmp_eq_u32_e32 vcc, 11, v86
	v_cndmask_b32_e32 v56, v55, v49, vcc
	v_cndmask_b32_e64 v55, v57, v46, s[2:3]
	v_cndmask_b32_e32 v55, v55, v48, vcc
	s_waitcnt lgkmcnt(0)
	v_fma_f64 v[82:83], v[55:56], v[53:54], v[82:83]
	v_add_u32_e32 v50, -1, v50
	v_cmp_eq_u32_e32 vcc, 0, v50
	s_or_b64 s[8:9], vcc, s[8:9]
	v_add_co_u32_e32 v86, vcc, 1, v86
	v_add_u32_e32 v51, 8, v51
	v_addc_co_u32_e32 v52, vcc, 0, v52, vcc
	s_andn2_b64 exec, exec, s[8:9]
	s_cbranch_execnz .LBB11_61
; %bb.62:
	s_or_b64 exec, exec, s[8:9]
.LBB11_63:
	s_or_b64 exec, exec, s[6:7]
.LBB11_64:
	s_or_b64 exec, exec, s[4:5]
	v_mov_b32_e32 v38, 0
	ds_read_b64 v[38:39], v38 offset:48
	s_waitcnt lgkmcnt(0)
	v_mul_f64 v[38:39], v[82:83], v[38:39]
.LBB11_65:
	s_or_b64 exec, exec, s[24:25]
	v_cmp_lt_u32_e64 s[2:3], 5, v0
	ds_write_b64 v84, v[36:37]
	s_waitcnt lgkmcnt(0)
	; wave barrier
	s_and_saveexec_b64 s[24:25], s[2:3]
	s_cbranch_execz .LBB11_81
; %bb.66:
	s_andn2_b64 vcc, exec, s[26:27]
	s_cbranch_vccnz .LBB11_68
; %bb.67:
	v_cmp_eq_u32_e32 vcc, 1, v0
	v_cndmask_b32_e32 v82, v27, v29, vcc
	v_cmp_eq_u32_e64 s[4:5], 2, v0
	v_cndmask_b32_e64 v82, v82, v31, s[4:5]
	v_cmp_eq_u32_e64 s[6:7], 3, v0
	v_cndmask_b32_e64 v82, v82, v33, s[6:7]
	;; [unrolled: 2-line block ×10, first 2 shown]
	v_cndmask_b32_e32 v82, v26, v28, vcc
	v_cndmask_b32_e64 v82, v82, v30, s[4:5]
	v_cndmask_b32_e64 v82, v82, v32, s[6:7]
	;; [unrolled: 1-line block ×6, first 2 shown]
	ds_read_b64 v[85:86], v84
	v_cndmask_b32_e64 v82, v82, v42, s[16:17]
	v_cndmask_b32_e64 v82, v82, v44, s[18:19]
	;; [unrolled: 1-line block ×4, first 2 shown]
	s_waitcnt lgkmcnt(0)
	v_mul_f64 v[82:83], v[82:83], v[85:86]
	s_cbranch_execz .LBB11_69
	s_branch .LBB11_70
.LBB11_68:
                                        ; implicit-def: $vgpr82_vgpr83
.LBB11_69:
	ds_read_b64 v[82:83], v84
.LBB11_70:
	s_and_saveexec_b64 s[4:5], s[0:1]
	s_cbranch_execz .LBB11_80
; %bb.71:
	v_add_u32_e32 v87, -7, v0
	v_add_u32_e32 v85, -6, v0
	v_mov_b32_e32 v86, 6
	v_cmp_lt_u32_e32 vcc, 6, v87
	s_and_saveexec_b64 s[0:1], vcc
	s_cbranch_execz .LBB11_75
; %bb.72:
	v_and_b32_e32 v86, -8, v85
	v_sub_u32_e32 v87, 0, v86
	s_mov_b64 s[6:7], 13
	s_movk_i32 s10, 0x90
	s_mov_b64 s[8:9], 0
.LBB11_73:                              ; =>This Inner Loop Header: Depth=1
	s_lshl_b32 s11, s6, 1
	s_add_i32 s12, s11, -13
	v_mov_b32_e32 v86, s10
	s_add_i32 s13, s11, -14
	s_set_gpr_idx_on s12, gpr_idx(SRC0)
	v_mov_b32_e32 v97, v26
	s_set_gpr_idx_off
	s_set_gpr_idx_on s13, gpr_idx(SRC0)
	v_mov_b32_e32 v96, v26
	s_set_gpr_idx_off
	ds_read_b128 v[88:91], v86
	ds_read_b128 v[92:95], v86 offset:16
	s_add_i32 s12, s11, -11
	s_add_i32 s13, s11, -12
	s_waitcnt lgkmcnt(1)
	v_fma_f64 v[82:83], v[96:97], v[88:89], v[82:83]
	ds_read_b128 v[96:99], v86 offset:32
	ds_read_b128 v[100:103], v86 offset:48
	s_set_gpr_idx_on s12, gpr_idx(SRC0)
	v_mov_b32_e32 v89, v26
	s_set_gpr_idx_off
	s_set_gpr_idx_on s13, gpr_idx(SRC0)
	v_mov_b32_e32 v88, v26
	s_set_gpr_idx_off
	s_add_i32 s12, s11, -9
	s_add_i32 s13, s11, -10
	v_fma_f64 v[82:83], v[88:89], v[90:91], v[82:83]
	s_set_gpr_idx_on s12, gpr_idx(SRC0)
	v_mov_b32_e32 v89, v26
	s_set_gpr_idx_off
	s_set_gpr_idx_on s13, gpr_idx(SRC0)
	v_mov_b32_e32 v88, v26
	s_set_gpr_idx_off
	s_add_i32 s12, s11, -7
	s_add_i32 s13, s11, -8
	s_waitcnt lgkmcnt(2)
	v_fma_f64 v[82:83], v[88:89], v[92:93], v[82:83]
	s_set_gpr_idx_on s12, gpr_idx(SRC0)
	v_mov_b32_e32 v89, v26
	s_set_gpr_idx_off
	s_set_gpr_idx_on s13, gpr_idx(SRC0)
	v_mov_b32_e32 v88, v26
	s_set_gpr_idx_off
	s_add_i32 s12, s11, -5
	s_add_i32 s13, s11, -6
	v_fma_f64 v[82:83], v[88:89], v[94:95], v[82:83]
	s_set_gpr_idx_on s12, gpr_idx(SRC0)
	v_mov_b32_e32 v89, v26
	s_set_gpr_idx_off
	s_set_gpr_idx_on s13, gpr_idx(SRC0)
	v_mov_b32_e32 v88, v26
	s_set_gpr_idx_off
	s_add_i32 s12, s11, -3
	s_add_i32 s13, s11, -4
	s_waitcnt lgkmcnt(1)
	v_fma_f64 v[82:83], v[88:89], v[96:97], v[82:83]
	s_set_gpr_idx_on s12, gpr_idx(SRC0)
	v_mov_b32_e32 v89, v26
	s_set_gpr_idx_off
	s_set_gpr_idx_on s13, gpr_idx(SRC0)
	v_mov_b32_e32 v88, v26
	s_set_gpr_idx_off
	s_add_i32 s12, s11, -1
	s_add_i32 s13, s11, -2
	s_add_u32 s6, s6, 8
	v_add_u32_e32 v86, s6, v87
	s_addc_u32 s7, s7, 0
	v_fma_f64 v[82:83], v[88:89], v[98:99], v[82:83]
	s_set_gpr_idx_on s12, gpr_idx(SRC0)
	v_mov_b32_e32 v89, v26
	s_set_gpr_idx_off
	s_set_gpr_idx_on s13, gpr_idx(SRC0)
	v_mov_b32_e32 v88, v26
	s_set_gpr_idx_off
	s_add_i32 s10, s10, 64
	v_cmp_eq_u32_e32 vcc, 13, v86
	s_waitcnt lgkmcnt(0)
	v_fma_f64 v[82:83], v[88:89], v[100:101], v[82:83]
	s_set_gpr_idx_on s11, gpr_idx(SRC0)
	v_mov_b32_e32 v89, v27
	v_mov_b32_e32 v88, v26
	s_set_gpr_idx_off
	s_add_i32 s11, s6, -7
	s_or_b64 s[8:9], vcc, s[8:9]
	v_mov_b32_e32 v86, s11
	v_fma_f64 v[82:83], v[88:89], v[102:103], v[82:83]
	s_andn2_b64 exec, exec, s[8:9]
	s_cbranch_execnz .LBB11_73
; %bb.74:
	s_or_b64 exec, exec, s[8:9]
.LBB11_75:
	s_or_b64 exec, exec, s[0:1]
	v_and_b32_e32 v50, 7, v85
	v_cmp_ne_u32_e32 vcc, 0, v50
	s_and_saveexec_b64 s[6:7], vcc
	s_cbranch_execz .LBB11_79
; %bb.76:
	v_mov_b32_e32 v51, 0x60
	v_lshl_add_u32 v51, v86, 3, v51
	v_mov_b32_e32 v52, 0
	s_mov_b64 s[8:9], 0
.LBB11_77:                              ; =>This Inner Loop Header: Depth=1
	v_cmp_eq_u32_e32 vcc, 1, v86
	v_cndmask_b32_e32 v55, v27, v29, vcc
	v_cmp_eq_u32_e64 s[0:1], 2, v86
	v_cndmask_b32_e64 v55, v55, v31, s[0:1]
	v_cndmask_b32_e32 v56, v26, v28, vcc
	v_cmp_eq_u32_e32 vcc, 3, v86
	v_cndmask_b32_e32 v55, v55, v33, vcc
	v_cndmask_b32_e64 v56, v56, v30, s[0:1]
	v_cmp_eq_u32_e64 s[0:1], 4, v86
	v_cndmask_b32_e64 v55, v55, v35, s[0:1]
	v_cndmask_b32_e32 v56, v56, v32, vcc
	v_cmp_eq_u32_e32 vcc, 5, v86
	v_cndmask_b32_e32 v55, v55, v37, vcc
	v_cndmask_b32_e64 v56, v56, v34, s[0:1]
	;; [unrolled: 6-line block ×3, first 2 shown]
	v_cmp_eq_u32_e64 s[0:1], 8, v86
	ds_read_b64 v[53:54], v51
	v_cndmask_b32_e64 v55, v55, v43, s[0:1]
	v_cndmask_b32_e32 v56, v56, v40, vcc
	v_cmp_eq_u32_e32 vcc, 9, v86
	v_cndmask_b32_e32 v55, v55, v45, vcc
	v_cndmask_b32_e64 v56, v56, v42, s[0:1]
	v_cmp_eq_u32_e64 s[0:1], 10, v86
	v_cndmask_b32_e64 v55, v55, v47, s[0:1]
	v_cndmask_b32_e32 v57, v56, v44, vcc
	v_cmp_eq_u32_e32 vcc, 11, v86
	v_cndmask_b32_e32 v56, v55, v49, vcc
	v_cndmask_b32_e64 v55, v57, v46, s[0:1]
	v_cndmask_b32_e32 v55, v55, v48, vcc
	s_waitcnt lgkmcnt(0)
	v_fma_f64 v[82:83], v[55:56], v[53:54], v[82:83]
	v_add_u32_e32 v50, -1, v50
	v_cmp_eq_u32_e32 vcc, 0, v50
	s_or_b64 s[8:9], vcc, s[8:9]
	v_add_co_u32_e32 v86, vcc, 1, v86
	v_add_u32_e32 v51, 8, v51
	v_addc_co_u32_e32 v52, vcc, 0, v52, vcc
	s_andn2_b64 exec, exec, s[8:9]
	s_cbranch_execnz .LBB11_77
; %bb.78:
	s_or_b64 exec, exec, s[8:9]
.LBB11_79:
	s_or_b64 exec, exec, s[6:7]
.LBB11_80:
	s_or_b64 exec, exec, s[4:5]
	v_mov_b32_e32 v36, 0
	ds_read_b64 v[36:37], v36 offset:40
	s_waitcnt lgkmcnt(0)
	v_mul_f64 v[36:37], v[82:83], v[36:37]
.LBB11_81:
	s_or_b64 exec, exec, s[24:25]
	v_cmp_lt_u32_e64 s[0:1], 4, v0
	ds_write_b64 v84, v[34:35]
	s_waitcnt lgkmcnt(0)
	; wave barrier
	s_and_saveexec_b64 s[24:25], s[0:1]
	s_cbranch_execz .LBB11_97
; %bb.82:
	s_andn2_b64 vcc, exec, s[26:27]
	s_cbranch_vccnz .LBB11_84
; %bb.83:
	v_cmp_eq_u32_e32 vcc, 1, v0
	v_cndmask_b32_e32 v82, v27, v29, vcc
	v_cmp_eq_u32_e64 s[4:5], 2, v0
	v_cndmask_b32_e64 v82, v82, v31, s[4:5]
	v_cmp_eq_u32_e64 s[6:7], 3, v0
	v_cndmask_b32_e64 v82, v82, v33, s[6:7]
	;; [unrolled: 2-line block ×10, first 2 shown]
	v_cndmask_b32_e32 v82, v26, v28, vcc
	v_cndmask_b32_e64 v82, v82, v30, s[4:5]
	v_cndmask_b32_e64 v82, v82, v32, s[6:7]
	;; [unrolled: 1-line block ×6, first 2 shown]
	ds_read_b64 v[85:86], v84
	v_cndmask_b32_e64 v82, v82, v42, s[16:17]
	v_cndmask_b32_e64 v82, v82, v44, s[18:19]
	;; [unrolled: 1-line block ×4, first 2 shown]
	s_waitcnt lgkmcnt(0)
	v_mul_f64 v[82:83], v[82:83], v[85:86]
	s_cbranch_execz .LBB11_85
	s_branch .LBB11_86
.LBB11_84:
                                        ; implicit-def: $vgpr82_vgpr83
.LBB11_85:
	ds_read_b64 v[82:83], v84
.LBB11_86:
	s_and_saveexec_b64 s[4:5], s[2:3]
	s_cbranch_execz .LBB11_96
; %bb.87:
	v_add_u32_e32 v86, -6, v0
	v_add_u32_e32 v85, -5, v0
	v_cmp_lt_u32_e32 vcc, 6, v86
	v_mov_b32_e32 v86, 5
	s_and_saveexec_b64 s[2:3], vcc
	s_cbranch_execz .LBB11_91
; %bb.88:
	v_and_b32_e32 v86, -8, v85
	v_sub_u32_e32 v87, 0, v86
	s_mov_b64 s[6:7], 12
	s_movk_i32 s10, 0x88
	s_mov_b64 s[8:9], 0
.LBB11_89:                              ; =>This Inner Loop Header: Depth=1
	s_lshl_b32 s11, s6, 1
	s_add_i32 s12, s11, -13
	v_mov_b32_e32 v86, s10
	s_add_i32 s13, s11, -14
	s_set_gpr_idx_on s12, gpr_idx(SRC0)
	v_mov_b32_e32 v93, v26
	s_set_gpr_idx_off
	s_set_gpr_idx_on s13, gpr_idx(SRC0)
	v_mov_b32_e32 v92, v26
	s_set_gpr_idx_off
	ds_read2_b64 v[88:91], v86 offset1:1
	s_add_i32 s12, s11, -11
	s_add_i32 s13, s11, -12
	;; [unrolled: 1-line block ×4, first 2 shown]
	s_waitcnt lgkmcnt(0)
	v_fma_f64 v[82:83], v[92:93], v[88:89], v[82:83]
	s_set_gpr_idx_on s12, gpr_idx(SRC0)
	v_mov_b32_e32 v89, v26
	s_set_gpr_idx_off
	s_set_gpr_idx_on s13, gpr_idx(SRC0)
	v_mov_b32_e32 v88, v26
	s_set_gpr_idx_off
	s_add_i32 s12, s11, -7
	s_add_i32 s13, s11, -8
	v_fma_f64 v[82:83], v[88:89], v[90:91], v[82:83]
	s_set_gpr_idx_on s14, gpr_idx(SRC0)
	v_mov_b32_e32 v93, v26
	s_set_gpr_idx_off
	s_set_gpr_idx_on s15, gpr_idx(SRC0)
	v_mov_b32_e32 v92, v26
	s_set_gpr_idx_off
	ds_read2_b64 v[88:91], v86 offset0:2 offset1:3
	s_add_i32 s14, s11, -5
	s_add_i32 s15, s11, -6
	s_waitcnt lgkmcnt(0)
	v_fma_f64 v[82:83], v[92:93], v[88:89], v[82:83]
	s_set_gpr_idx_on s12, gpr_idx(SRC0)
	v_mov_b32_e32 v89, v26
	s_set_gpr_idx_off
	s_set_gpr_idx_on s13, gpr_idx(SRC0)
	v_mov_b32_e32 v88, v26
	s_set_gpr_idx_off
	s_add_i32 s12, s11, -3
	s_add_i32 s13, s11, -4
	v_fma_f64 v[82:83], v[88:89], v[90:91], v[82:83]
	s_set_gpr_idx_on s14, gpr_idx(SRC0)
	v_mov_b32_e32 v93, v26
	s_set_gpr_idx_off
	s_set_gpr_idx_on s15, gpr_idx(SRC0)
	v_mov_b32_e32 v92, v26
	s_set_gpr_idx_off
	ds_read2_b64 v[88:91], v86 offset0:4 offset1:5
	s_add_i32 s14, s11, -1
	s_add_i32 s15, s11, -2
	s_add_u32 s6, s6, 8
	s_addc_u32 s7, s7, 0
	s_waitcnt lgkmcnt(0)
	v_fma_f64 v[82:83], v[92:93], v[88:89], v[82:83]
	s_set_gpr_idx_on s12, gpr_idx(SRC0)
	v_mov_b32_e32 v89, v26
	s_set_gpr_idx_off
	s_set_gpr_idx_on s13, gpr_idx(SRC0)
	v_mov_b32_e32 v88, v26
	s_set_gpr_idx_off
	s_add_i32 s10, s10, 64
	v_fma_f64 v[82:83], v[88:89], v[90:91], v[82:83]
	s_set_gpr_idx_on s14, gpr_idx(SRC0)
	v_mov_b32_e32 v93, v26
	s_set_gpr_idx_off
	s_set_gpr_idx_on s15, gpr_idx(SRC0)
	v_mov_b32_e32 v92, v26
	s_set_gpr_idx_off
	ds_read2_b64 v[88:91], v86 offset0:6 offset1:7
	v_add_u32_e32 v86, s6, v87
	v_cmp_eq_u32_e32 vcc, 12, v86
	s_waitcnt lgkmcnt(0)
	v_fma_f64 v[82:83], v[92:93], v[88:89], v[82:83]
	s_set_gpr_idx_on s11, gpr_idx(SRC0)
	v_mov_b32_e32 v89, v27
	v_mov_b32_e32 v88, v26
	s_set_gpr_idx_off
	s_add_i32 s11, s6, -7
	s_or_b64 s[8:9], vcc, s[8:9]
	v_mov_b32_e32 v86, s11
	v_fma_f64 v[82:83], v[88:89], v[90:91], v[82:83]
	s_andn2_b64 exec, exec, s[8:9]
	s_cbranch_execnz .LBB11_89
; %bb.90:
	s_or_b64 exec, exec, s[8:9]
.LBB11_91:
	s_or_b64 exec, exec, s[2:3]
	v_and_b32_e32 v50, 7, v85
	v_cmp_ne_u32_e32 vcc, 0, v50
	s_and_saveexec_b64 s[6:7], vcc
	s_cbranch_execz .LBB11_95
; %bb.92:
	v_mov_b32_e32 v51, 0x60
	v_lshl_add_u32 v51, v86, 3, v51
	v_mov_b32_e32 v52, 0
	s_mov_b64 s[8:9], 0
.LBB11_93:                              ; =>This Inner Loop Header: Depth=1
	v_cmp_eq_u32_e32 vcc, 1, v86
	v_cndmask_b32_e32 v55, v27, v29, vcc
	v_cmp_eq_u32_e64 s[2:3], 2, v86
	v_cndmask_b32_e64 v55, v55, v31, s[2:3]
	v_cndmask_b32_e32 v56, v26, v28, vcc
	v_cmp_eq_u32_e32 vcc, 3, v86
	v_cndmask_b32_e32 v55, v55, v33, vcc
	v_cndmask_b32_e64 v56, v56, v30, s[2:3]
	v_cmp_eq_u32_e64 s[2:3], 4, v86
	v_cndmask_b32_e64 v55, v55, v35, s[2:3]
	v_cndmask_b32_e32 v56, v56, v32, vcc
	v_cmp_eq_u32_e32 vcc, 5, v86
	v_cndmask_b32_e32 v55, v55, v37, vcc
	v_cndmask_b32_e64 v56, v56, v34, s[2:3]
	;; [unrolled: 6-line block ×3, first 2 shown]
	v_cmp_eq_u32_e64 s[2:3], 8, v86
	ds_read_b64 v[53:54], v51
	v_cndmask_b32_e64 v55, v55, v43, s[2:3]
	v_cndmask_b32_e32 v56, v56, v40, vcc
	v_cmp_eq_u32_e32 vcc, 9, v86
	v_cndmask_b32_e32 v55, v55, v45, vcc
	v_cndmask_b32_e64 v56, v56, v42, s[2:3]
	v_cmp_eq_u32_e64 s[2:3], 10, v86
	v_cndmask_b32_e64 v55, v55, v47, s[2:3]
	v_cndmask_b32_e32 v57, v56, v44, vcc
	v_cmp_eq_u32_e32 vcc, 11, v86
	v_cndmask_b32_e32 v56, v55, v49, vcc
	v_cndmask_b32_e64 v55, v57, v46, s[2:3]
	v_cndmask_b32_e32 v55, v55, v48, vcc
	s_waitcnt lgkmcnt(0)
	v_fma_f64 v[82:83], v[55:56], v[53:54], v[82:83]
	v_add_u32_e32 v50, -1, v50
	v_cmp_eq_u32_e32 vcc, 0, v50
	s_or_b64 s[8:9], vcc, s[8:9]
	v_add_co_u32_e32 v86, vcc, 1, v86
	v_add_u32_e32 v51, 8, v51
	v_addc_co_u32_e32 v52, vcc, 0, v52, vcc
	s_andn2_b64 exec, exec, s[8:9]
	s_cbranch_execnz .LBB11_93
; %bb.94:
	s_or_b64 exec, exec, s[8:9]
.LBB11_95:
	s_or_b64 exec, exec, s[6:7]
.LBB11_96:
	s_or_b64 exec, exec, s[4:5]
	v_mov_b32_e32 v34, 0
	ds_read_b64 v[34:35], v34 offset:32
	s_waitcnt lgkmcnt(0)
	v_mul_f64 v[34:35], v[82:83], v[34:35]
.LBB11_97:
	s_or_b64 exec, exec, s[24:25]
	v_cmp_lt_u32_e64 s[2:3], 3, v0
	ds_write_b64 v84, v[32:33]
	s_waitcnt lgkmcnt(0)
	; wave barrier
	s_and_saveexec_b64 s[24:25], s[2:3]
	s_cbranch_execz .LBB11_113
; %bb.98:
	s_andn2_b64 vcc, exec, s[26:27]
	s_cbranch_vccnz .LBB11_100
; %bb.99:
	v_cmp_eq_u32_e32 vcc, 1, v0
	v_cndmask_b32_e32 v82, v27, v29, vcc
	v_cmp_eq_u32_e64 s[4:5], 2, v0
	v_cndmask_b32_e64 v82, v82, v31, s[4:5]
	v_cmp_eq_u32_e64 s[6:7], 3, v0
	v_cndmask_b32_e64 v82, v82, v33, s[6:7]
	v_cmp_eq_u32_e64 s[8:9], 4, v0
	v_cndmask_b32_e64 v82, v82, v35, s[8:9]
	v_cmp_eq_u32_e64 s[10:11], 5, v0
	v_cndmask_b32_e64 v82, v82, v37, s[10:11]
	v_cmp_eq_u32_e64 s[12:13], 6, v0
	v_cndmask_b32_e64 v82, v82, v39, s[12:13]
	v_cmp_eq_u32_e64 s[14:15], 7, v0
	v_cndmask_b32_e64 v82, v82, v41, s[14:15]
	v_cmp_eq_u32_e64 s[16:17], 8, v0
	v_cndmask_b32_e64 v82, v82, v43, s[16:17]
	v_cmp_eq_u32_e64 s[18:19], 9, v0
	v_cndmask_b32_e64 v82, v82, v45, s[18:19]
	v_cmp_eq_u32_e64 s[20:21], 10, v0
	v_cndmask_b32_e64 v82, v82, v47, s[20:21]
	v_cmp_eq_u32_e64 s[22:23], 11, v0
	v_cndmask_b32_e64 v83, v82, v49, s[22:23]
	v_cndmask_b32_e32 v82, v26, v28, vcc
	v_cndmask_b32_e64 v82, v82, v30, s[4:5]
	v_cndmask_b32_e64 v82, v82, v32, s[6:7]
	;; [unrolled: 1-line block ×6, first 2 shown]
	ds_read_b64 v[85:86], v84
	v_cndmask_b32_e64 v82, v82, v42, s[16:17]
	v_cndmask_b32_e64 v82, v82, v44, s[18:19]
	;; [unrolled: 1-line block ×4, first 2 shown]
	s_waitcnt lgkmcnt(0)
	v_mul_f64 v[82:83], v[82:83], v[85:86]
	s_cbranch_execz .LBB11_101
	s_branch .LBB11_102
.LBB11_100:
                                        ; implicit-def: $vgpr82_vgpr83
.LBB11_101:
	ds_read_b64 v[82:83], v84
.LBB11_102:
	s_and_saveexec_b64 s[4:5], s[0:1]
	s_cbranch_execz .LBB11_112
; %bb.103:
	v_add_u32_e32 v86, -5, v0
	v_add_u32_e32 v85, -4, v0
	v_cmp_lt_u32_e32 vcc, 6, v86
	v_mov_b32_e32 v86, 4
	s_and_saveexec_b64 s[0:1], vcc
	s_cbranch_execz .LBB11_107
; %bb.104:
	v_and_b32_e32 v86, -8, v85
	v_sub_u32_e32 v87, 0, v86
	s_mov_b64 s[6:7], 5
	s_movk_i32 s10, 0x80
	s_mov_b64 s[8:9], 0
.LBB11_105:                             ; =>This Inner Loop Header: Depth=1
	s_lshl_b32 s11, s6, 1
	s_add_i32 s12, s11, -1
	v_mov_b32_e32 v86, s10
	s_add_i32 s13, s11, -2
	s_set_gpr_idx_on s12, gpr_idx(SRC0)
	v_mov_b32_e32 v97, v26
	s_set_gpr_idx_off
	s_set_gpr_idx_on s13, gpr_idx(SRC0)
	v_mov_b32_e32 v96, v26
	s_set_gpr_idx_off
	ds_read_b128 v[88:91], v86
	ds_read_b128 v[92:95], v86 offset:16
	s_add_i32 s12, s11, 3
	s_add_i32 s13, s11, 2
	s_waitcnt lgkmcnt(1)
	v_fma_f64 v[82:83], v[96:97], v[88:89], v[82:83]
	ds_read_b128 v[96:99], v86 offset:32
	ds_read_b128 v[100:103], v86 offset:48
	s_set_gpr_idx_on s11, gpr_idx(SRC0)
	v_mov_b32_e32 v89, v27
	v_mov_b32_e32 v88, v26
	s_set_gpr_idx_off
	v_fma_f64 v[82:83], v[88:89], v[90:91], v[82:83]
	s_set_gpr_idx_on s12, gpr_idx(SRC0)
	v_mov_b32_e32 v89, v26
	s_set_gpr_idx_off
	s_set_gpr_idx_on s13, gpr_idx(SRC0)
	v_mov_b32_e32 v88, v26
	s_set_gpr_idx_off
	s_add_i32 s12, s11, 5
	s_add_i32 s13, s11, 4
	s_waitcnt lgkmcnt(2)
	v_fma_f64 v[82:83], v[88:89], v[92:93], v[82:83]
	s_set_gpr_idx_on s12, gpr_idx(SRC0)
	v_mov_b32_e32 v89, v26
	s_set_gpr_idx_off
	s_set_gpr_idx_on s13, gpr_idx(SRC0)
	v_mov_b32_e32 v88, v26
	s_set_gpr_idx_off
	s_add_i32 s12, s11, 7
	s_add_i32 s13, s11, 6
	v_fma_f64 v[82:83], v[88:89], v[94:95], v[82:83]
	s_set_gpr_idx_on s12, gpr_idx(SRC0)
	v_mov_b32_e32 v89, v26
	s_set_gpr_idx_off
	s_set_gpr_idx_on s13, gpr_idx(SRC0)
	v_mov_b32_e32 v88, v26
	s_set_gpr_idx_off
	s_add_i32 s12, s11, 9
	s_add_i32 s13, s11, 8
	s_waitcnt lgkmcnt(1)
	v_fma_f64 v[82:83], v[88:89], v[96:97], v[82:83]
	s_set_gpr_idx_on s12, gpr_idx(SRC0)
	v_mov_b32_e32 v89, v26
	s_set_gpr_idx_off
	s_set_gpr_idx_on s13, gpr_idx(SRC0)
	v_mov_b32_e32 v88, v26
	s_set_gpr_idx_off
	s_add_i32 s12, s11, 11
	s_add_i32 s13, s11, 10
	v_fma_f64 v[82:83], v[88:89], v[98:99], v[82:83]
	s_set_gpr_idx_on s12, gpr_idx(SRC0)
	v_mov_b32_e32 v89, v26
	s_set_gpr_idx_off
	s_set_gpr_idx_on s13, gpr_idx(SRC0)
	v_mov_b32_e32 v88, v26
	s_set_gpr_idx_off
	s_add_i32 s12, s11, 13
	s_add_i32 s11, s11, 12
	s_add_u32 s6, s6, 8
	v_add_u32_e32 v86, s6, v87
	s_addc_u32 s7, s7, 0
	s_waitcnt lgkmcnt(0)
	v_fma_f64 v[82:83], v[88:89], v[100:101], v[82:83]
	s_set_gpr_idx_on s12, gpr_idx(SRC0)
	v_mov_b32_e32 v89, v26
	s_set_gpr_idx_off
	s_set_gpr_idx_on s11, gpr_idx(SRC0)
	v_mov_b32_e32 v88, v26
	s_set_gpr_idx_off
	s_add_i32 s10, s10, 64
	s_add_i32 s11, s6, -1
	v_cmp_eq_u32_e32 vcc, 5, v86
	s_or_b64 s[8:9], vcc, s[8:9]
	v_mov_b32_e32 v86, s11
	v_fma_f64 v[82:83], v[88:89], v[102:103], v[82:83]
	s_andn2_b64 exec, exec, s[8:9]
	s_cbranch_execnz .LBB11_105
; %bb.106:
	s_or_b64 exec, exec, s[8:9]
.LBB11_107:
	s_or_b64 exec, exec, s[0:1]
	v_and_b32_e32 v50, 7, v85
	v_cmp_ne_u32_e32 vcc, 0, v50
	s_and_saveexec_b64 s[6:7], vcc
	s_cbranch_execz .LBB11_111
; %bb.108:
	v_mov_b32_e32 v51, 0x60
	v_lshl_add_u32 v51, v86, 3, v51
	v_mov_b32_e32 v52, 0
	s_mov_b64 s[8:9], 0
.LBB11_109:                             ; =>This Inner Loop Header: Depth=1
	v_cmp_eq_u32_e32 vcc, 1, v86
	v_cndmask_b32_e32 v55, v27, v29, vcc
	v_cmp_eq_u32_e64 s[0:1], 2, v86
	v_cndmask_b32_e64 v55, v55, v31, s[0:1]
	v_cndmask_b32_e32 v56, v26, v28, vcc
	v_cmp_eq_u32_e32 vcc, 3, v86
	v_cndmask_b32_e32 v55, v55, v33, vcc
	v_cndmask_b32_e64 v56, v56, v30, s[0:1]
	v_cmp_eq_u32_e64 s[0:1], 4, v86
	v_cndmask_b32_e64 v55, v55, v35, s[0:1]
	v_cndmask_b32_e32 v56, v56, v32, vcc
	v_cmp_eq_u32_e32 vcc, 5, v86
	v_cndmask_b32_e32 v55, v55, v37, vcc
	v_cndmask_b32_e64 v56, v56, v34, s[0:1]
	;; [unrolled: 6-line block ×3, first 2 shown]
	v_cmp_eq_u32_e64 s[0:1], 8, v86
	ds_read_b64 v[53:54], v51
	v_cndmask_b32_e64 v55, v55, v43, s[0:1]
	v_cndmask_b32_e32 v56, v56, v40, vcc
	v_cmp_eq_u32_e32 vcc, 9, v86
	v_cndmask_b32_e32 v55, v55, v45, vcc
	v_cndmask_b32_e64 v56, v56, v42, s[0:1]
	v_cmp_eq_u32_e64 s[0:1], 10, v86
	v_cndmask_b32_e64 v55, v55, v47, s[0:1]
	v_cndmask_b32_e32 v57, v56, v44, vcc
	v_cmp_eq_u32_e32 vcc, 11, v86
	v_cndmask_b32_e32 v56, v55, v49, vcc
	v_cndmask_b32_e64 v55, v57, v46, s[0:1]
	v_cndmask_b32_e32 v55, v55, v48, vcc
	s_waitcnt lgkmcnt(0)
	v_fma_f64 v[82:83], v[55:56], v[53:54], v[82:83]
	v_add_u32_e32 v50, -1, v50
	v_cmp_eq_u32_e32 vcc, 0, v50
	s_or_b64 s[8:9], vcc, s[8:9]
	v_add_co_u32_e32 v86, vcc, 1, v86
	v_add_u32_e32 v51, 8, v51
	v_addc_co_u32_e32 v52, vcc, 0, v52, vcc
	s_andn2_b64 exec, exec, s[8:9]
	s_cbranch_execnz .LBB11_109
; %bb.110:
	s_or_b64 exec, exec, s[8:9]
.LBB11_111:
	s_or_b64 exec, exec, s[6:7]
.LBB11_112:
	s_or_b64 exec, exec, s[4:5]
	v_mov_b32_e32 v32, 0
	ds_read_b64 v[32:33], v32 offset:24
	s_waitcnt lgkmcnt(0)
	v_mul_f64 v[32:33], v[82:83], v[32:33]
.LBB11_113:
	s_or_b64 exec, exec, s[24:25]
	v_cmp_lt_u32_e64 s[0:1], 2, v0
	ds_write_b64 v84, v[30:31]
	s_waitcnt lgkmcnt(0)
	; wave barrier
	s_and_saveexec_b64 s[24:25], s[0:1]
	s_cbranch_execz .LBB11_129
; %bb.114:
	s_andn2_b64 vcc, exec, s[26:27]
	s_cbranch_vccnz .LBB11_116
; %bb.115:
	v_cmp_eq_u32_e32 vcc, 1, v0
	v_cndmask_b32_e32 v82, v27, v29, vcc
	v_cmp_eq_u32_e64 s[4:5], 2, v0
	v_cndmask_b32_e64 v82, v82, v31, s[4:5]
	v_cmp_eq_u32_e64 s[6:7], 3, v0
	v_cndmask_b32_e64 v82, v82, v33, s[6:7]
	;; [unrolled: 2-line block ×10, first 2 shown]
	v_cndmask_b32_e32 v82, v26, v28, vcc
	v_cndmask_b32_e64 v82, v82, v30, s[4:5]
	v_cndmask_b32_e64 v82, v82, v32, s[6:7]
	;; [unrolled: 1-line block ×6, first 2 shown]
	ds_read_b64 v[85:86], v84
	v_cndmask_b32_e64 v82, v82, v42, s[16:17]
	v_cndmask_b32_e64 v82, v82, v44, s[18:19]
	;; [unrolled: 1-line block ×4, first 2 shown]
	s_waitcnt lgkmcnt(0)
	v_mul_f64 v[82:83], v[82:83], v[85:86]
	s_cbranch_execz .LBB11_117
	s_branch .LBB11_118
.LBB11_116:
                                        ; implicit-def: $vgpr82_vgpr83
.LBB11_117:
	ds_read_b64 v[82:83], v84
.LBB11_118:
	s_and_saveexec_b64 s[4:5], s[2:3]
	s_cbranch_execz .LBB11_128
; %bb.119:
	v_add_u32_e32 v86, -4, v0
	v_add_u32_e32 v85, -3, v0
	v_cmp_lt_u32_e32 vcc, 6, v86
	v_mov_b32_e32 v86, 3
	s_and_saveexec_b64 s[2:3], vcc
	s_cbranch_execz .LBB11_123
; %bb.120:
	v_and_b32_e32 v86, -8, v85
	v_sub_u32_e32 v87, 0, v86
	s_mov_b64 s[6:7], 10
	s_movk_i32 s10, 0x78
	s_mov_b64 s[8:9], 0
.LBB11_121:                             ; =>This Inner Loop Header: Depth=1
	s_lshl_b32 s11, s6, 1
	s_add_i32 s12, s11, -13
	v_mov_b32_e32 v86, s10
	s_add_i32 s13, s11, -14
	s_set_gpr_idx_on s12, gpr_idx(SRC0)
	v_mov_b32_e32 v93, v26
	s_set_gpr_idx_off
	s_set_gpr_idx_on s13, gpr_idx(SRC0)
	v_mov_b32_e32 v92, v26
	s_set_gpr_idx_off
	ds_read2_b64 v[88:91], v86 offset1:1
	s_add_i32 s12, s11, -11
	s_add_i32 s13, s11, -12
	;; [unrolled: 1-line block ×4, first 2 shown]
	s_waitcnt lgkmcnt(0)
	v_fma_f64 v[82:83], v[92:93], v[88:89], v[82:83]
	s_set_gpr_idx_on s12, gpr_idx(SRC0)
	v_mov_b32_e32 v89, v26
	s_set_gpr_idx_off
	s_set_gpr_idx_on s13, gpr_idx(SRC0)
	v_mov_b32_e32 v88, v26
	s_set_gpr_idx_off
	s_add_i32 s12, s11, -7
	s_add_i32 s13, s11, -8
	v_fma_f64 v[82:83], v[88:89], v[90:91], v[82:83]
	s_set_gpr_idx_on s14, gpr_idx(SRC0)
	v_mov_b32_e32 v93, v26
	s_set_gpr_idx_off
	s_set_gpr_idx_on s15, gpr_idx(SRC0)
	v_mov_b32_e32 v92, v26
	s_set_gpr_idx_off
	ds_read2_b64 v[88:91], v86 offset0:2 offset1:3
	s_add_i32 s14, s11, -5
	s_add_i32 s15, s11, -6
	s_waitcnt lgkmcnt(0)
	v_fma_f64 v[82:83], v[92:93], v[88:89], v[82:83]
	s_set_gpr_idx_on s12, gpr_idx(SRC0)
	v_mov_b32_e32 v89, v26
	s_set_gpr_idx_off
	s_set_gpr_idx_on s13, gpr_idx(SRC0)
	v_mov_b32_e32 v88, v26
	s_set_gpr_idx_off
	s_add_i32 s12, s11, -3
	s_add_i32 s13, s11, -4
	v_fma_f64 v[82:83], v[88:89], v[90:91], v[82:83]
	s_set_gpr_idx_on s14, gpr_idx(SRC0)
	v_mov_b32_e32 v93, v26
	s_set_gpr_idx_off
	s_set_gpr_idx_on s15, gpr_idx(SRC0)
	v_mov_b32_e32 v92, v26
	s_set_gpr_idx_off
	ds_read2_b64 v[88:91], v86 offset0:4 offset1:5
	s_add_i32 s14, s11, -1
	s_add_i32 s15, s11, -2
	s_add_u32 s6, s6, 8
	s_addc_u32 s7, s7, 0
	s_waitcnt lgkmcnt(0)
	v_fma_f64 v[82:83], v[92:93], v[88:89], v[82:83]
	s_set_gpr_idx_on s12, gpr_idx(SRC0)
	v_mov_b32_e32 v89, v26
	s_set_gpr_idx_off
	s_set_gpr_idx_on s13, gpr_idx(SRC0)
	v_mov_b32_e32 v88, v26
	s_set_gpr_idx_off
	s_add_i32 s10, s10, 64
	v_fma_f64 v[82:83], v[88:89], v[90:91], v[82:83]
	s_set_gpr_idx_on s14, gpr_idx(SRC0)
	v_mov_b32_e32 v93, v26
	s_set_gpr_idx_off
	s_set_gpr_idx_on s15, gpr_idx(SRC0)
	v_mov_b32_e32 v92, v26
	s_set_gpr_idx_off
	ds_read2_b64 v[88:91], v86 offset0:6 offset1:7
	v_add_u32_e32 v86, s6, v87
	v_cmp_eq_u32_e32 vcc, 10, v86
	s_waitcnt lgkmcnt(0)
	v_fma_f64 v[82:83], v[92:93], v[88:89], v[82:83]
	s_set_gpr_idx_on s11, gpr_idx(SRC0)
	v_mov_b32_e32 v89, v27
	v_mov_b32_e32 v88, v26
	s_set_gpr_idx_off
	s_add_i32 s11, s6, -7
	s_or_b64 s[8:9], vcc, s[8:9]
	v_mov_b32_e32 v86, s11
	v_fma_f64 v[82:83], v[88:89], v[90:91], v[82:83]
	s_andn2_b64 exec, exec, s[8:9]
	s_cbranch_execnz .LBB11_121
; %bb.122:
	s_or_b64 exec, exec, s[8:9]
.LBB11_123:
	s_or_b64 exec, exec, s[2:3]
	v_and_b32_e32 v50, 7, v85
	v_cmp_ne_u32_e32 vcc, 0, v50
	s_and_saveexec_b64 s[6:7], vcc
	s_cbranch_execz .LBB11_127
; %bb.124:
	v_mov_b32_e32 v51, 0x60
	v_lshl_add_u32 v51, v86, 3, v51
	v_mov_b32_e32 v52, 0
	s_mov_b64 s[8:9], 0
.LBB11_125:                             ; =>This Inner Loop Header: Depth=1
	v_cmp_eq_u32_e32 vcc, 1, v86
	v_cndmask_b32_e32 v55, v27, v29, vcc
	v_cmp_eq_u32_e64 s[2:3], 2, v86
	v_cndmask_b32_e64 v55, v55, v31, s[2:3]
	v_cndmask_b32_e32 v56, v26, v28, vcc
	v_cmp_eq_u32_e32 vcc, 3, v86
	v_cndmask_b32_e32 v55, v55, v33, vcc
	v_cndmask_b32_e64 v56, v56, v30, s[2:3]
	v_cmp_eq_u32_e64 s[2:3], 4, v86
	v_cndmask_b32_e64 v55, v55, v35, s[2:3]
	v_cndmask_b32_e32 v56, v56, v32, vcc
	v_cmp_eq_u32_e32 vcc, 5, v86
	v_cndmask_b32_e32 v55, v55, v37, vcc
	v_cndmask_b32_e64 v56, v56, v34, s[2:3]
	;; [unrolled: 6-line block ×3, first 2 shown]
	v_cmp_eq_u32_e64 s[2:3], 8, v86
	ds_read_b64 v[53:54], v51
	v_cndmask_b32_e64 v55, v55, v43, s[2:3]
	v_cndmask_b32_e32 v56, v56, v40, vcc
	v_cmp_eq_u32_e32 vcc, 9, v86
	v_cndmask_b32_e32 v55, v55, v45, vcc
	v_cndmask_b32_e64 v56, v56, v42, s[2:3]
	v_cmp_eq_u32_e64 s[2:3], 10, v86
	v_cndmask_b32_e64 v55, v55, v47, s[2:3]
	v_cndmask_b32_e32 v57, v56, v44, vcc
	v_cmp_eq_u32_e32 vcc, 11, v86
	v_cndmask_b32_e32 v56, v55, v49, vcc
	v_cndmask_b32_e64 v55, v57, v46, s[2:3]
	v_cndmask_b32_e32 v55, v55, v48, vcc
	s_waitcnt lgkmcnt(0)
	v_fma_f64 v[82:83], v[55:56], v[53:54], v[82:83]
	v_add_u32_e32 v50, -1, v50
	v_cmp_eq_u32_e32 vcc, 0, v50
	s_or_b64 s[8:9], vcc, s[8:9]
	v_add_co_u32_e32 v86, vcc, 1, v86
	v_add_u32_e32 v51, 8, v51
	v_addc_co_u32_e32 v52, vcc, 0, v52, vcc
	s_andn2_b64 exec, exec, s[8:9]
	s_cbranch_execnz .LBB11_125
; %bb.126:
	s_or_b64 exec, exec, s[8:9]
.LBB11_127:
	s_or_b64 exec, exec, s[6:7]
.LBB11_128:
	s_or_b64 exec, exec, s[4:5]
	v_mov_b32_e32 v30, 0
	ds_read_b64 v[30:31], v30 offset:16
	s_waitcnt lgkmcnt(0)
	v_mul_f64 v[30:31], v[82:83], v[30:31]
.LBB11_129:
	s_or_b64 exec, exec, s[24:25]
	v_cmp_lt_u32_e64 s[2:3], 1, v0
	ds_write_b64 v84, v[28:29]
	s_waitcnt lgkmcnt(0)
	; wave barrier
	s_and_saveexec_b64 s[24:25], s[2:3]
	s_cbranch_execz .LBB11_145
; %bb.130:
	s_andn2_b64 vcc, exec, s[26:27]
	s_cbranch_vccnz .LBB11_132
; %bb.131:
	v_cmp_eq_u32_e32 vcc, 1, v0
	v_cndmask_b32_e32 v82, v27, v29, vcc
	v_cmp_eq_u32_e64 s[4:5], 2, v0
	v_cndmask_b32_e64 v82, v82, v31, s[4:5]
	v_cmp_eq_u32_e64 s[6:7], 3, v0
	v_cndmask_b32_e64 v82, v82, v33, s[6:7]
	;; [unrolled: 2-line block ×10, first 2 shown]
	v_cndmask_b32_e32 v82, v26, v28, vcc
	v_cndmask_b32_e64 v82, v82, v30, s[4:5]
	v_cndmask_b32_e64 v82, v82, v32, s[6:7]
	;; [unrolled: 1-line block ×6, first 2 shown]
	ds_read_b64 v[85:86], v84
	v_cndmask_b32_e64 v82, v82, v42, s[16:17]
	v_cndmask_b32_e64 v82, v82, v44, s[18:19]
	;; [unrolled: 1-line block ×4, first 2 shown]
	s_waitcnt lgkmcnt(0)
	v_mul_f64 v[82:83], v[82:83], v[85:86]
	s_cbranch_execz .LBB11_133
	s_branch .LBB11_134
.LBB11_132:
                                        ; implicit-def: $vgpr82_vgpr83
.LBB11_133:
	ds_read_b64 v[82:83], v84
.LBB11_134:
	s_and_saveexec_b64 s[4:5], s[0:1]
	s_cbranch_execz .LBB11_144
; %bb.135:
	v_add_u32_e32 v86, -3, v0
	v_add_u32_e32 v85, -2, v0
	v_cmp_lt_u32_e32 vcc, 6, v86
	v_mov_b32_e32 v86, 2
	s_and_saveexec_b64 s[0:1], vcc
	s_cbranch_execz .LBB11_139
; %bb.136:
	v_and_b32_e32 v86, -8, v85
	v_sub_u32_e32 v87, 0, v86
	s_mov_b64 s[6:7], 9
	s_movk_i32 s10, 0x70
	s_mov_b64 s[8:9], 0
.LBB11_137:                             ; =>This Inner Loop Header: Depth=1
	s_lshl_b32 s11, s6, 1
	s_add_i32 s12, s11, -13
	v_mov_b32_e32 v86, s10
	s_add_i32 s13, s11, -14
	s_set_gpr_idx_on s12, gpr_idx(SRC0)
	v_mov_b32_e32 v97, v26
	s_set_gpr_idx_off
	s_set_gpr_idx_on s13, gpr_idx(SRC0)
	v_mov_b32_e32 v96, v26
	s_set_gpr_idx_off
	ds_read_b128 v[88:91], v86
	ds_read_b128 v[92:95], v86 offset:16
	s_add_i32 s12, s11, -11
	s_add_i32 s13, s11, -12
	s_waitcnt lgkmcnt(1)
	v_fma_f64 v[82:83], v[96:97], v[88:89], v[82:83]
	ds_read_b128 v[96:99], v86 offset:32
	ds_read_b128 v[100:103], v86 offset:48
	s_set_gpr_idx_on s12, gpr_idx(SRC0)
	v_mov_b32_e32 v89, v26
	s_set_gpr_idx_off
	s_set_gpr_idx_on s13, gpr_idx(SRC0)
	v_mov_b32_e32 v88, v26
	s_set_gpr_idx_off
	s_add_i32 s12, s11, -9
	s_add_i32 s13, s11, -10
	v_fma_f64 v[82:83], v[88:89], v[90:91], v[82:83]
	s_set_gpr_idx_on s12, gpr_idx(SRC0)
	v_mov_b32_e32 v89, v26
	s_set_gpr_idx_off
	s_set_gpr_idx_on s13, gpr_idx(SRC0)
	v_mov_b32_e32 v88, v26
	s_set_gpr_idx_off
	s_add_i32 s12, s11, -7
	s_add_i32 s13, s11, -8
	s_waitcnt lgkmcnt(2)
	v_fma_f64 v[82:83], v[88:89], v[92:93], v[82:83]
	s_set_gpr_idx_on s12, gpr_idx(SRC0)
	v_mov_b32_e32 v89, v26
	s_set_gpr_idx_off
	s_set_gpr_idx_on s13, gpr_idx(SRC0)
	v_mov_b32_e32 v88, v26
	s_set_gpr_idx_off
	s_add_i32 s12, s11, -5
	s_add_i32 s13, s11, -6
	v_fma_f64 v[82:83], v[88:89], v[94:95], v[82:83]
	s_set_gpr_idx_on s12, gpr_idx(SRC0)
	v_mov_b32_e32 v89, v26
	s_set_gpr_idx_off
	s_set_gpr_idx_on s13, gpr_idx(SRC0)
	v_mov_b32_e32 v88, v26
	s_set_gpr_idx_off
	s_add_i32 s12, s11, -3
	s_add_i32 s13, s11, -4
	s_waitcnt lgkmcnt(1)
	v_fma_f64 v[82:83], v[88:89], v[96:97], v[82:83]
	s_set_gpr_idx_on s12, gpr_idx(SRC0)
	v_mov_b32_e32 v89, v26
	s_set_gpr_idx_off
	s_set_gpr_idx_on s13, gpr_idx(SRC0)
	v_mov_b32_e32 v88, v26
	s_set_gpr_idx_off
	s_add_i32 s12, s11, -1
	s_add_i32 s13, s11, -2
	s_add_u32 s6, s6, 8
	v_add_u32_e32 v86, s6, v87
	s_addc_u32 s7, s7, 0
	v_fma_f64 v[82:83], v[88:89], v[98:99], v[82:83]
	s_set_gpr_idx_on s12, gpr_idx(SRC0)
	v_mov_b32_e32 v89, v26
	s_set_gpr_idx_off
	s_set_gpr_idx_on s13, gpr_idx(SRC0)
	v_mov_b32_e32 v88, v26
	s_set_gpr_idx_off
	s_add_i32 s10, s10, 64
	v_cmp_eq_u32_e32 vcc, 9, v86
	s_waitcnt lgkmcnt(0)
	v_fma_f64 v[82:83], v[88:89], v[100:101], v[82:83]
	s_set_gpr_idx_on s11, gpr_idx(SRC0)
	v_mov_b32_e32 v89, v27
	v_mov_b32_e32 v88, v26
	s_set_gpr_idx_off
	s_add_i32 s11, s6, -7
	s_or_b64 s[8:9], vcc, s[8:9]
	v_mov_b32_e32 v86, s11
	v_fma_f64 v[82:83], v[88:89], v[102:103], v[82:83]
	s_andn2_b64 exec, exec, s[8:9]
	s_cbranch_execnz .LBB11_137
; %bb.138:
	s_or_b64 exec, exec, s[8:9]
.LBB11_139:
	s_or_b64 exec, exec, s[0:1]
	v_and_b32_e32 v50, 7, v85
	v_cmp_ne_u32_e32 vcc, 0, v50
	s_and_saveexec_b64 s[6:7], vcc
	s_cbranch_execz .LBB11_143
; %bb.140:
	v_mov_b32_e32 v51, 0x60
	v_lshl_add_u32 v51, v86, 3, v51
	v_mov_b32_e32 v52, 0
	s_mov_b64 s[8:9], 0
.LBB11_141:                             ; =>This Inner Loop Header: Depth=1
	v_cmp_eq_u32_e32 vcc, 1, v86
	v_cndmask_b32_e32 v55, v27, v29, vcc
	v_cmp_eq_u32_e64 s[0:1], 2, v86
	v_cndmask_b32_e64 v55, v55, v31, s[0:1]
	v_cndmask_b32_e32 v56, v26, v28, vcc
	v_cmp_eq_u32_e32 vcc, 3, v86
	v_cndmask_b32_e32 v55, v55, v33, vcc
	v_cndmask_b32_e64 v56, v56, v30, s[0:1]
	v_cmp_eq_u32_e64 s[0:1], 4, v86
	v_cndmask_b32_e64 v55, v55, v35, s[0:1]
	v_cndmask_b32_e32 v56, v56, v32, vcc
	v_cmp_eq_u32_e32 vcc, 5, v86
	v_cndmask_b32_e32 v55, v55, v37, vcc
	v_cndmask_b32_e64 v56, v56, v34, s[0:1]
	;; [unrolled: 6-line block ×3, first 2 shown]
	v_cmp_eq_u32_e64 s[0:1], 8, v86
	ds_read_b64 v[53:54], v51
	v_cndmask_b32_e64 v55, v55, v43, s[0:1]
	v_cndmask_b32_e32 v56, v56, v40, vcc
	v_cmp_eq_u32_e32 vcc, 9, v86
	v_cndmask_b32_e32 v55, v55, v45, vcc
	v_cndmask_b32_e64 v56, v56, v42, s[0:1]
	v_cmp_eq_u32_e64 s[0:1], 10, v86
	v_cndmask_b32_e64 v55, v55, v47, s[0:1]
	v_cndmask_b32_e32 v57, v56, v44, vcc
	v_cmp_eq_u32_e32 vcc, 11, v86
	v_cndmask_b32_e32 v56, v55, v49, vcc
	v_cndmask_b32_e64 v55, v57, v46, s[0:1]
	v_cndmask_b32_e32 v55, v55, v48, vcc
	s_waitcnt lgkmcnt(0)
	v_fma_f64 v[82:83], v[55:56], v[53:54], v[82:83]
	v_add_u32_e32 v50, -1, v50
	v_cmp_eq_u32_e32 vcc, 0, v50
	s_or_b64 s[8:9], vcc, s[8:9]
	v_add_co_u32_e32 v86, vcc, 1, v86
	v_add_u32_e32 v51, 8, v51
	v_addc_co_u32_e32 v52, vcc, 0, v52, vcc
	s_andn2_b64 exec, exec, s[8:9]
	s_cbranch_execnz .LBB11_141
; %bb.142:
	s_or_b64 exec, exec, s[8:9]
.LBB11_143:
	s_or_b64 exec, exec, s[6:7]
.LBB11_144:
	s_or_b64 exec, exec, s[4:5]
	v_mov_b32_e32 v28, 0
	ds_read_b64 v[28:29], v28 offset:8
	s_waitcnt lgkmcnt(0)
	v_mul_f64 v[28:29], v[82:83], v[28:29]
.LBB11_145:
	s_or_b64 exec, exec, s[24:25]
	v_cmp_ne_u32_e32 vcc, 0, v0
	ds_write_b64 v84, v[26:27]
	s_waitcnt lgkmcnt(0)
	; wave barrier
	s_and_saveexec_b64 s[22:23], vcc
	s_cbranch_execz .LBB11_161
; %bb.146:
	s_andn2_b64 vcc, exec, s[26:27]
	s_cbranch_vccnz .LBB11_148
; %bb.147:
	v_cmp_eq_u32_e32 vcc, 1, v0
	v_cndmask_b32_e32 v82, v27, v29, vcc
	v_cmp_eq_u32_e64 s[0:1], 2, v0
	v_cndmask_b32_e64 v82, v82, v31, s[0:1]
	v_cmp_eq_u32_e64 s[4:5], 3, v0
	v_cndmask_b32_e64 v82, v82, v33, s[4:5]
	;; [unrolled: 2-line block ×10, first 2 shown]
	v_cndmask_b32_e32 v82, v26, v28, vcc
	v_cndmask_b32_e64 v82, v82, v30, s[0:1]
	v_cndmask_b32_e64 v82, v82, v32, s[4:5]
	;; [unrolled: 1-line block ×6, first 2 shown]
	ds_read_b64 v[85:86], v84
	v_cndmask_b32_e64 v82, v82, v42, s[14:15]
	v_cndmask_b32_e64 v82, v82, v44, s[16:17]
	v_cndmask_b32_e64 v82, v82, v46, s[18:19]
	v_cndmask_b32_e64 v82, v82, v48, s[20:21]
	s_waitcnt lgkmcnt(0)
	v_mul_f64 v[82:83], v[82:83], v[85:86]
	s_cbranch_execz .LBB11_149
	s_branch .LBB11_150
.LBB11_148:
                                        ; implicit-def: $vgpr82_vgpr83
.LBB11_149:
	ds_read_b64 v[82:83], v84
.LBB11_150:
	s_and_saveexec_b64 s[4:5], s[2:3]
	s_cbranch_execz .LBB11_160
; %bb.151:
	v_add_u32_e32 v86, -2, v0
	v_add_u32_e32 v85, -1, v0
	v_cmp_lt_u32_e32 vcc, 6, v86
	v_mov_b32_e32 v86, 1
	s_and_saveexec_b64 s[0:1], vcc
	s_cbranch_execz .LBB11_155
; %bb.152:
	v_and_b32_e32 v86, -8, v85
	v_sub_u32_e32 v87, 0, v86
	s_mov_b64 s[2:3], 8
	s_movk_i32 s8, 0x68
	s_mov_b64 s[6:7], 0
.LBB11_153:                             ; =>This Inner Loop Header: Depth=1
	s_lshl_b32 s9, s2, 1
	s_add_i32 s10, s9, -13
	v_mov_b32_e32 v86, s8
	s_add_i32 s11, s9, -14
	s_set_gpr_idx_on s10, gpr_idx(SRC0)
	v_mov_b32_e32 v93, v26
	s_set_gpr_idx_off
	s_set_gpr_idx_on s11, gpr_idx(SRC0)
	v_mov_b32_e32 v92, v26
	s_set_gpr_idx_off
	ds_read2_b64 v[88:91], v86 offset1:1
	s_add_i32 s10, s9, -11
	s_add_i32 s11, s9, -12
	;; [unrolled: 1-line block ×4, first 2 shown]
	s_waitcnt lgkmcnt(0)
	v_fma_f64 v[82:83], v[92:93], v[88:89], v[82:83]
	s_set_gpr_idx_on s10, gpr_idx(SRC0)
	v_mov_b32_e32 v89, v26
	s_set_gpr_idx_off
	s_set_gpr_idx_on s11, gpr_idx(SRC0)
	v_mov_b32_e32 v88, v26
	s_set_gpr_idx_off
	s_add_i32 s10, s9, -7
	s_add_i32 s11, s9, -8
	v_fma_f64 v[82:83], v[88:89], v[90:91], v[82:83]
	s_set_gpr_idx_on s12, gpr_idx(SRC0)
	v_mov_b32_e32 v93, v26
	s_set_gpr_idx_off
	s_set_gpr_idx_on s13, gpr_idx(SRC0)
	v_mov_b32_e32 v92, v26
	s_set_gpr_idx_off
	ds_read2_b64 v[88:91], v86 offset0:2 offset1:3
	s_add_i32 s12, s9, -5
	s_add_i32 s13, s9, -6
	s_waitcnt lgkmcnt(0)
	v_fma_f64 v[82:83], v[92:93], v[88:89], v[82:83]
	s_set_gpr_idx_on s10, gpr_idx(SRC0)
	v_mov_b32_e32 v89, v26
	s_set_gpr_idx_off
	s_set_gpr_idx_on s11, gpr_idx(SRC0)
	v_mov_b32_e32 v88, v26
	s_set_gpr_idx_off
	s_add_i32 s10, s9, -3
	s_add_i32 s11, s9, -4
	v_fma_f64 v[82:83], v[88:89], v[90:91], v[82:83]
	s_set_gpr_idx_on s12, gpr_idx(SRC0)
	v_mov_b32_e32 v93, v26
	s_set_gpr_idx_off
	s_set_gpr_idx_on s13, gpr_idx(SRC0)
	v_mov_b32_e32 v92, v26
	s_set_gpr_idx_off
	ds_read2_b64 v[88:91], v86 offset0:4 offset1:5
	s_add_i32 s12, s9, -1
	s_add_i32 s13, s9, -2
	s_add_u32 s2, s2, 8
	s_addc_u32 s3, s3, 0
	s_waitcnt lgkmcnt(0)
	v_fma_f64 v[82:83], v[92:93], v[88:89], v[82:83]
	s_set_gpr_idx_on s10, gpr_idx(SRC0)
	v_mov_b32_e32 v89, v26
	s_set_gpr_idx_off
	s_set_gpr_idx_on s11, gpr_idx(SRC0)
	v_mov_b32_e32 v88, v26
	s_set_gpr_idx_off
	s_add_i32 s8, s8, 64
	v_fma_f64 v[82:83], v[88:89], v[90:91], v[82:83]
	s_set_gpr_idx_on s12, gpr_idx(SRC0)
	v_mov_b32_e32 v93, v26
	s_set_gpr_idx_off
	s_set_gpr_idx_on s13, gpr_idx(SRC0)
	v_mov_b32_e32 v92, v26
	s_set_gpr_idx_off
	ds_read2_b64 v[88:91], v86 offset0:6 offset1:7
	v_add_u32_e32 v86, s2, v87
	v_cmp_eq_u32_e32 vcc, 8, v86
	s_waitcnt lgkmcnt(0)
	v_fma_f64 v[82:83], v[92:93], v[88:89], v[82:83]
	s_set_gpr_idx_on s9, gpr_idx(SRC0)
	v_mov_b32_e32 v89, v27
	v_mov_b32_e32 v88, v26
	s_set_gpr_idx_off
	s_add_i32 s9, s2, -7
	s_or_b64 s[6:7], vcc, s[6:7]
	v_mov_b32_e32 v86, s9
	v_fma_f64 v[82:83], v[88:89], v[90:91], v[82:83]
	s_andn2_b64 exec, exec, s[6:7]
	s_cbranch_execnz .LBB11_153
; %bb.154:
	s_or_b64 exec, exec, s[6:7]
.LBB11_155:
	s_or_b64 exec, exec, s[0:1]
	v_and_b32_e32 v50, 7, v85
	v_cmp_ne_u32_e32 vcc, 0, v50
	s_and_saveexec_b64 s[2:3], vcc
	s_cbranch_execz .LBB11_159
; %bb.156:
	v_mov_b32_e32 v51, 0x60
	v_lshl_add_u32 v51, v86, 3, v51
	v_mov_b32_e32 v52, 0
	s_mov_b64 s[6:7], 0
.LBB11_157:                             ; =>This Inner Loop Header: Depth=1
	v_cmp_eq_u32_e32 vcc, 1, v86
	v_cndmask_b32_e32 v55, v27, v29, vcc
	v_cmp_eq_u32_e64 s[0:1], 2, v86
	v_cndmask_b32_e64 v55, v55, v31, s[0:1]
	v_cndmask_b32_e32 v56, v26, v28, vcc
	v_cmp_eq_u32_e32 vcc, 3, v86
	v_cndmask_b32_e32 v55, v55, v33, vcc
	v_cndmask_b32_e64 v56, v56, v30, s[0:1]
	v_cmp_eq_u32_e64 s[0:1], 4, v86
	v_cndmask_b32_e64 v55, v55, v35, s[0:1]
	v_cndmask_b32_e32 v56, v56, v32, vcc
	v_cmp_eq_u32_e32 vcc, 5, v86
	v_cndmask_b32_e32 v55, v55, v37, vcc
	v_cndmask_b32_e64 v56, v56, v34, s[0:1]
	;; [unrolled: 6-line block ×3, first 2 shown]
	v_cmp_eq_u32_e64 s[0:1], 8, v86
	ds_read_b64 v[53:54], v51
	v_cndmask_b32_e64 v55, v55, v43, s[0:1]
	v_cndmask_b32_e32 v56, v56, v40, vcc
	v_cmp_eq_u32_e32 vcc, 9, v86
	v_cndmask_b32_e32 v55, v55, v45, vcc
	v_cndmask_b32_e64 v56, v56, v42, s[0:1]
	v_cmp_eq_u32_e64 s[0:1], 10, v86
	v_cndmask_b32_e64 v55, v55, v47, s[0:1]
	v_cndmask_b32_e32 v57, v56, v44, vcc
	v_cmp_eq_u32_e32 vcc, 11, v86
	v_cndmask_b32_e32 v56, v55, v49, vcc
	v_cndmask_b32_e64 v55, v57, v46, s[0:1]
	v_cndmask_b32_e32 v55, v55, v48, vcc
	s_waitcnt lgkmcnt(0)
	v_fma_f64 v[82:83], v[55:56], v[53:54], v[82:83]
	v_add_u32_e32 v50, -1, v50
	v_cmp_eq_u32_e32 vcc, 0, v50
	s_or_b64 s[6:7], vcc, s[6:7]
	v_add_co_u32_e32 v86, vcc, 1, v86
	v_add_u32_e32 v51, 8, v51
	v_addc_co_u32_e32 v52, vcc, 0, v52, vcc
	s_andn2_b64 exec, exec, s[6:7]
	s_cbranch_execnz .LBB11_157
; %bb.158:
	s_or_b64 exec, exec, s[6:7]
.LBB11_159:
	s_or_b64 exec, exec, s[2:3]
.LBB11_160:
	s_or_b64 exec, exec, s[4:5]
	v_mov_b32_e32 v26, 0
	ds_read_b64 v[26:27], v26
	s_waitcnt lgkmcnt(0)
	v_mul_f64 v[26:27], v[82:83], v[26:27]
.LBB11_161:
	s_or_b64 exec, exec, s[22:23]
	s_branch .LBB11_275
.LBB11_162:
	v_cmp_eq_u32_e64 s[2:3], 0, v0
	s_waitcnt vmcnt(11)
	ds_write_b64 v84, v[4:5]
	s_waitcnt lgkmcnt(0)
	; wave barrier
	s_and_saveexec_b64 s[22:23], s[2:3]
	s_cbranch_execz .LBB11_168
; %bb.163:
	s_and_b64 vcc, exec, s[26:27]
	s_cbranch_vccz .LBB11_165
; %bb.164:
	v_cmp_eq_u32_e32 vcc, 1, v0
	s_waitcnt vmcnt(3)
	v_cndmask_b32_e32 v5, v3, v5, vcc
	v_cmp_eq_u32_e64 s[0:1], 2, v0
	v_cndmask_b32_e32 v4, v2, v4, vcc
	v_cndmask_b32_e64 v5, v5, v7, s[0:1]
	v_cmp_eq_u32_e64 s[4:5], 3, v0
	v_cndmask_b32_e64 v4, v4, v6, s[0:1]
	v_cndmask_b32_e64 v5, v5, v9, s[4:5]
	v_cmp_eq_u32_e64 s[6:7], 4, v0
	v_cndmask_b32_e64 v4, v4, v8, s[4:5]
	;; [unrolled: 3-line block ×6, first 2 shown]
	ds_read_b64 v[26:27], v84
	v_cndmask_b32_e64 v5, v5, v19, s[14:15]
	v_cmp_eq_u32_e64 s[16:17], 9, v0
	v_cndmask_b32_e64 v4, v4, v18, s[14:15]
	s_waitcnt vmcnt(2)
	v_cndmask_b32_e64 v5, v5, v21, s[16:17]
	v_cmp_eq_u32_e64 s[18:19], 10, v0
	v_cndmask_b32_e64 v4, v4, v20, s[16:17]
	s_waitcnt vmcnt(1)
	;; [unrolled: 4-line block ×3, first 2 shown]
	v_cndmask_b32_e64 v5, v5, v25, s[20:21]
	v_cndmask_b32_e64 v4, v4, v24, s[20:21]
	s_waitcnt lgkmcnt(0)
	v_mul_f64 v[4:5], v[4:5], v[26:27]
	s_cbranch_execz .LBB11_166
	s_branch .LBB11_167
.LBB11_165:
                                        ; implicit-def: $vgpr4_vgpr5
.LBB11_166:
	ds_read_b64 v[4:5], v84
.LBB11_167:
	v_mov_b32_e32 v26, 0
	ds_read_b64 v[26:27], v26 offset:8
	s_waitcnt lgkmcnt(0)
	v_mul_f64 v[4:5], v[4:5], v[26:27]
.LBB11_168:
	s_or_b64 exec, exec, s[22:23]
	v_cndmask_b32_e64 v26, 0, 1, s[26:27]
	v_cmp_gt_u32_e32 vcc, 2, v0
	v_cmp_ne_u32_e64 s[0:1], 1, v26
	s_waitcnt vmcnt(10)
	ds_write_b64 v84, v[6:7]
	s_waitcnt lgkmcnt(0)
	; wave barrier
	s_and_saveexec_b64 s[24:25], vcc
	s_cbranch_execz .LBB11_174
; %bb.169:
	s_and_b64 vcc, exec, s[0:1]
	s_cbranch_vccnz .LBB11_171
; %bb.170:
	v_cmp_eq_u32_e32 vcc, 1, v0
	s_waitcnt vmcnt(3)
	v_cndmask_b32_e32 v26, v3, v5, vcc
	v_cmp_eq_u32_e64 s[4:5], 2, v0
	v_cndmask_b32_e64 v7, v26, v7, s[4:5]
	v_cndmask_b32_e32 v26, v2, v4, vcc
	v_cmp_eq_u32_e64 s[6:7], 3, v0
	v_cndmask_b32_e64 v6, v26, v6, s[4:5]
	v_cndmask_b32_e64 v7, v7, v9, s[6:7]
	v_cmp_eq_u32_e64 s[8:9], 4, v0
	v_cndmask_b32_e64 v6, v6, v8, s[6:7]
	v_cndmask_b32_e64 v7, v7, v11, s[8:9]
	;; [unrolled: 3-line block ×5, first 2 shown]
	v_cmp_eq_u32_e64 s[16:17], 8, v0
	v_cndmask_b32_e64 v6, v6, v16, s[14:15]
	ds_read_b64 v[26:27], v84
	v_cndmask_b32_e64 v7, v7, v19, s[16:17]
	v_cmp_eq_u32_e64 s[18:19], 9, v0
	v_cndmask_b32_e64 v6, v6, v18, s[16:17]
	s_waitcnt vmcnt(2)
	v_cndmask_b32_e64 v7, v7, v21, s[18:19]
	v_cmp_eq_u32_e64 s[20:21], 10, v0
	v_cndmask_b32_e64 v6, v6, v20, s[18:19]
	s_waitcnt vmcnt(1)
	;; [unrolled: 4-line block ×3, first 2 shown]
	v_cndmask_b32_e64 v7, v7, v25, s[22:23]
	v_cndmask_b32_e64 v6, v6, v24, s[22:23]
	s_waitcnt lgkmcnt(0)
	v_mul_f64 v[6:7], v[6:7], v[26:27]
	s_cbranch_execz .LBB11_172
	s_branch .LBB11_173
.LBB11_171:
                                        ; implicit-def: $vgpr6_vgpr7
.LBB11_172:
	ds_read_b64 v[6:7], v84
.LBB11_173:
	v_mov_b32_e32 v26, 0
	ds_read2_b64 v[26:29], v26 offset0:2 offset1:13
	s_waitcnt lgkmcnt(0)
	v_fma_f64 v[28:29], v[4:5], v[28:29], v[6:7]
	v_cndmask_b32_e64 v7, v7, v29, s[2:3]
	v_cndmask_b32_e64 v6, v6, v28, s[2:3]
	v_mul_f64 v[6:7], v[6:7], v[26:27]
.LBB11_174:
	s_or_b64 exec, exec, s[24:25]
	v_add_u32_e32 v30, 1, v0
	v_cmp_gt_u32_e64 s[4:5], 3, v0
	s_waitcnt vmcnt(9)
	ds_write_b64 v84, v[8:9]
	s_waitcnt lgkmcnt(0)
	; wave barrier
	s_and_saveexec_b64 s[26:27], s[4:5]
	s_cbranch_execz .LBB11_182
; %bb.175:
	s_and_b64 vcc, exec, s[0:1]
	s_cbranch_vccnz .LBB11_177
; %bb.176:
	v_cmp_eq_u32_e32 vcc, 1, v0
	s_waitcnt vmcnt(3)
	v_cndmask_b32_e32 v26, v3, v5, vcc
	v_cmp_eq_u32_e64 s[6:7], 2, v0
	v_cndmask_b32_e64 v26, v26, v7, s[6:7]
	v_cmp_eq_u32_e64 s[8:9], 3, v0
	v_cndmask_b32_e64 v26, v26, v9, s[8:9]
	;; [unrolled: 2-line block ×7, first 2 shown]
	v_cmp_eq_u32_e64 s[20:21], 9, v0
	s_waitcnt vmcnt(2)
	v_cndmask_b32_e64 v26, v26, v21, s[20:21]
	v_cmp_eq_u32_e64 s[22:23], 10, v0
	s_waitcnt vmcnt(1)
	v_cndmask_b32_e64 v26, v26, v23, s[22:23]
	;; [unrolled: 3-line block ×3, first 2 shown]
	v_cndmask_b32_e32 v26, v2, v4, vcc
	v_cndmask_b32_e64 v26, v26, v6, s[6:7]
	v_cndmask_b32_e64 v26, v26, v8, s[8:9]
	;; [unrolled: 1-line block ×6, first 2 shown]
	ds_read_b64 v[28:29], v84
	v_cndmask_b32_e64 v26, v26, v18, s[18:19]
	v_cndmask_b32_e64 v26, v26, v20, s[20:21]
	;; [unrolled: 1-line block ×4, first 2 shown]
	s_waitcnt lgkmcnt(0)
	v_mul_f64 v[26:27], v[26:27], v[28:29]
	s_cbranch_execz .LBB11_178
	s_branch .LBB11_179
.LBB11_177:
                                        ; implicit-def: $vgpr26_vgpr27
.LBB11_178:
	ds_read_b64 v[26:27], v84
.LBB11_179:
	v_cmp_ne_u32_e32 vcc, 2, v0
	s_and_saveexec_b64 s[28:29], vcc
	s_cbranch_execz .LBB11_181
; %bb.180:
	v_cmp_eq_u32_e32 vcc, 1, v30
	s_waitcnt vmcnt(3)
	v_cndmask_b32_e32 v28, v3, v5, vcc
	v_cmp_eq_u32_e64 s[6:7], 2, v30
	v_cndmask_b32_e64 v28, v28, v7, s[6:7]
	v_cmp_eq_u32_e64 s[8:9], 3, v30
	v_cndmask_b32_e64 v9, v28, v9, s[8:9]
	v_cndmask_b32_e32 v28, v2, v4, vcc
	v_cndmask_b32_e64 v28, v28, v6, s[6:7]
	v_cmp_eq_u32_e64 s[10:11], 4, v30
	v_cndmask_b32_e64 v8, v28, v8, s[8:9]
	v_cndmask_b32_e64 v9, v9, v11, s[10:11]
	v_cmp_eq_u32_e64 s[12:13], 5, v30
	v_cndmask_b32_e64 v8, v8, v10, s[10:11]
	;; [unrolled: 3-line block ×5, first 2 shown]
	ds_read_b64 v[28:29], v84 offset:8
	v_cndmask_b32_e64 v9, v9, v19, s[18:19]
	v_cmp_eq_u32_e64 s[20:21], 9, v30
	v_cndmask_b32_e64 v8, v8, v18, s[18:19]
	s_waitcnt vmcnt(2)
	v_cndmask_b32_e64 v9, v9, v21, s[20:21]
	v_cmp_eq_u32_e64 s[22:23], 10, v30
	v_cndmask_b32_e64 v8, v8, v20, s[20:21]
	s_waitcnt vmcnt(1)
	;; [unrolled: 4-line block ×3, first 2 shown]
	v_cndmask_b32_e64 v9, v9, v25, s[24:25]
	v_cndmask_b32_e64 v8, v8, v24, s[24:25]
	v_mov_b32_e32 v31, 0
	ds_read_b64 v[31:32], v31 offset:112
	s_waitcnt lgkmcnt(1)
	v_fma_f64 v[8:9], v[8:9], v[28:29], v[26:27]
	s_waitcnt lgkmcnt(0)
	v_fma_f64 v[26:27], v[6:7], v[31:32], v[8:9]
	v_cndmask_b32_e64 v27, v9, v27, s[2:3]
	v_cndmask_b32_e64 v26, v8, v26, s[2:3]
.LBB11_181:
	s_or_b64 exec, exec, s[28:29]
	v_mov_b32_e32 v8, 0
	ds_read_b64 v[8:9], v8 offset:24
	s_waitcnt lgkmcnt(0)
	v_mul_f64 v[8:9], v[26:27], v[8:9]
.LBB11_182:
	s_or_b64 exec, exec, s[26:27]
	v_cmp_gt_u32_e32 vcc, 4, v0
	s_waitcnt vmcnt(8)
	ds_write_b64 v84, v[10:11]
	s_waitcnt lgkmcnt(0)
	; wave barrier
	s_and_saveexec_b64 s[26:27], vcc
	s_cbranch_execz .LBB11_192
; %bb.183:
	s_and_b64 vcc, exec, s[0:1]
	s_cbranch_vccnz .LBB11_185
; %bb.184:
	v_cmp_eq_u32_e32 vcc, 1, v0
	s_waitcnt vmcnt(3)
	v_cndmask_b32_e32 v26, v3, v5, vcc
	v_cmp_eq_u32_e64 s[6:7], 2, v0
	v_cndmask_b32_e64 v26, v26, v7, s[6:7]
	v_cmp_eq_u32_e64 s[8:9], 3, v0
	v_cndmask_b32_e64 v26, v26, v9, s[8:9]
	v_cmp_eq_u32_e64 s[10:11], 4, v0
	v_cndmask_b32_e64 v26, v26, v11, s[10:11]
	v_cmp_eq_u32_e64 s[12:13], 5, v0
	v_cndmask_b32_e64 v26, v26, v13, s[12:13]
	v_cmp_eq_u32_e64 s[14:15], 6, v0
	v_cndmask_b32_e64 v26, v26, v15, s[14:15]
	v_cmp_eq_u32_e64 s[16:17], 7, v0
	v_cndmask_b32_e64 v26, v26, v17, s[16:17]
	v_cmp_eq_u32_e64 s[18:19], 8, v0
	v_cndmask_b32_e64 v26, v26, v19, s[18:19]
	v_cmp_eq_u32_e64 s[20:21], 9, v0
	s_waitcnt vmcnt(2)
	v_cndmask_b32_e64 v26, v26, v21, s[20:21]
	v_cmp_eq_u32_e64 s[22:23], 10, v0
	s_waitcnt vmcnt(1)
	v_cndmask_b32_e64 v26, v26, v23, s[22:23]
	;; [unrolled: 3-line block ×3, first 2 shown]
	v_cndmask_b32_e32 v26, v2, v4, vcc
	v_cndmask_b32_e64 v26, v26, v6, s[6:7]
	v_cndmask_b32_e64 v26, v26, v8, s[8:9]
	;; [unrolled: 1-line block ×6, first 2 shown]
	ds_read_b64 v[28:29], v84
	v_cndmask_b32_e64 v26, v26, v18, s[18:19]
	v_cndmask_b32_e64 v26, v26, v20, s[20:21]
	;; [unrolled: 1-line block ×4, first 2 shown]
	s_waitcnt lgkmcnt(0)
	v_mul_f64 v[26:27], v[26:27], v[28:29]
	s_cbranch_execz .LBB11_186
	s_branch .LBB11_187
.LBB11_185:
                                        ; implicit-def: $vgpr26_vgpr27
.LBB11_186:
	ds_read_b64 v[26:27], v84
.LBB11_187:
	v_cmp_ne_u32_e32 vcc, 3, v0
	s_and_saveexec_b64 s[8:9], vcc
	s_cbranch_execz .LBB11_191
; %bb.188:
	v_mov_b32_e32 v28, 0x68
	v_lshl_add_u32 v31, v0, 3, v28
	v_mov_b32_e32 v29, v1
	s_mov_b64 s[10:11], 0
	v_mov_b32_e32 v28, v0
.LBB11_189:                             ; =>This Inner Loop Header: Depth=1
	v_add_co_u32_e32 v28, vcc, 1, v28
	v_addc_co_u32_e32 v29, vcc, 0, v29, vcc
	v_cmp_eq_u32_e32 vcc, 1, v28
	s_waitcnt vmcnt(3)
	v_cndmask_b32_e32 v34, v3, v5, vcc
	v_cmp_eq_u32_e64 s[6:7], 2, v28
	v_cndmask_b32_e64 v34, v34, v7, s[6:7]
	v_cndmask_b32_e32 v35, v2, v4, vcc
	v_cmp_eq_u32_e32 vcc, 3, v28
	v_cndmask_b32_e32 v34, v34, v9, vcc
	v_cndmask_b32_e64 v35, v35, v6, s[6:7]
	v_cmp_eq_u32_e64 s[6:7], 4, v28
	v_cndmask_b32_e64 v34, v34, v11, s[6:7]
	v_cndmask_b32_e32 v35, v35, v8, vcc
	v_cmp_eq_u32_e32 vcc, 5, v28
	v_cndmask_b32_e32 v34, v34, v13, vcc
	v_cndmask_b32_e64 v35, v35, v10, s[6:7]
	;; [unrolled: 6-line block ×3, first 2 shown]
	v_cmp_eq_u32_e64 s[6:7], 8, v28
	ds_read_b64 v[32:33], v31
	v_cndmask_b32_e64 v34, v34, v19, s[6:7]
	v_cndmask_b32_e32 v35, v35, v16, vcc
	v_cmp_eq_u32_e32 vcc, 9, v28
	s_waitcnt vmcnt(2)
	v_cndmask_b32_e32 v34, v34, v21, vcc
	v_cndmask_b32_e64 v35, v35, v18, s[6:7]
	v_cmp_eq_u32_e64 s[6:7], 10, v28
	s_waitcnt vmcnt(1)
	v_cndmask_b32_e64 v34, v34, v23, s[6:7]
	v_cndmask_b32_e32 v36, v35, v20, vcc
	v_cmp_eq_u32_e32 vcc, 11, v28
	s_waitcnt vmcnt(0)
	v_cndmask_b32_e32 v35, v34, v25, vcc
	v_cndmask_b32_e64 v34, v36, v22, s[6:7]
	v_cndmask_b32_e32 v34, v34, v24, vcc
	s_waitcnt lgkmcnt(0)
	v_fma_f64 v[26:27], v[34:35], v[32:33], v[26:27]
	v_cmp_lt_u32_e32 vcc, 2, v28
	s_or_b64 s[10:11], vcc, s[10:11]
	v_add_u32_e32 v31, 8, v31
	s_andn2_b64 exec, exec, s[10:11]
	s_cbranch_execnz .LBB11_189
; %bb.190:
	s_or_b64 exec, exec, s[10:11]
.LBB11_191:
	s_or_b64 exec, exec, s[8:9]
	v_mov_b32_e32 v10, 0
	ds_read_b64 v[10:11], v10 offset:32
	s_waitcnt lgkmcnt(0)
	v_mul_f64 v[10:11], v[26:27], v[10:11]
.LBB11_192:
	s_or_b64 exec, exec, s[26:27]
	v_cmp_gt_u32_e64 s[6:7], 5, v0
	s_waitcnt vmcnt(7)
	ds_write_b64 v84, v[12:13]
	s_waitcnt lgkmcnt(0)
	; wave barrier
	s_and_saveexec_b64 s[28:29], s[6:7]
	s_cbranch_execz .LBB11_202
; %bb.193:
	s_and_b64 vcc, exec, s[0:1]
	s_cbranch_vccnz .LBB11_195
; %bb.194:
	v_cmp_eq_u32_e32 vcc, 1, v0
	s_waitcnt vmcnt(3)
	v_cndmask_b32_e32 v26, v3, v5, vcc
	v_cmp_eq_u32_e64 s[8:9], 2, v0
	v_cndmask_b32_e64 v26, v26, v7, s[8:9]
	v_cmp_eq_u32_e64 s[10:11], 3, v0
	v_cndmask_b32_e64 v26, v26, v9, s[10:11]
	;; [unrolled: 2-line block ×7, first 2 shown]
	v_cmp_eq_u32_e64 s[22:23], 9, v0
	s_waitcnt vmcnt(2)
	v_cndmask_b32_e64 v26, v26, v21, s[22:23]
	v_cmp_eq_u32_e64 s[24:25], 10, v0
	s_waitcnt vmcnt(1)
	v_cndmask_b32_e64 v26, v26, v23, s[24:25]
	;; [unrolled: 3-line block ×3, first 2 shown]
	v_cndmask_b32_e32 v26, v2, v4, vcc
	v_cndmask_b32_e64 v26, v26, v6, s[8:9]
	v_cndmask_b32_e64 v26, v26, v8, s[10:11]
	;; [unrolled: 1-line block ×6, first 2 shown]
	ds_read_b64 v[28:29], v84
	v_cndmask_b32_e64 v26, v26, v18, s[20:21]
	v_cndmask_b32_e64 v26, v26, v20, s[22:23]
	;; [unrolled: 1-line block ×4, first 2 shown]
	s_waitcnt lgkmcnt(0)
	v_mul_f64 v[26:27], v[26:27], v[28:29]
	s_cbranch_execz .LBB11_196
	s_branch .LBB11_197
.LBB11_195:
                                        ; implicit-def: $vgpr26_vgpr27
.LBB11_196:
	ds_read_b64 v[26:27], v84
.LBB11_197:
	v_cmp_ne_u32_e32 vcc, 4, v0
	s_and_saveexec_b64 s[10:11], vcc
	s_cbranch_execz .LBB11_201
; %bb.198:
	v_mov_b32_e32 v28, 0x68
	v_lshl_add_u32 v31, v0, 3, v28
	v_mov_b32_e32 v29, v1
	s_mov_b64 s[12:13], 0
	v_mov_b32_e32 v28, v0
.LBB11_199:                             ; =>This Inner Loop Header: Depth=1
	v_add_co_u32_e32 v28, vcc, 1, v28
	v_addc_co_u32_e32 v29, vcc, 0, v29, vcc
	v_cmp_eq_u32_e32 vcc, 1, v28
	s_waitcnt vmcnt(3)
	v_cndmask_b32_e32 v34, v3, v5, vcc
	v_cmp_eq_u32_e64 s[8:9], 2, v28
	v_cndmask_b32_e64 v34, v34, v7, s[8:9]
	v_cndmask_b32_e32 v35, v2, v4, vcc
	v_cmp_eq_u32_e32 vcc, 3, v28
	v_cndmask_b32_e32 v34, v34, v9, vcc
	v_cndmask_b32_e64 v35, v35, v6, s[8:9]
	v_cmp_eq_u32_e64 s[8:9], 4, v28
	v_cndmask_b32_e64 v34, v34, v11, s[8:9]
	v_cndmask_b32_e32 v35, v35, v8, vcc
	v_cmp_eq_u32_e32 vcc, 5, v28
	v_cndmask_b32_e32 v34, v34, v13, vcc
	v_cndmask_b32_e64 v35, v35, v10, s[8:9]
	;; [unrolled: 6-line block ×3, first 2 shown]
	v_cmp_eq_u32_e64 s[8:9], 8, v28
	ds_read_b64 v[32:33], v31
	v_cndmask_b32_e64 v34, v34, v19, s[8:9]
	v_cndmask_b32_e32 v35, v35, v16, vcc
	v_cmp_eq_u32_e32 vcc, 9, v28
	s_waitcnt vmcnt(2)
	v_cndmask_b32_e32 v34, v34, v21, vcc
	v_cndmask_b32_e64 v35, v35, v18, s[8:9]
	v_cmp_eq_u32_e64 s[8:9], 10, v28
	s_waitcnt vmcnt(1)
	v_cndmask_b32_e64 v34, v34, v23, s[8:9]
	v_cndmask_b32_e32 v36, v35, v20, vcc
	v_cmp_eq_u32_e32 vcc, 11, v28
	s_waitcnt vmcnt(0)
	v_cndmask_b32_e32 v35, v34, v25, vcc
	v_cndmask_b32_e64 v34, v36, v22, s[8:9]
	v_cndmask_b32_e32 v34, v34, v24, vcc
	s_waitcnt lgkmcnt(0)
	v_fma_f64 v[26:27], v[34:35], v[32:33], v[26:27]
	v_cmp_lt_u32_e32 vcc, 3, v28
	s_or_b64 s[12:13], vcc, s[12:13]
	v_add_u32_e32 v31, 8, v31
	s_andn2_b64 exec, exec, s[12:13]
	s_cbranch_execnz .LBB11_199
; %bb.200:
	s_or_b64 exec, exec, s[12:13]
.LBB11_201:
	s_or_b64 exec, exec, s[10:11]
	v_mov_b32_e32 v12, 0
	ds_read_b64 v[12:13], v12 offset:40
	s_waitcnt lgkmcnt(0)
	v_mul_f64 v[12:13], v[26:27], v[12:13]
.LBB11_202:
	s_or_b64 exec, exec, s[28:29]
	v_cmp_gt_u32_e32 vcc, 6, v0
	s_waitcnt vmcnt(6)
	ds_write_b64 v84, v[14:15]
	s_waitcnt lgkmcnt(0)
	; wave barrier
	s_and_saveexec_b64 s[28:29], vcc
	s_cbranch_execz .LBB11_212
; %bb.203:
	s_and_b64 vcc, exec, s[0:1]
	s_cbranch_vccnz .LBB11_205
; %bb.204:
	v_cmp_eq_u32_e32 vcc, 1, v0
	s_waitcnt vmcnt(3)
	v_cndmask_b32_e32 v26, v3, v5, vcc
	v_cmp_eq_u32_e64 s[8:9], 2, v0
	v_cndmask_b32_e64 v26, v26, v7, s[8:9]
	v_cmp_eq_u32_e64 s[10:11], 3, v0
	v_cndmask_b32_e64 v26, v26, v9, s[10:11]
	;; [unrolled: 2-line block ×7, first 2 shown]
	v_cmp_eq_u32_e64 s[22:23], 9, v0
	s_waitcnt vmcnt(2)
	v_cndmask_b32_e64 v26, v26, v21, s[22:23]
	v_cmp_eq_u32_e64 s[24:25], 10, v0
	s_waitcnt vmcnt(1)
	v_cndmask_b32_e64 v26, v26, v23, s[24:25]
	;; [unrolled: 3-line block ×3, first 2 shown]
	v_cndmask_b32_e32 v26, v2, v4, vcc
	v_cndmask_b32_e64 v26, v26, v6, s[8:9]
	v_cndmask_b32_e64 v26, v26, v8, s[10:11]
	v_cndmask_b32_e64 v26, v26, v10, s[12:13]
	v_cndmask_b32_e64 v26, v26, v12, s[14:15]
	v_cndmask_b32_e64 v26, v26, v14, s[16:17]
	v_cndmask_b32_e64 v26, v26, v16, s[18:19]
	ds_read_b64 v[28:29], v84
	v_cndmask_b32_e64 v26, v26, v18, s[20:21]
	v_cndmask_b32_e64 v26, v26, v20, s[22:23]
	;; [unrolled: 1-line block ×4, first 2 shown]
	s_waitcnt lgkmcnt(0)
	v_mul_f64 v[26:27], v[26:27], v[28:29]
	s_cbranch_execz .LBB11_206
	s_branch .LBB11_207
.LBB11_205:
                                        ; implicit-def: $vgpr26_vgpr27
.LBB11_206:
	ds_read_b64 v[26:27], v84
.LBB11_207:
	v_cmp_ne_u32_e32 vcc, 5, v0
	s_and_saveexec_b64 s[10:11], vcc
	s_cbranch_execz .LBB11_211
; %bb.208:
	v_mov_b32_e32 v28, 0x68
	v_lshl_add_u32 v31, v0, 3, v28
	v_mov_b32_e32 v29, v1
	s_mov_b64 s[12:13], 0
	v_mov_b32_e32 v28, v0
.LBB11_209:                             ; =>This Inner Loop Header: Depth=1
	v_add_co_u32_e32 v28, vcc, 1, v28
	v_addc_co_u32_e32 v29, vcc, 0, v29, vcc
	v_cmp_eq_u32_e32 vcc, 1, v28
	s_waitcnt vmcnt(3)
	v_cndmask_b32_e32 v34, v3, v5, vcc
	v_cmp_eq_u32_e64 s[8:9], 2, v28
	v_cndmask_b32_e64 v34, v34, v7, s[8:9]
	v_cndmask_b32_e32 v35, v2, v4, vcc
	v_cmp_eq_u32_e32 vcc, 3, v28
	v_cndmask_b32_e32 v34, v34, v9, vcc
	v_cndmask_b32_e64 v35, v35, v6, s[8:9]
	v_cmp_eq_u32_e64 s[8:9], 4, v28
	v_cndmask_b32_e64 v34, v34, v11, s[8:9]
	v_cndmask_b32_e32 v35, v35, v8, vcc
	v_cmp_eq_u32_e32 vcc, 5, v28
	v_cndmask_b32_e32 v34, v34, v13, vcc
	v_cndmask_b32_e64 v35, v35, v10, s[8:9]
	;; [unrolled: 6-line block ×3, first 2 shown]
	v_cmp_eq_u32_e64 s[8:9], 8, v28
	ds_read_b64 v[32:33], v31
	v_cndmask_b32_e64 v34, v34, v19, s[8:9]
	v_cndmask_b32_e32 v35, v35, v16, vcc
	v_cmp_eq_u32_e32 vcc, 9, v28
	s_waitcnt vmcnt(2)
	v_cndmask_b32_e32 v34, v34, v21, vcc
	v_cndmask_b32_e64 v35, v35, v18, s[8:9]
	v_cmp_eq_u32_e64 s[8:9], 10, v28
	s_waitcnt vmcnt(1)
	v_cndmask_b32_e64 v34, v34, v23, s[8:9]
	v_cndmask_b32_e32 v36, v35, v20, vcc
	v_cmp_eq_u32_e32 vcc, 11, v28
	s_waitcnt vmcnt(0)
	v_cndmask_b32_e32 v35, v34, v25, vcc
	v_cndmask_b32_e64 v34, v36, v22, s[8:9]
	v_cndmask_b32_e32 v34, v34, v24, vcc
	s_waitcnt lgkmcnt(0)
	v_fma_f64 v[26:27], v[34:35], v[32:33], v[26:27]
	v_cmp_lt_u32_e32 vcc, 4, v28
	s_or_b64 s[12:13], vcc, s[12:13]
	v_add_u32_e32 v31, 8, v31
	s_andn2_b64 exec, exec, s[12:13]
	s_cbranch_execnz .LBB11_209
; %bb.210:
	s_or_b64 exec, exec, s[12:13]
.LBB11_211:
	s_or_b64 exec, exec, s[10:11]
	v_mov_b32_e32 v14, 0
	ds_read_b64 v[14:15], v14 offset:48
	s_waitcnt lgkmcnt(0)
	v_mul_f64 v[14:15], v[26:27], v[14:15]
.LBB11_212:
	s_or_b64 exec, exec, s[28:29]
	v_cmp_gt_u32_e64 s[8:9], 7, v0
	s_waitcnt vmcnt(5)
	ds_write_b64 v84, v[16:17]
	s_waitcnt lgkmcnt(0)
	; wave barrier
	s_and_saveexec_b64 s[30:31], s[8:9]
	s_cbranch_execz .LBB11_222
; %bb.213:
	s_and_b64 vcc, exec, s[0:1]
	s_cbranch_vccnz .LBB11_215
; %bb.214:
	v_cmp_eq_u32_e32 vcc, 1, v0
	s_waitcnt vmcnt(3)
	v_cndmask_b32_e32 v26, v3, v5, vcc
	v_cmp_eq_u32_e64 s[10:11], 2, v0
	v_cndmask_b32_e64 v26, v26, v7, s[10:11]
	v_cmp_eq_u32_e64 s[12:13], 3, v0
	v_cndmask_b32_e64 v26, v26, v9, s[12:13]
	;; [unrolled: 2-line block ×7, first 2 shown]
	v_cmp_eq_u32_e64 s[24:25], 9, v0
	s_waitcnt vmcnt(2)
	v_cndmask_b32_e64 v26, v26, v21, s[24:25]
	v_cmp_eq_u32_e64 s[26:27], 10, v0
	s_waitcnt vmcnt(1)
	v_cndmask_b32_e64 v26, v26, v23, s[26:27]
	;; [unrolled: 3-line block ×3, first 2 shown]
	v_cndmask_b32_e32 v26, v2, v4, vcc
	v_cndmask_b32_e64 v26, v26, v6, s[10:11]
	v_cndmask_b32_e64 v26, v26, v8, s[12:13]
	;; [unrolled: 1-line block ×6, first 2 shown]
	ds_read_b64 v[28:29], v84
	v_cndmask_b32_e64 v26, v26, v18, s[22:23]
	v_cndmask_b32_e64 v26, v26, v20, s[24:25]
	;; [unrolled: 1-line block ×4, first 2 shown]
	s_waitcnt lgkmcnt(0)
	v_mul_f64 v[26:27], v[26:27], v[28:29]
	s_cbranch_execz .LBB11_216
	s_branch .LBB11_217
.LBB11_215:
                                        ; implicit-def: $vgpr26_vgpr27
.LBB11_216:
	ds_read_b64 v[26:27], v84
.LBB11_217:
	v_cmp_ne_u32_e32 vcc, 6, v0
	s_and_saveexec_b64 s[12:13], vcc
	s_cbranch_execz .LBB11_221
; %bb.218:
	v_mov_b32_e32 v28, 0x68
	v_lshl_add_u32 v31, v0, 3, v28
	v_mov_b32_e32 v29, v1
	s_mov_b64 s[14:15], 0
	v_mov_b32_e32 v28, v0
.LBB11_219:                             ; =>This Inner Loop Header: Depth=1
	v_add_co_u32_e32 v28, vcc, 1, v28
	v_addc_co_u32_e32 v29, vcc, 0, v29, vcc
	v_cmp_eq_u32_e32 vcc, 1, v28
	s_waitcnt vmcnt(3)
	v_cndmask_b32_e32 v34, v3, v5, vcc
	v_cmp_eq_u32_e64 s[10:11], 2, v28
	v_cndmask_b32_e64 v34, v34, v7, s[10:11]
	v_cndmask_b32_e32 v35, v2, v4, vcc
	v_cmp_eq_u32_e32 vcc, 3, v28
	v_cndmask_b32_e32 v34, v34, v9, vcc
	v_cndmask_b32_e64 v35, v35, v6, s[10:11]
	v_cmp_eq_u32_e64 s[10:11], 4, v28
	v_cndmask_b32_e64 v34, v34, v11, s[10:11]
	v_cndmask_b32_e32 v35, v35, v8, vcc
	v_cmp_eq_u32_e32 vcc, 5, v28
	v_cndmask_b32_e32 v34, v34, v13, vcc
	v_cndmask_b32_e64 v35, v35, v10, s[10:11]
	;; [unrolled: 6-line block ×3, first 2 shown]
	v_cmp_eq_u32_e64 s[10:11], 8, v28
	ds_read_b64 v[32:33], v31
	v_cndmask_b32_e64 v34, v34, v19, s[10:11]
	v_cndmask_b32_e32 v35, v35, v16, vcc
	v_cmp_eq_u32_e32 vcc, 9, v28
	s_waitcnt vmcnt(2)
	v_cndmask_b32_e32 v34, v34, v21, vcc
	v_cndmask_b32_e64 v35, v35, v18, s[10:11]
	v_cmp_eq_u32_e64 s[10:11], 10, v28
	s_waitcnt vmcnt(1)
	v_cndmask_b32_e64 v34, v34, v23, s[10:11]
	v_cndmask_b32_e32 v36, v35, v20, vcc
	v_cmp_eq_u32_e32 vcc, 11, v28
	s_waitcnt vmcnt(0)
	v_cndmask_b32_e32 v35, v34, v25, vcc
	v_cndmask_b32_e64 v34, v36, v22, s[10:11]
	v_cndmask_b32_e32 v34, v34, v24, vcc
	s_waitcnt lgkmcnt(0)
	v_fma_f64 v[26:27], v[34:35], v[32:33], v[26:27]
	v_cmp_lt_u32_e32 vcc, 5, v28
	s_or_b64 s[14:15], vcc, s[14:15]
	v_add_u32_e32 v31, 8, v31
	s_andn2_b64 exec, exec, s[14:15]
	s_cbranch_execnz .LBB11_219
; %bb.220:
	s_or_b64 exec, exec, s[14:15]
.LBB11_221:
	s_or_b64 exec, exec, s[12:13]
	v_mov_b32_e32 v16, 0
	ds_read_b64 v[16:17], v16 offset:56
	s_waitcnt lgkmcnt(0)
	v_mul_f64 v[16:17], v[26:27], v[16:17]
.LBB11_222:
	s_or_b64 exec, exec, s[30:31]
	v_cmp_gt_u32_e32 vcc, 8, v0
	s_waitcnt vmcnt(4)
	ds_write_b64 v84, v[18:19]
	s_waitcnt lgkmcnt(0)
	; wave barrier
	s_and_saveexec_b64 s[30:31], vcc
	s_cbranch_execz .LBB11_232
; %bb.223:
	s_and_b64 vcc, exec, s[0:1]
	s_cbranch_vccnz .LBB11_225
; %bb.224:
	v_cmp_eq_u32_e32 vcc, 1, v0
	s_waitcnt vmcnt(3)
	v_cndmask_b32_e32 v26, v3, v5, vcc
	v_cmp_eq_u32_e64 s[10:11], 2, v0
	v_cndmask_b32_e64 v26, v26, v7, s[10:11]
	v_cmp_eq_u32_e64 s[12:13], 3, v0
	v_cndmask_b32_e64 v26, v26, v9, s[12:13]
	;; [unrolled: 2-line block ×7, first 2 shown]
	v_cmp_eq_u32_e64 s[24:25], 9, v0
	s_waitcnt vmcnt(2)
	v_cndmask_b32_e64 v26, v26, v21, s[24:25]
	v_cmp_eq_u32_e64 s[26:27], 10, v0
	s_waitcnt vmcnt(1)
	v_cndmask_b32_e64 v26, v26, v23, s[26:27]
	;; [unrolled: 3-line block ×3, first 2 shown]
	v_cndmask_b32_e32 v26, v2, v4, vcc
	v_cndmask_b32_e64 v26, v26, v6, s[10:11]
	v_cndmask_b32_e64 v26, v26, v8, s[12:13]
	;; [unrolled: 1-line block ×6, first 2 shown]
	ds_read_b64 v[28:29], v84
	v_cndmask_b32_e64 v26, v26, v18, s[22:23]
	v_cndmask_b32_e64 v26, v26, v20, s[24:25]
	;; [unrolled: 1-line block ×4, first 2 shown]
	s_waitcnt lgkmcnt(0)
	v_mul_f64 v[26:27], v[26:27], v[28:29]
	s_cbranch_execz .LBB11_226
	s_branch .LBB11_227
.LBB11_225:
                                        ; implicit-def: $vgpr26_vgpr27
.LBB11_226:
	ds_read_b64 v[26:27], v84
.LBB11_227:
	v_cmp_ne_u32_e32 vcc, 7, v0
	s_and_saveexec_b64 s[12:13], vcc
	s_cbranch_execz .LBB11_231
; %bb.228:
	v_mov_b32_e32 v28, 0x68
	v_lshl_add_u32 v31, v0, 3, v28
	v_mov_b32_e32 v29, v1
	s_mov_b64 s[14:15], 0
	v_mov_b32_e32 v28, v0
.LBB11_229:                             ; =>This Inner Loop Header: Depth=1
	v_add_co_u32_e32 v28, vcc, 1, v28
	v_addc_co_u32_e32 v29, vcc, 0, v29, vcc
	v_cmp_eq_u32_e32 vcc, 1, v28
	s_waitcnt vmcnt(3)
	v_cndmask_b32_e32 v34, v3, v5, vcc
	v_cmp_eq_u32_e64 s[10:11], 2, v28
	v_cndmask_b32_e64 v34, v34, v7, s[10:11]
	v_cndmask_b32_e32 v35, v2, v4, vcc
	v_cmp_eq_u32_e32 vcc, 3, v28
	v_cndmask_b32_e32 v34, v34, v9, vcc
	v_cndmask_b32_e64 v35, v35, v6, s[10:11]
	v_cmp_eq_u32_e64 s[10:11], 4, v28
	v_cndmask_b32_e64 v34, v34, v11, s[10:11]
	v_cndmask_b32_e32 v35, v35, v8, vcc
	v_cmp_eq_u32_e32 vcc, 5, v28
	v_cndmask_b32_e32 v34, v34, v13, vcc
	v_cndmask_b32_e64 v35, v35, v10, s[10:11]
	;; [unrolled: 6-line block ×3, first 2 shown]
	v_cmp_eq_u32_e64 s[10:11], 8, v28
	ds_read_b64 v[32:33], v31
	v_cndmask_b32_e64 v34, v34, v19, s[10:11]
	v_cndmask_b32_e32 v35, v35, v16, vcc
	v_cmp_eq_u32_e32 vcc, 9, v28
	s_waitcnt vmcnt(2)
	v_cndmask_b32_e32 v34, v34, v21, vcc
	v_cndmask_b32_e64 v35, v35, v18, s[10:11]
	v_cmp_eq_u32_e64 s[10:11], 10, v28
	s_waitcnt vmcnt(1)
	v_cndmask_b32_e64 v34, v34, v23, s[10:11]
	v_cndmask_b32_e32 v36, v35, v20, vcc
	v_cmp_eq_u32_e32 vcc, 11, v28
	s_waitcnt vmcnt(0)
	v_cndmask_b32_e32 v35, v34, v25, vcc
	v_cndmask_b32_e64 v34, v36, v22, s[10:11]
	v_cndmask_b32_e32 v34, v34, v24, vcc
	s_waitcnt lgkmcnt(0)
	v_fma_f64 v[26:27], v[34:35], v[32:33], v[26:27]
	v_cmp_lt_u32_e32 vcc, 6, v28
	s_or_b64 s[14:15], vcc, s[14:15]
	v_add_u32_e32 v31, 8, v31
	s_andn2_b64 exec, exec, s[14:15]
	s_cbranch_execnz .LBB11_229
; %bb.230:
	s_or_b64 exec, exec, s[14:15]
.LBB11_231:
	s_or_b64 exec, exec, s[12:13]
	v_mov_b32_e32 v18, 0
	ds_read_b64 v[18:19], v18 offset:64
	s_waitcnt lgkmcnt(0)
	v_mul_f64 v[18:19], v[26:27], v[18:19]
.LBB11_232:
	s_or_b64 exec, exec, s[30:31]
	v_cmp_gt_u32_e32 vcc, 9, v0
	s_waitcnt vmcnt(2)
	ds_write_b64 v84, v[20:21]
	s_waitcnt lgkmcnt(0)
	; wave barrier
	s_and_saveexec_b64 s[30:31], vcc
	s_cbranch_execz .LBB11_254
; %bb.233:
	s_and_b64 vcc, exec, s[0:1]
	s_cbranch_vccnz .LBB11_235
; %bb.234:
	v_cmp_eq_u32_e32 vcc, 1, v0
	v_cndmask_b32_e32 v26, v3, v5, vcc
	v_cmp_eq_u32_e64 s[10:11], 2, v0
	v_cndmask_b32_e64 v26, v26, v7, s[10:11]
	v_cmp_eq_u32_e64 s[12:13], 3, v0
	v_cndmask_b32_e64 v26, v26, v9, s[12:13]
	;; [unrolled: 2-line block ×8, first 2 shown]
	v_cmp_eq_u32_e64 s[26:27], 10, v0
	s_waitcnt vmcnt(1)
	v_cndmask_b32_e64 v26, v26, v23, s[26:27]
	v_cmp_eq_u32_e64 s[28:29], 11, v0
	s_waitcnt vmcnt(0)
	v_cndmask_b32_e64 v27, v26, v25, s[28:29]
	v_cndmask_b32_e32 v26, v2, v4, vcc
	v_cndmask_b32_e64 v26, v26, v6, s[10:11]
	v_cndmask_b32_e64 v26, v26, v8, s[12:13]
	;; [unrolled: 1-line block ×6, first 2 shown]
	ds_read_b64 v[28:29], v84
	v_cndmask_b32_e64 v26, v26, v18, s[22:23]
	v_cndmask_b32_e64 v26, v26, v20, s[24:25]
	;; [unrolled: 1-line block ×4, first 2 shown]
	s_waitcnt lgkmcnt(0)
	v_mul_f64 v[26:27], v[26:27], v[28:29]
	s_cbranch_execz .LBB11_236
	s_branch .LBB11_237
.LBB11_235:
                                        ; implicit-def: $vgpr26_vgpr27
.LBB11_236:
	ds_read_b64 v[26:27], v84
.LBB11_237:
	v_cmp_ne_u32_e32 vcc, 8, v0
	s_and_saveexec_b64 s[34:35], vcc
	s_cbranch_execz .LBB11_253
; %bb.238:
	v_cmp_eq_u32_e32 vcc, 1, v30
	v_cndmask_b32_e32 v28, v3, v5, vcc
	v_cmp_eq_u32_e64 s[10:11], 2, v30
	v_cndmask_b32_e64 v28, v28, v7, s[10:11]
	v_cmp_eq_u32_e64 s[12:13], 3, v30
	v_cndmask_b32_e64 v28, v28, v9, s[12:13]
	;; [unrolled: 2-line block ×8, first 2 shown]
	v_cmp_eq_u32_e64 s[26:27], 10, v30
	s_waitcnt vmcnt(1)
	v_cndmask_b32_e64 v28, v28, v23, s[26:27]
	v_cmp_eq_u32_e64 s[28:29], 11, v30
	s_waitcnt vmcnt(0)
	v_cndmask_b32_e64 v29, v28, v25, s[28:29]
	v_cndmask_b32_e32 v28, v2, v4, vcc
	v_cndmask_b32_e64 v28, v28, v6, s[10:11]
	v_cndmask_b32_e64 v28, v28, v8, s[12:13]
	;; [unrolled: 1-line block ×6, first 2 shown]
	ds_read_b64 v[30:31], v84 offset:8
	v_cndmask_b32_e64 v28, v28, v18, s[22:23]
	v_cndmask_b32_e64 v28, v28, v20, s[24:25]
	;; [unrolled: 1-line block ×4, first 2 shown]
	s_waitcnt lgkmcnt(0)
	v_fma_f64 v[26:27], v[28:29], v[30:31], v[26:27]
	s_and_saveexec_b64 s[28:29], s[8:9]
	s_cbranch_execz .LBB11_252
; %bb.239:
	v_add_u32_e32 v28, 2, v0
	v_cmp_eq_u32_e32 vcc, 1, v28
	v_cndmask_b32_e32 v29, v3, v5, vcc
	v_cmp_eq_u32_e64 s[8:9], 2, v28
	v_cmp_eq_u32_e64 s[10:11], 3, v28
	;; [unrolled: 1-line block ×10, first 2 shown]
	v_cndmask_b32_e32 v28, v2, v4, vcc
	v_cndmask_b32_e64 v29, v29, v7, s[8:9]
	v_cndmask_b32_e64 v28, v28, v6, s[8:9]
	;; [unrolled: 1-line block ×12, first 2 shown]
	ds_read_b64 v[30:31], v84 offset:16
	v_cndmask_b32_e64 v29, v29, v19, s[20:21]
	v_cndmask_b32_e64 v28, v28, v18, s[20:21]
	;; [unrolled: 1-line block ×8, first 2 shown]
	s_waitcnt lgkmcnt(0)
	v_fma_f64 v[26:27], v[28:29], v[30:31], v[26:27]
	v_cmp_ne_u32_e32 vcc, 6, v0
	s_and_saveexec_b64 s[36:37], vcc
	s_cbranch_execz .LBB11_251
; %bb.240:
	v_add_u32_e32 v28, 3, v0
	v_cmp_eq_u32_e32 vcc, 1, v28
	v_cndmask_b32_e32 v29, v3, v5, vcc
	v_cmp_eq_u32_e64 s[8:9], 2, v28
	v_cmp_eq_u32_e64 s[10:11], 3, v28
	;; [unrolled: 1-line block ×10, first 2 shown]
	v_cndmask_b32_e32 v28, v2, v4, vcc
	v_cndmask_b32_e64 v29, v29, v7, s[8:9]
	v_cndmask_b32_e64 v28, v28, v6, s[8:9]
	;; [unrolled: 1-line block ×12, first 2 shown]
	ds_read_b64 v[30:31], v84 offset:24
	v_cndmask_b32_e64 v29, v29, v19, s[20:21]
	v_cndmask_b32_e64 v28, v28, v18, s[20:21]
	;; [unrolled: 1-line block ×8, first 2 shown]
	s_waitcnt lgkmcnt(0)
	v_fma_f64 v[26:27], v[28:29], v[30:31], v[26:27]
	s_and_saveexec_b64 s[26:27], s[6:7]
	s_cbranch_execz .LBB11_250
; %bb.241:
	v_add_u32_e32 v28, 4, v0
	v_cmp_eq_u32_e32 vcc, 1, v28
	v_cndmask_b32_e32 v29, v3, v5, vcc
	v_cmp_eq_u32_e64 s[6:7], 2, v28
	v_cmp_eq_u32_e64 s[8:9], 3, v28
	;; [unrolled: 1-line block ×10, first 2 shown]
	v_cndmask_b32_e32 v28, v2, v4, vcc
	v_cndmask_b32_e64 v29, v29, v7, s[6:7]
	v_cndmask_b32_e64 v28, v28, v6, s[6:7]
	;; [unrolled: 1-line block ×12, first 2 shown]
	ds_read_b64 v[30:31], v84 offset:32
	v_cndmask_b32_e64 v29, v29, v19, s[18:19]
	v_cndmask_b32_e64 v28, v28, v18, s[18:19]
	;; [unrolled: 1-line block ×8, first 2 shown]
	s_waitcnt lgkmcnt(0)
	v_fma_f64 v[26:27], v[28:29], v[30:31], v[26:27]
	v_cmp_ne_u32_e32 vcc, 4, v0
	s_and_saveexec_b64 s[38:39], vcc
	s_cbranch_execz .LBB11_249
; %bb.242:
	v_add_u32_e32 v28, 5, v0
	v_cmp_eq_u32_e32 vcc, 1, v28
	v_cndmask_b32_e32 v29, v3, v5, vcc
	v_cmp_eq_u32_e64 s[6:7], 2, v28
	v_cmp_eq_u32_e64 s[8:9], 3, v28
	;; [unrolled: 1-line block ×10, first 2 shown]
	v_cndmask_b32_e32 v28, v2, v4, vcc
	v_cndmask_b32_e64 v29, v29, v7, s[6:7]
	v_cndmask_b32_e64 v28, v28, v6, s[6:7]
	;; [unrolled: 1-line block ×12, first 2 shown]
	ds_read_b64 v[30:31], v84 offset:40
	v_cndmask_b32_e64 v29, v29, v19, s[18:19]
	v_cndmask_b32_e64 v28, v28, v18, s[18:19]
	;; [unrolled: 1-line block ×8, first 2 shown]
	s_waitcnt lgkmcnt(0)
	v_fma_f64 v[26:27], v[28:29], v[30:31], v[26:27]
	s_and_saveexec_b64 s[24:25], s[4:5]
	s_cbranch_execz .LBB11_248
; %bb.243:
	v_add_u32_e32 v28, 6, v0
	v_cmp_eq_u32_e32 vcc, 1, v28
	v_cndmask_b32_e32 v29, v3, v5, vcc
	v_cmp_eq_u32_e64 s[4:5], 2, v28
	v_cmp_eq_u32_e64 s[6:7], 3, v28
	;; [unrolled: 1-line block ×10, first 2 shown]
	v_cndmask_b32_e32 v28, v2, v4, vcc
	v_cndmask_b32_e64 v29, v29, v7, s[4:5]
	v_cndmask_b32_e64 v28, v28, v6, s[4:5]
	;; [unrolled: 1-line block ×12, first 2 shown]
	ds_read_b64 v[30:31], v84 offset:48
	v_cndmask_b32_e64 v29, v29, v19, s[16:17]
	v_cndmask_b32_e64 v28, v28, v18, s[16:17]
	;; [unrolled: 1-line block ×8, first 2 shown]
	s_waitcnt lgkmcnt(0)
	v_fma_f64 v[26:27], v[28:29], v[30:31], v[26:27]
	v_cmp_ne_u32_e32 vcc, 2, v0
	s_and_saveexec_b64 s[40:41], vcc
	s_cbranch_execz .LBB11_247
; %bb.244:
	v_add_u32_e32 v28, 7, v0
	v_cmp_eq_u32_e32 vcc, 1, v28
	v_cndmask_b32_e32 v29, v3, v5, vcc
	v_cmp_eq_u32_e64 s[4:5], 2, v28
	v_cndmask_b32_e64 v29, v29, v7, s[4:5]
	v_cmp_eq_u32_e64 s[6:7], 3, v28
	v_cndmask_b32_e64 v29, v29, v9, s[6:7]
	v_cmp_eq_u32_e64 s[8:9], 4, v28
	v_cmp_eq_u32_e64 s[10:11], 5, v28
	;; [unrolled: 1-line block ×8, first 2 shown]
	v_cndmask_b32_e32 v28, v2, v4, vcc
	v_cndmask_b32_e64 v29, v29, v11, s[8:9]
	v_cndmask_b32_e64 v28, v28, v6, s[4:5]
	;; [unrolled: 1-line block ×12, first 2 shown]
	ds_read_b64 v[28:29], v84 offset:56
	v_cndmask_b32_e64 v30, v30, v18, s[16:17]
	v_cndmask_b32_e64 v20, v30, v20, s[18:19]
	;; [unrolled: 1-line block ×6, first 2 shown]
	s_waitcnt lgkmcnt(0)
	v_fma_f64 v[26:27], v[20:21], v[28:29], v[26:27]
	s_and_saveexec_b64 s[4:5], s[2:3]
	s_cbranch_execz .LBB11_246
; %bb.245:
	ds_read_b64 v[20:21], v84 offset:64
	s_waitcnt lgkmcnt(0)
	v_fma_f64 v[26:27], v[18:19], v[20:21], v[26:27]
.LBB11_246:
	s_or_b64 exec, exec, s[4:5]
.LBB11_247:
	s_or_b64 exec, exec, s[40:41]
.LBB11_248:
	s_or_b64 exec, exec, s[24:25]
.LBB11_249:
	s_or_b64 exec, exec, s[38:39]
.LBB11_250:
	s_or_b64 exec, exec, s[26:27]
.LBB11_251:
	s_or_b64 exec, exec, s[36:37]
.LBB11_252:
	s_or_b64 exec, exec, s[28:29]
.LBB11_253:
	s_or_b64 exec, exec, s[34:35]
	v_mov_b32_e32 v20, 0
	ds_read_b64 v[20:21], v20 offset:72
	s_waitcnt lgkmcnt(0)
	v_mul_f64 v[20:21], v[26:27], v[20:21]
.LBB11_254:
	s_or_b64 exec, exec, s[30:31]
	v_cmp_gt_u32_e64 s[2:3], 10, v0
	s_waitcnt vmcnt(1)
	ds_write_b64 v84, v[22:23]
	s_waitcnt lgkmcnt(0)
	; wave barrier
	s_and_saveexec_b64 s[24:25], s[2:3]
	s_cbranch_execz .LBB11_264
; %bb.255:
	s_and_b64 vcc, exec, s[0:1]
	s_cbranch_vccnz .LBB11_257
; %bb.256:
	v_cmp_eq_u32_e32 vcc, 1, v0
	v_cndmask_b32_e32 v26, v3, v5, vcc
	v_cmp_eq_u32_e64 s[4:5], 2, v0
	v_cndmask_b32_e64 v26, v26, v7, s[4:5]
	v_cmp_eq_u32_e64 s[6:7], 3, v0
	v_cndmask_b32_e64 v26, v26, v9, s[6:7]
	;; [unrolled: 2-line block ×9, first 2 shown]
	v_cmp_eq_u32_e64 s[22:23], 11, v0
	s_waitcnt vmcnt(0)
	v_cndmask_b32_e64 v27, v26, v25, s[22:23]
	v_cndmask_b32_e32 v26, v2, v4, vcc
	v_cndmask_b32_e64 v26, v26, v6, s[4:5]
	v_cndmask_b32_e64 v26, v26, v8, s[6:7]
	;; [unrolled: 1-line block ×6, first 2 shown]
	ds_read_b64 v[28:29], v84
	v_cndmask_b32_e64 v26, v26, v18, s[16:17]
	v_cndmask_b32_e64 v26, v26, v20, s[18:19]
	;; [unrolled: 1-line block ×4, first 2 shown]
	s_waitcnt lgkmcnt(0)
	v_mul_f64 v[26:27], v[26:27], v[28:29]
	s_cbranch_execz .LBB11_258
	s_branch .LBB11_259
.LBB11_257:
                                        ; implicit-def: $vgpr26_vgpr27
.LBB11_258:
	ds_read_b64 v[26:27], v84
.LBB11_259:
	v_cmp_ne_u32_e32 vcc, 9, v0
	s_and_saveexec_b64 s[6:7], vcc
	s_cbranch_execz .LBB11_263
; %bb.260:
	v_mov_b32_e32 v28, 0x68
	v_lshl_add_u32 v30, v0, 3, v28
	v_mov_b32_e32 v29, v1
	s_mov_b64 s[8:9], 0
	v_mov_b32_e32 v28, v0
.LBB11_261:                             ; =>This Inner Loop Header: Depth=1
	v_add_co_u32_e32 v28, vcc, 1, v28
	v_addc_co_u32_e32 v29, vcc, 0, v29, vcc
	v_cmp_eq_u32_e32 vcc, 1, v28
	v_cndmask_b32_e32 v33, v3, v5, vcc
	v_cmp_eq_u32_e64 s[4:5], 2, v28
	v_cndmask_b32_e64 v33, v33, v7, s[4:5]
	v_cndmask_b32_e32 v34, v2, v4, vcc
	v_cmp_eq_u32_e32 vcc, 3, v28
	v_cndmask_b32_e32 v33, v33, v9, vcc
	v_cndmask_b32_e64 v34, v34, v6, s[4:5]
	v_cmp_eq_u32_e64 s[4:5], 4, v28
	v_cndmask_b32_e64 v33, v33, v11, s[4:5]
	v_cndmask_b32_e32 v34, v34, v8, vcc
	v_cmp_eq_u32_e32 vcc, 5, v28
	v_cndmask_b32_e32 v33, v33, v13, vcc
	v_cndmask_b32_e64 v34, v34, v10, s[4:5]
	;; [unrolled: 6-line block ×3, first 2 shown]
	v_cmp_eq_u32_e64 s[4:5], 8, v28
	ds_read_b64 v[31:32], v30
	v_cndmask_b32_e64 v33, v33, v19, s[4:5]
	v_cndmask_b32_e32 v34, v34, v16, vcc
	v_cmp_eq_u32_e32 vcc, 9, v28
	v_cndmask_b32_e32 v33, v33, v21, vcc
	v_cndmask_b32_e64 v34, v34, v18, s[4:5]
	v_cmp_eq_u32_e64 s[4:5], 10, v28
	v_cndmask_b32_e64 v33, v33, v23, s[4:5]
	v_cndmask_b32_e32 v35, v34, v20, vcc
	v_cmp_eq_u32_e32 vcc, 11, v28
	s_waitcnt vmcnt(0)
	v_cndmask_b32_e32 v34, v33, v25, vcc
	v_cndmask_b32_e64 v33, v35, v22, s[4:5]
	v_cndmask_b32_e32 v33, v33, v24, vcc
	s_waitcnt lgkmcnt(0)
	v_fma_f64 v[26:27], v[33:34], v[31:32], v[26:27]
	v_cmp_lt_u32_e32 vcc, 8, v28
	s_or_b64 s[8:9], vcc, s[8:9]
	v_add_u32_e32 v30, 8, v30
	s_andn2_b64 exec, exec, s[8:9]
	s_cbranch_execnz .LBB11_261
; %bb.262:
	s_or_b64 exec, exec, s[8:9]
.LBB11_263:
	s_or_b64 exec, exec, s[6:7]
	v_mov_b32_e32 v22, 0
	ds_read_b64 v[22:23], v22 offset:80
	s_waitcnt lgkmcnt(0)
	v_mul_f64 v[22:23], v[26:27], v[22:23]
.LBB11_264:
	s_or_b64 exec, exec, s[24:25]
	v_cmp_ne_u32_e32 vcc, 11, v0
	s_waitcnt vmcnt(0)
	ds_write_b64 v84, v[24:25]
	s_waitcnt lgkmcnt(0)
	; wave barrier
	s_and_saveexec_b64 s[22:23], vcc
	s_cbranch_execz .LBB11_274
; %bb.265:
	s_and_b64 vcc, exec, s[0:1]
	s_cbranch_vccnz .LBB11_267
; %bb.266:
	v_cmp_eq_u32_e32 vcc, 1, v0
	v_cndmask_b32_e32 v26, v3, v5, vcc
	v_cmp_eq_u32_e64 s[0:1], 2, v0
	v_cndmask_b32_e64 v26, v26, v7, s[0:1]
	v_cmp_eq_u32_e64 s[4:5], 3, v0
	v_cndmask_b32_e64 v26, v26, v9, s[4:5]
	;; [unrolled: 2-line block ×10, first 2 shown]
	v_cndmask_b32_e32 v26, v2, v4, vcc
	v_cndmask_b32_e64 v26, v26, v6, s[0:1]
	v_cndmask_b32_e64 v26, v26, v8, s[4:5]
	v_cndmask_b32_e64 v26, v26, v10, s[6:7]
	v_cndmask_b32_e64 v26, v26, v12, s[8:9]
	v_cndmask_b32_e64 v26, v26, v14, s[10:11]
	v_cndmask_b32_e64 v26, v26, v16, s[12:13]
	ds_read_b64 v[28:29], v84
	v_cndmask_b32_e64 v26, v26, v18, s[14:15]
	v_cndmask_b32_e64 v26, v26, v20, s[16:17]
	;; [unrolled: 1-line block ×4, first 2 shown]
	s_waitcnt lgkmcnt(0)
	v_mul_f64 v[26:27], v[26:27], v[28:29]
	s_cbranch_execz .LBB11_268
	s_branch .LBB11_269
.LBB11_267:
                                        ; implicit-def: $vgpr26_vgpr27
.LBB11_268:
	ds_read_b64 v[26:27], v84
.LBB11_269:
	s_and_saveexec_b64 s[4:5], s[2:3]
	s_cbranch_execz .LBB11_273
; %bb.270:
	v_mov_b32_e32 v28, 0x68
	v_lshl_add_u32 v28, v0, 3, v28
	s_mov_b64 s[2:3], 0
.LBB11_271:                             ; =>This Inner Loop Header: Depth=1
	v_add_co_u32_e32 v0, vcc, 1, v0
	v_addc_co_u32_e32 v1, vcc, 0, v1, vcc
	v_cmp_eq_u32_e32 vcc, 1, v0
	v_cndmask_b32_e32 v31, v3, v5, vcc
	v_cmp_eq_u32_e64 s[0:1], 2, v0
	v_cndmask_b32_e64 v31, v31, v7, s[0:1]
	v_cndmask_b32_e32 v32, v2, v4, vcc
	v_cmp_eq_u32_e32 vcc, 3, v0
	v_cndmask_b32_e32 v31, v31, v9, vcc
	v_cndmask_b32_e64 v32, v32, v6, s[0:1]
	v_cmp_eq_u32_e64 s[0:1], 4, v0
	v_cndmask_b32_e64 v31, v31, v11, s[0:1]
	v_cndmask_b32_e32 v32, v32, v8, vcc
	v_cmp_eq_u32_e32 vcc, 5, v0
	v_cndmask_b32_e32 v31, v31, v13, vcc
	v_cndmask_b32_e64 v32, v32, v10, s[0:1]
	;; [unrolled: 6-line block ×3, first 2 shown]
	v_cmp_eq_u32_e64 s[0:1], 8, v0
	ds_read_b64 v[29:30], v28
	v_cndmask_b32_e64 v31, v31, v19, s[0:1]
	v_cndmask_b32_e32 v32, v32, v16, vcc
	v_cmp_eq_u32_e32 vcc, 9, v0
	v_cndmask_b32_e32 v31, v31, v21, vcc
	v_cndmask_b32_e64 v32, v32, v18, s[0:1]
	v_cmp_eq_u32_e64 s[0:1], 10, v0
	v_cndmask_b32_e64 v31, v31, v23, s[0:1]
	v_cndmask_b32_e32 v33, v32, v20, vcc
	v_cmp_eq_u32_e32 vcc, 11, v0
	v_cndmask_b32_e32 v32, v31, v25, vcc
	v_cndmask_b32_e64 v31, v33, v22, s[0:1]
	v_cndmask_b32_e32 v31, v31, v24, vcc
	s_waitcnt lgkmcnt(0)
	v_fma_f64 v[26:27], v[31:32], v[29:30], v[26:27]
	v_cmp_lt_u32_e32 vcc, 9, v0
	s_or_b64 s[2:3], vcc, s[2:3]
	v_add_u32_e32 v28, 8, v28
	s_andn2_b64 exec, exec, s[2:3]
	s_cbranch_execnz .LBB11_271
; %bb.272:
	s_or_b64 exec, exec, s[2:3]
.LBB11_273:
	s_or_b64 exec, exec, s[4:5]
	v_mov_b32_e32 v0, 0
	ds_read_b64 v[0:1], v0 offset:88
	s_waitcnt lgkmcnt(0)
	v_mul_f64 v[24:25], v[26:27], v[0:1]
.LBB11_274:
	s_or_b64 exec, exec, s[22:23]
	v_mov_b32_e32 v57, v33
	v_mov_b32_e32 v56, v32
	;; [unrolled: 1-line block ×32, first 2 shown]
.LBB11_275:
	global_store_dwordx2 v[78:79], v[26:27], off
	global_store_dwordx2 v[80:81], v[28:29], off
	;; [unrolled: 1-line block ×12, first 2 shown]
.LBB11_276:
	s_endpgm
	.section	.rodata,"a",@progbits
	.p2align	6, 0x0
	.amdhsa_kernel _ZN9rocsolver6v33100L18trti2_kernel_smallILi12EdPdEEv13rocblas_fill_17rocblas_diagonal_T1_iil
		.amdhsa_group_segment_fixed_size 192
		.amdhsa_private_segment_fixed_size 0
		.amdhsa_kernarg_size 32
		.amdhsa_user_sgpr_count 6
		.amdhsa_user_sgpr_private_segment_buffer 1
		.amdhsa_user_sgpr_dispatch_ptr 0
		.amdhsa_user_sgpr_queue_ptr 0
		.amdhsa_user_sgpr_kernarg_segment_ptr 1
		.amdhsa_user_sgpr_dispatch_id 0
		.amdhsa_user_sgpr_flat_scratch_init 0
		.amdhsa_user_sgpr_private_segment_size 0
		.amdhsa_uses_dynamic_stack 0
		.amdhsa_system_sgpr_private_segment_wavefront_offset 0
		.amdhsa_system_sgpr_workgroup_id_x 1
		.amdhsa_system_sgpr_workgroup_id_y 0
		.amdhsa_system_sgpr_workgroup_id_z 0
		.amdhsa_system_sgpr_workgroup_info 0
		.amdhsa_system_vgpr_workitem_id 0
		.amdhsa_next_free_vgpr 104
		.amdhsa_next_free_sgpr 42
		.amdhsa_reserve_vcc 1
		.amdhsa_reserve_flat_scratch 0
		.amdhsa_float_round_mode_32 0
		.amdhsa_float_round_mode_16_64 0
		.amdhsa_float_denorm_mode_32 3
		.amdhsa_float_denorm_mode_16_64 3
		.amdhsa_dx10_clamp 1
		.amdhsa_ieee_mode 1
		.amdhsa_fp16_overflow 0
		.amdhsa_exception_fp_ieee_invalid_op 0
		.amdhsa_exception_fp_denorm_src 0
		.amdhsa_exception_fp_ieee_div_zero 0
		.amdhsa_exception_fp_ieee_overflow 0
		.amdhsa_exception_fp_ieee_underflow 0
		.amdhsa_exception_fp_ieee_inexact 0
		.amdhsa_exception_int_div_zero 0
	.end_amdhsa_kernel
	.section	.text._ZN9rocsolver6v33100L18trti2_kernel_smallILi12EdPdEEv13rocblas_fill_17rocblas_diagonal_T1_iil,"axG",@progbits,_ZN9rocsolver6v33100L18trti2_kernel_smallILi12EdPdEEv13rocblas_fill_17rocblas_diagonal_T1_iil,comdat
.Lfunc_end11:
	.size	_ZN9rocsolver6v33100L18trti2_kernel_smallILi12EdPdEEv13rocblas_fill_17rocblas_diagonal_T1_iil, .Lfunc_end11-_ZN9rocsolver6v33100L18trti2_kernel_smallILi12EdPdEEv13rocblas_fill_17rocblas_diagonal_T1_iil
                                        ; -- End function
	.set _ZN9rocsolver6v33100L18trti2_kernel_smallILi12EdPdEEv13rocblas_fill_17rocblas_diagonal_T1_iil.num_vgpr, 104
	.set _ZN9rocsolver6v33100L18trti2_kernel_smallILi12EdPdEEv13rocblas_fill_17rocblas_diagonal_T1_iil.num_agpr, 0
	.set _ZN9rocsolver6v33100L18trti2_kernel_smallILi12EdPdEEv13rocblas_fill_17rocblas_diagonal_T1_iil.numbered_sgpr, 42
	.set _ZN9rocsolver6v33100L18trti2_kernel_smallILi12EdPdEEv13rocblas_fill_17rocblas_diagonal_T1_iil.num_named_barrier, 0
	.set _ZN9rocsolver6v33100L18trti2_kernel_smallILi12EdPdEEv13rocblas_fill_17rocblas_diagonal_T1_iil.private_seg_size, 0
	.set _ZN9rocsolver6v33100L18trti2_kernel_smallILi12EdPdEEv13rocblas_fill_17rocblas_diagonal_T1_iil.uses_vcc, 1
	.set _ZN9rocsolver6v33100L18trti2_kernel_smallILi12EdPdEEv13rocblas_fill_17rocblas_diagonal_T1_iil.uses_flat_scratch, 0
	.set _ZN9rocsolver6v33100L18trti2_kernel_smallILi12EdPdEEv13rocblas_fill_17rocblas_diagonal_T1_iil.has_dyn_sized_stack, 0
	.set _ZN9rocsolver6v33100L18trti2_kernel_smallILi12EdPdEEv13rocblas_fill_17rocblas_diagonal_T1_iil.has_recursion, 0
	.set _ZN9rocsolver6v33100L18trti2_kernel_smallILi12EdPdEEv13rocblas_fill_17rocblas_diagonal_T1_iil.has_indirect_call, 0
	.section	.AMDGPU.csdata,"",@progbits
; Kernel info:
; codeLenInByte = 20816
; TotalNumSgprs: 46
; NumVgprs: 104
; ScratchSize: 0
; MemoryBound: 0
; FloatMode: 240
; IeeeMode: 1
; LDSByteSize: 192 bytes/workgroup (compile time only)
; SGPRBlocks: 5
; VGPRBlocks: 25
; NumSGPRsForWavesPerEU: 46
; NumVGPRsForWavesPerEU: 104
; Occupancy: 2
; WaveLimiterHint : 0
; COMPUTE_PGM_RSRC2:SCRATCH_EN: 0
; COMPUTE_PGM_RSRC2:USER_SGPR: 6
; COMPUTE_PGM_RSRC2:TRAP_HANDLER: 0
; COMPUTE_PGM_RSRC2:TGID_X_EN: 1
; COMPUTE_PGM_RSRC2:TGID_Y_EN: 0
; COMPUTE_PGM_RSRC2:TGID_Z_EN: 0
; COMPUTE_PGM_RSRC2:TIDIG_COMP_CNT: 0
	.section	.text._ZN9rocsolver6v33100L18trti2_kernel_smallILi13EdPdEEv13rocblas_fill_17rocblas_diagonal_T1_iil,"axG",@progbits,_ZN9rocsolver6v33100L18trti2_kernel_smallILi13EdPdEEv13rocblas_fill_17rocblas_diagonal_T1_iil,comdat
	.globl	_ZN9rocsolver6v33100L18trti2_kernel_smallILi13EdPdEEv13rocblas_fill_17rocblas_diagonal_T1_iil ; -- Begin function _ZN9rocsolver6v33100L18trti2_kernel_smallILi13EdPdEEv13rocblas_fill_17rocblas_diagonal_T1_iil
	.p2align	8
	.type	_ZN9rocsolver6v33100L18trti2_kernel_smallILi13EdPdEEv13rocblas_fill_17rocblas_diagonal_T1_iil,@function
_ZN9rocsolver6v33100L18trti2_kernel_smallILi13EdPdEEv13rocblas_fill_17rocblas_diagonal_T1_iil: ; @_ZN9rocsolver6v33100L18trti2_kernel_smallILi13EdPdEEv13rocblas_fill_17rocblas_diagonal_T1_iil
; %bb.0:
	v_cmp_gt_u32_e32 vcc, 13, v0
	s_and_saveexec_b64 s[0:1], vcc
	s_cbranch_execz .LBB12_302
; %bb.1:
	s_load_dwordx8 s[24:31], s[4:5], 0x0
	s_ashr_i32 s2, s6, 31
	v_lshlrev_b32_e32 v30, 3, v0
	v_mov_b32_e32 v28, 0
	v_mov_b32_e32 v29, 0xbff00000
	s_waitcnt lgkmcnt(0)
	s_mul_hi_u32 s3, s30, s6
	s_mul_i32 s2, s30, s2
	s_add_i32 s2, s3, s2
	s_mul_i32 s3, s31, s6
	s_add_i32 s3, s2, s3
	s_mul_i32 s2, s30, s6
	s_ashr_i32 s1, s28, 31
	s_lshl_b64 s[2:3], s[2:3], 3
	s_mov_b32 s0, s28
	s_add_u32 s2, s26, s2
	s_addc_u32 s3, s27, s3
	s_lshl_b64 s[0:1], s[0:1], 3
	s_add_u32 s0, s2, s0
	s_addc_u32 s1, s3, s1
	s_add_i32 s2, s29, s29
	v_add_u32_e32 v1, s2, v0
	v_ashrrev_i32_e32 v2, 31, v1
	v_lshlrev_b64 v[2:3], 3, v[1:2]
	v_add_u32_e32 v1, s29, v1
	v_mov_b32_e32 v4, s1
	v_add_co_u32_e32 v60, vcc, s0, v2
	v_ashrrev_i32_e32 v2, 31, v1
	v_addc_co_u32_e32 v61, vcc, v4, v3, vcc
	v_lshlrev_b64 v[2:3], 3, v[1:2]
	v_add_u32_e32 v1, s29, v1
	v_add_co_u32_e32 v62, vcc, s0, v2
	v_ashrrev_i32_e32 v2, 31, v1
	v_addc_co_u32_e32 v63, vcc, v4, v3, vcc
	v_lshlrev_b64 v[2:3], 3, v[1:2]
	v_add_u32_e32 v1, s29, v1
	v_add_co_u32_e32 v64, vcc, s0, v2
	v_ashrrev_i32_e32 v2, 31, v1
	v_addc_co_u32_e32 v65, vcc, v4, v3, vcc
	v_lshlrev_b64 v[2:3], 3, v[1:2]
	v_add_u32_e32 v1, s29, v1
	v_add_co_u32_e32 v66, vcc, s0, v2
	v_ashrrev_i32_e32 v2, 31, v1
	v_addc_co_u32_e32 v67, vcc, v4, v3, vcc
	v_lshlrev_b64 v[2:3], 3, v[1:2]
	v_add_u32_e32 v1, s29, v1
	v_add_co_u32_e32 v68, vcc, s0, v2
	v_ashrrev_i32_e32 v2, 31, v1
	v_addc_co_u32_e32 v69, vcc, v4, v3, vcc
	v_lshlrev_b64 v[2:3], 3, v[1:2]
	v_add_u32_e32 v1, s29, v1
	v_add_co_u32_e32 v70, vcc, s0, v2
	v_ashrrev_i32_e32 v2, 31, v1
	v_addc_co_u32_e32 v71, vcc, v4, v3, vcc
	v_lshlrev_b64 v[2:3], 3, v[1:2]
	v_add_u32_e32 v1, s29, v1
	v_add_co_u32_e32 v72, vcc, s0, v2
	v_ashrrev_i32_e32 v2, 31, v1
	v_addc_co_u32_e32 v73, vcc, v4, v3, vcc
	v_lshlrev_b64 v[2:3], 3, v[1:2]
	v_add_u32_e32 v1, s29, v1
	v_add_co_u32_e32 v74, vcc, s0, v2
	v_ashrrev_i32_e32 v2, 31, v1
	v_addc_co_u32_e32 v75, vcc, v4, v3, vcc
	v_lshlrev_b64 v[2:3], 3, v[1:2]
	v_add_u32_e32 v1, s29, v1
	v_add_co_u32_e32 v76, vcc, s0, v2
	v_ashrrev_i32_e32 v2, 31, v1
	v_addc_co_u32_e32 v77, vcc, v4, v3, vcc
	v_lshlrev_b64 v[2:3], 3, v[1:2]
	v_add_u32_e32 v1, s29, v1
	v_add_co_u32_e32 v78, vcc, s0, v2
	v_ashrrev_i32_e32 v2, 31, v1
	v_lshlrev_b64 v[1:2], 3, v[1:2]
	v_addc_co_u32_e32 v79, vcc, v4, v3, vcc
	v_mov_b32_e32 v3, s1
	v_add_co_u32_e32 v80, vcc, s0, v1
	v_addc_co_u32_e32 v81, vcc, v3, v2, vcc
	v_mov_b32_e32 v1, s1
	v_add_co_u32_e32 v82, vcc, s0, v30
	s_ashr_i32 s3, s29, 31
	s_mov_b32 s2, s29
	v_addc_co_u32_e32 v83, vcc, 0, v1, vcc
	s_lshl_b64 s[2:3], s[2:3], 3
	v_mov_b32_e32 v1, s3
	v_add_co_u32_e32 v84, vcc, s2, v82
	v_addc_co_u32_e32 v85, vcc, v83, v1, vcc
	global_load_dwordx2 v[2:3], v30, s[0:1]
	global_load_dwordx2 v[4:5], v[84:85], off
	global_load_dwordx2 v[6:7], v[60:61], off
	;; [unrolled: 1-line block ×12, first 2 shown]
	s_cmpk_lg_i32 s25, 0x84
	s_cselect_b64 s[26:27], -1, 0
	s_cmpk_eq_i32 s25, 0x84
	v_mov_b32_e32 v1, 0
	s_cbranch_scc1 .LBB12_3
; %bb.2:
	v_cmp_eq_u32_e64 s[0:1], 1, v0
	s_waitcnt vmcnt(11)
	v_cndmask_b32_e64 v28, v3, v5, s[0:1]
	v_cmp_eq_u32_e64 s[2:3], 2, v0
	s_waitcnt vmcnt(10)
	v_cndmask_b32_e64 v28, v28, v7, s[2:3]
	v_cmp_eq_u32_e64 s[4:5], 3, v0
	s_waitcnt vmcnt(9)
	v_cndmask_b32_e64 v28, v28, v9, s[4:5]
	v_cmp_eq_u32_e64 s[6:7], 4, v0
	s_waitcnt vmcnt(8)
	v_cndmask_b32_e64 v28, v28, v11, s[6:7]
	v_cmp_eq_u32_e64 s[8:9], 5, v0
	s_waitcnt vmcnt(7)
	v_cndmask_b32_e64 v28, v28, v13, s[8:9]
	v_cmp_eq_u32_e64 s[10:11], 6, v0
	s_waitcnt vmcnt(6)
	v_cndmask_b32_e64 v28, v28, v15, s[10:11]
	v_cmp_eq_u32_e64 s[12:13], 7, v0
	s_waitcnt vmcnt(5)
	v_cndmask_b32_e64 v28, v28, v17, s[12:13]
	v_cmp_eq_u32_e64 s[14:15], 8, v0
	s_waitcnt vmcnt(4)
	v_cndmask_b32_e64 v28, v28, v19, s[14:15]
	v_cmp_eq_u32_e64 s[16:17], 9, v0
	s_waitcnt vmcnt(3)
	v_cndmask_b32_e64 v28, v28, v21, s[16:17]
	v_cmp_eq_u32_e64 s[18:19], 10, v0
	s_waitcnt vmcnt(2)
	v_cndmask_b32_e64 v28, v28, v23, s[18:19]
	v_cmp_eq_u32_e64 s[20:21], 11, v0
	s_waitcnt vmcnt(1)
	v_cndmask_b32_e64 v28, v28, v25, s[20:21]
	v_cmp_eq_u32_e64 s[22:23], 12, v0
	s_waitcnt vmcnt(0)
	v_cndmask_b32_e64 v29, v28, v27, s[22:23]
	v_cndmask_b32_e64 v28, v2, v4, s[0:1]
	v_cndmask_b32_e64 v28, v28, v6, s[2:3]
	;; [unrolled: 1-line block ×12, first 2 shown]
	v_div_scale_f64 v[31:32], s[28:29], v[28:29], v[28:29], 1.0
	v_rcp_f64_e32 v[33:34], v[31:32]
	v_fma_f64 v[35:36], -v[31:32], v[33:34], 1.0
	v_fma_f64 v[33:34], v[33:34], v[35:36], v[33:34]
	v_div_scale_f64 v[35:36], vcc, 1.0, v[28:29], 1.0
	v_fma_f64 v[37:38], -v[31:32], v[33:34], 1.0
	v_fma_f64 v[33:34], v[33:34], v[37:38], v[33:34]
	v_mul_f64 v[37:38], v[35:36], v[33:34]
	v_fma_f64 v[31:32], -v[31:32], v[37:38], v[35:36]
	v_div_fmas_f64 v[31:32], v[31:32], v[33:34], v[37:38]
	v_cmp_eq_u32_e32 vcc, 0, v0
	v_div_fixup_f64 v[28:29], v[31:32], v[28:29], 1.0
	v_cndmask_b32_e64 v27, v27, v29, s[22:23]
	v_cndmask_b32_e64 v26, v26, v28, s[22:23]
	;; [unrolled: 1-line block ×24, first 2 shown]
	v_cndmask_b32_e32 v3, v3, v29, vcc
	v_cndmask_b32_e32 v2, v2, v28, vcc
	v_xor_b32_e32 v29, 0x80000000, v29
.LBB12_3:
	s_cmpk_eq_i32 s24, 0x79
	v_add_u32_e32 v88, 0x70, v30
	ds_write_b64 v30, v[28:29]
	s_cbranch_scc1 .LBB12_7
; %bb.4:
	s_waitcnt vmcnt(0)
	v_mov_b32_e32 v59, v33
	v_mov_b32_e32 v58, v32
	;; [unrolled: 1-line block ×32, first 2 shown]
	v_cmp_eq_u32_e64 s[2:3], 12, v0
	ds_write_b64 v88, v[24:25]
	s_waitcnt lgkmcnt(0)
	; wave barrier
	s_and_saveexec_b64 s[24:25], s[2:3]
	s_cbranch_execz .LBB12_11
; %bb.5:
	s_and_b64 vcc, exec, s[26:27]
	s_cbranch_vccz .LBB12_8
; %bb.6:
	v_cmp_eq_u32_e32 vcc, 1, v0
	v_cndmask_b32_e32 v28, v3, v5, vcc
	v_cmp_eq_u32_e64 s[0:1], 2, v0
	v_cndmask_b32_e64 v28, v28, v7, s[0:1]
	v_cmp_eq_u32_e64 s[4:5], 3, v0
	v_cndmask_b32_e64 v28, v28, v9, s[4:5]
	;; [unrolled: 2-line block ×11, first 2 shown]
	v_cndmask_b32_e32 v28, v2, v4, vcc
	v_cndmask_b32_e64 v28, v28, v6, s[0:1]
	v_cndmask_b32_e64 v28, v28, v8, s[4:5]
	;; [unrolled: 1-line block ×7, first 2 shown]
	ds_read_b64 v[30:31], v88
	v_cndmask_b32_e64 v28, v28, v20, s[16:17]
	v_cndmask_b32_e64 v28, v28, v22, s[18:19]
	;; [unrolled: 1-line block ×4, first 2 shown]
	s_waitcnt lgkmcnt(0)
	v_mul_f64 v[32:33], v[28:29], v[30:31]
	s_cbranch_execz .LBB12_9
	s_branch .LBB12_10
.LBB12_7:
                                        ; implicit-def: $vgpr28_vgpr29_vgpr30_vgpr31_vgpr32_vgpr33_vgpr34_vgpr35_vgpr36_vgpr37_vgpr38_vgpr39_vgpr40_vgpr41_vgpr42_vgpr43_vgpr44_vgpr45_vgpr46_vgpr47_vgpr48_vgpr49_vgpr50_vgpr51_vgpr52_vgpr53_vgpr54_vgpr55_vgpr56_vgpr57_vgpr58_vgpr59
	s_cbranch_execnz .LBB12_178
	s_branch .LBB12_301
.LBB12_8:
                                        ; implicit-def: $vgpr32_vgpr33
.LBB12_9:
	ds_read_b64 v[32:33], v88
.LBB12_10:
	v_mov_b32_e32 v28, 0
	ds_read_b64 v[34:35], v28 offset:88
	v_mov_b32_e32 v28, v2
	v_mov_b32_e32 v29, v3
	;; [unrolled: 1-line block ×4, first 2 shown]
	s_waitcnt lgkmcnt(0)
	v_mul_f64 v[50:51], v[32:33], v[34:35]
	v_mov_b32_e32 v32, v6
	v_mov_b32_e32 v33, v7
	;; [unrolled: 1-line block ×20, first 2 shown]
.LBB12_11:
	s_or_b64 exec, exec, s[24:25]
	v_cmp_lt_u32_e64 s[0:1], 10, v0
	ds_write_b64 v88, v[48:49]
	s_waitcnt lgkmcnt(0)
	; wave barrier
	s_and_saveexec_b64 s[28:29], s[0:1]
	s_cbranch_execz .LBB12_17
; %bb.12:
	s_andn2_b64 vcc, exec, s[26:27]
	s_cbranch_vccnz .LBB12_14
; %bb.13:
	v_cmp_eq_u32_e32 vcc, 1, v0
	v_cndmask_b32_e32 v54, v29, v31, vcc
	v_cmp_eq_u32_e64 s[4:5], 2, v0
	v_cndmask_b32_e64 v54, v54, v33, s[4:5]
	v_cmp_eq_u32_e64 s[6:7], 3, v0
	v_cndmask_b32_e64 v54, v54, v35, s[6:7]
	;; [unrolled: 2-line block ×9, first 2 shown]
	v_cndmask_b32_e32 v54, v28, v30, vcc
	v_cndmask_b32_e64 v54, v54, v32, s[4:5]
	v_cndmask_b32_e64 v54, v54, v34, s[6:7]
	;; [unrolled: 1-line block ×7, first 2 shown]
	ds_read_b64 v[54:55], v88
	v_cndmask_b32_e64 v56, v56, v46, s[18:19]
	v_cmp_eq_u32_e64 s[22:23], 11, v0
	v_cndmask_b32_e64 v48, v56, v48, s[20:21]
	v_cndmask_b32_e64 v49, v49, v51, s[22:23]
	v_cmp_eq_u32_e64 s[24:25], 12, v0
	v_cndmask_b32_e64 v48, v48, v50, s[22:23]
	v_cndmask_b32_e64 v49, v49, v53, s[24:25]
	v_cndmask_b32_e64 v48, v48, v52, s[24:25]
	s_waitcnt lgkmcnt(0)
	v_mul_f64 v[48:49], v[48:49], v[54:55]
	s_cbranch_execz .LBB12_15
	s_branch .LBB12_16
.LBB12_14:
                                        ; implicit-def: $vgpr48_vgpr49
.LBB12_15:
	ds_read_b64 v[48:49], v88
.LBB12_16:
	v_mov_b32_e32 v54, 0
	ds_read2_b64 v[54:57], v54 offset0:10 offset1:25
	s_waitcnt lgkmcnt(0)
	v_fma_f64 v[56:57], v[50:51], v[56:57], v[48:49]
	v_cndmask_b32_e64 v49, v49, v57, s[2:3]
	v_cndmask_b32_e64 v48, v48, v56, s[2:3]
	v_mul_f64 v[48:49], v[48:49], v[54:55]
.LBB12_17:
	s_or_b64 exec, exec, s[28:29]
	v_cmp_lt_u32_e64 s[2:3], 9, v0
	ds_write_b64 v88, v[46:47]
	s_waitcnt lgkmcnt(0)
	; wave barrier
	s_and_saveexec_b64 s[28:29], s[2:3]
	s_cbranch_execz .LBB12_33
; %bb.18:
	s_andn2_b64 vcc, exec, s[26:27]
	s_cbranch_vccnz .LBB12_20
; %bb.19:
	v_cmp_eq_u32_e32 vcc, 1, v0
	v_cndmask_b32_e32 v86, v29, v31, vcc
	v_cmp_eq_u32_e64 s[4:5], 2, v0
	v_cndmask_b32_e64 v86, v86, v33, s[4:5]
	v_cmp_eq_u32_e64 s[6:7], 3, v0
	v_cndmask_b32_e64 v86, v86, v35, s[6:7]
	;; [unrolled: 2-line block ×11, first 2 shown]
	v_cndmask_b32_e32 v86, v28, v30, vcc
	v_cndmask_b32_e64 v86, v86, v32, s[4:5]
	v_cndmask_b32_e64 v86, v86, v34, s[6:7]
	v_cndmask_b32_e64 v86, v86, v36, s[8:9]
	v_cndmask_b32_e64 v86, v86, v38, s[10:11]
	v_cndmask_b32_e64 v86, v86, v40, s[12:13]
	v_cndmask_b32_e64 v86, v86, v42, s[14:15]
	v_cndmask_b32_e64 v86, v86, v44, s[16:17]
	ds_read_b64 v[89:90], v88
	v_cndmask_b32_e64 v86, v86, v46, s[18:19]
	v_cndmask_b32_e64 v86, v86, v48, s[20:21]
	;; [unrolled: 1-line block ×4, first 2 shown]
	s_waitcnt lgkmcnt(0)
	v_mul_f64 v[86:87], v[86:87], v[89:90]
	s_cbranch_execz .LBB12_21
	s_branch .LBB12_22
.LBB12_20:
                                        ; implicit-def: $vgpr86_vgpr87
.LBB12_21:
	ds_read_b64 v[86:87], v88
.LBB12_22:
	s_and_saveexec_b64 s[4:5], s[0:1]
	s_cbranch_execz .LBB12_32
; %bb.23:
	v_add_u32_e32 v90, -11, v0
	v_add_u32_e32 v89, -10, v0
	v_cmp_lt_u32_e32 vcc, 6, v90
	v_mov_b32_e32 v90, 10
	s_and_saveexec_b64 s[0:1], vcc
	s_cbranch_execz .LBB12_27
; %bb.24:
	v_and_b32_e32 v90, -8, v89
	v_sub_u32_e32 v91, 0, v90
	s_mov_b64 s[6:7], 17
	s_movk_i32 s10, 0xc0
	s_mov_b64 s[8:9], 0
.LBB12_25:                              ; =>This Inner Loop Header: Depth=1
	s_lshl_b32 s11, s6, 1
	s_add_i32 s12, s11, -13
	v_mov_b32_e32 v90, s10
	s_add_i32 s13, s11, -14
	s_set_gpr_idx_on s12, gpr_idx(SRC0)
	v_mov_b32_e32 v101, v28
	s_set_gpr_idx_off
	s_set_gpr_idx_on s13, gpr_idx(SRC0)
	v_mov_b32_e32 v100, v28
	s_set_gpr_idx_off
	ds_read_b128 v[92:95], v90
	ds_read_b128 v[96:99], v90 offset:16
	s_add_i32 s12, s11, -11
	s_add_i32 s13, s11, -12
	s_waitcnt lgkmcnt(1)
	v_fma_f64 v[86:87], v[100:101], v[92:93], v[86:87]
	ds_read_b128 v[100:103], v90 offset:32
	ds_read_b128 v[104:107], v90 offset:48
	s_set_gpr_idx_on s12, gpr_idx(SRC0)
	v_mov_b32_e32 v93, v28
	s_set_gpr_idx_off
	s_set_gpr_idx_on s13, gpr_idx(SRC0)
	v_mov_b32_e32 v92, v28
	s_set_gpr_idx_off
	s_add_i32 s12, s11, -9
	s_add_i32 s13, s11, -10
	v_fma_f64 v[86:87], v[92:93], v[94:95], v[86:87]
	s_set_gpr_idx_on s12, gpr_idx(SRC0)
	v_mov_b32_e32 v93, v28
	s_set_gpr_idx_off
	s_set_gpr_idx_on s13, gpr_idx(SRC0)
	v_mov_b32_e32 v92, v28
	s_set_gpr_idx_off
	s_add_i32 s12, s11, -7
	s_add_i32 s13, s11, -8
	s_waitcnt lgkmcnt(2)
	v_fma_f64 v[86:87], v[92:93], v[96:97], v[86:87]
	s_set_gpr_idx_on s12, gpr_idx(SRC0)
	v_mov_b32_e32 v93, v28
	s_set_gpr_idx_off
	s_set_gpr_idx_on s13, gpr_idx(SRC0)
	v_mov_b32_e32 v92, v28
	s_set_gpr_idx_off
	s_add_i32 s12, s11, -5
	s_add_i32 s13, s11, -6
	v_fma_f64 v[86:87], v[92:93], v[98:99], v[86:87]
	s_set_gpr_idx_on s12, gpr_idx(SRC0)
	v_mov_b32_e32 v93, v28
	s_set_gpr_idx_off
	s_set_gpr_idx_on s13, gpr_idx(SRC0)
	v_mov_b32_e32 v92, v28
	s_set_gpr_idx_off
	s_add_i32 s12, s11, -3
	s_add_i32 s13, s11, -4
	s_waitcnt lgkmcnt(1)
	v_fma_f64 v[86:87], v[92:93], v[100:101], v[86:87]
	s_set_gpr_idx_on s12, gpr_idx(SRC0)
	v_mov_b32_e32 v93, v28
	s_set_gpr_idx_off
	s_set_gpr_idx_on s13, gpr_idx(SRC0)
	v_mov_b32_e32 v92, v28
	s_set_gpr_idx_off
	s_add_i32 s12, s11, -1
	s_add_i32 s13, s11, -2
	s_add_u32 s6, s6, 8
	v_add_u32_e32 v90, s6, v91
	s_addc_u32 s7, s7, 0
	v_fma_f64 v[86:87], v[92:93], v[102:103], v[86:87]
	s_set_gpr_idx_on s12, gpr_idx(SRC0)
	v_mov_b32_e32 v93, v28
	s_set_gpr_idx_off
	s_set_gpr_idx_on s13, gpr_idx(SRC0)
	v_mov_b32_e32 v92, v28
	s_set_gpr_idx_off
	s_add_i32 s10, s10, 64
	v_cmp_eq_u32_e32 vcc, 17, v90
	s_waitcnt lgkmcnt(0)
	v_fma_f64 v[86:87], v[92:93], v[104:105], v[86:87]
	s_set_gpr_idx_on s11, gpr_idx(SRC0)
	v_mov_b32_e32 v93, v29
	v_mov_b32_e32 v92, v28
	s_set_gpr_idx_off
	s_add_i32 s11, s6, -7
	s_or_b64 s[8:9], vcc, s[8:9]
	v_mov_b32_e32 v90, s11
	v_fma_f64 v[86:87], v[92:93], v[106:107], v[86:87]
	s_andn2_b64 exec, exec, s[8:9]
	s_cbranch_execnz .LBB12_25
; %bb.26:
	s_or_b64 exec, exec, s[8:9]
.LBB12_27:
	s_or_b64 exec, exec, s[0:1]
	v_and_b32_e32 v54, 7, v89
	v_cmp_ne_u32_e32 vcc, 0, v54
	s_and_saveexec_b64 s[6:7], vcc
	s_cbranch_execz .LBB12_31
; %bb.28:
	v_mov_b32_e32 v55, 0x70
	v_lshl_add_u32 v55, v90, 3, v55
	v_mov_b32_e32 v56, 0
	s_mov_b64 s[8:9], 0
.LBB12_29:                              ; =>This Inner Loop Header: Depth=1
	v_cmp_eq_u32_e32 vcc, 1, v90
	v_cndmask_b32_e32 v59, v29, v31, vcc
	v_cmp_eq_u32_e64 s[0:1], 2, v90
	v_cndmask_b32_e64 v59, v59, v33, s[0:1]
	v_cndmask_b32_e32 v89, v28, v30, vcc
	v_cmp_eq_u32_e32 vcc, 3, v90
	v_cndmask_b32_e32 v59, v59, v35, vcc
	v_cndmask_b32_e64 v89, v89, v32, s[0:1]
	v_cmp_eq_u32_e64 s[0:1], 4, v90
	v_cndmask_b32_e64 v59, v59, v37, s[0:1]
	v_cndmask_b32_e32 v89, v89, v34, vcc
	v_cmp_eq_u32_e32 vcc, 5, v90
	v_cndmask_b32_e32 v59, v59, v39, vcc
	v_cndmask_b32_e64 v89, v89, v36, s[0:1]
	;; [unrolled: 6-line block ×3, first 2 shown]
	v_cmp_eq_u32_e64 s[0:1], 8, v90
	v_cndmask_b32_e64 v59, v59, v45, s[0:1]
	v_cndmask_b32_e32 v89, v89, v42, vcc
	v_cmp_eq_u32_e32 vcc, 9, v90
	ds_read_b64 v[57:58], v55
	v_cndmask_b32_e32 v59, v59, v47, vcc
	v_cndmask_b32_e64 v89, v89, v44, s[0:1]
	v_cmp_eq_u32_e64 s[0:1], 10, v90
	v_cndmask_b32_e64 v59, v59, v49, s[0:1]
	v_cndmask_b32_e32 v89, v89, v46, vcc
	v_cmp_eq_u32_e32 vcc, 11, v90
	v_cndmask_b32_e32 v59, v59, v51, vcc
	v_cndmask_b32_e64 v89, v89, v48, s[0:1]
	v_cmp_eq_u32_e64 s[0:1], 12, v90
	v_cndmask_b32_e64 v92, v59, v53, s[0:1]
	v_cndmask_b32_e32 v59, v89, v50, vcc
	v_cndmask_b32_e64 v91, v59, v52, s[0:1]
	s_waitcnt lgkmcnt(0)
	v_fma_f64 v[86:87], v[91:92], v[57:58], v[86:87]
	v_add_u32_e32 v54, -1, v54
	v_cmp_eq_u32_e32 vcc, 0, v54
	s_or_b64 s[8:9], vcc, s[8:9]
	v_add_co_u32_e32 v90, vcc, 1, v90
	v_add_u32_e32 v55, 8, v55
	v_addc_co_u32_e32 v56, vcc, 0, v56, vcc
	s_andn2_b64 exec, exec, s[8:9]
	s_cbranch_execnz .LBB12_29
; %bb.30:
	s_or_b64 exec, exec, s[8:9]
.LBB12_31:
	s_or_b64 exec, exec, s[6:7]
.LBB12_32:
	s_or_b64 exec, exec, s[4:5]
	v_mov_b32_e32 v46, 0
	ds_read_b64 v[46:47], v46 offset:72
	s_waitcnt lgkmcnt(0)
	v_mul_f64 v[46:47], v[86:87], v[46:47]
.LBB12_33:
	s_or_b64 exec, exec, s[28:29]
	v_cmp_lt_u32_e64 s[0:1], 8, v0
	ds_write_b64 v88, v[44:45]
	s_waitcnt lgkmcnt(0)
	; wave barrier
	s_and_saveexec_b64 s[28:29], s[0:1]
	s_cbranch_execz .LBB12_49
; %bb.34:
	s_andn2_b64 vcc, exec, s[26:27]
	s_cbranch_vccnz .LBB12_36
; %bb.35:
	v_cmp_eq_u32_e32 vcc, 1, v0
	v_cndmask_b32_e32 v86, v29, v31, vcc
	v_cmp_eq_u32_e64 s[4:5], 2, v0
	v_cndmask_b32_e64 v86, v86, v33, s[4:5]
	v_cmp_eq_u32_e64 s[6:7], 3, v0
	v_cndmask_b32_e64 v86, v86, v35, s[6:7]
	;; [unrolled: 2-line block ×11, first 2 shown]
	v_cndmask_b32_e32 v86, v28, v30, vcc
	v_cndmask_b32_e64 v86, v86, v32, s[4:5]
	v_cndmask_b32_e64 v86, v86, v34, s[6:7]
	;; [unrolled: 1-line block ×7, first 2 shown]
	ds_read_b64 v[89:90], v88
	v_cndmask_b32_e64 v86, v86, v46, s[18:19]
	v_cndmask_b32_e64 v86, v86, v48, s[20:21]
	;; [unrolled: 1-line block ×4, first 2 shown]
	s_waitcnt lgkmcnt(0)
	v_mul_f64 v[86:87], v[86:87], v[89:90]
	s_cbranch_execz .LBB12_37
	s_branch .LBB12_38
.LBB12_36:
                                        ; implicit-def: $vgpr86_vgpr87
.LBB12_37:
	ds_read_b64 v[86:87], v88
.LBB12_38:
	s_and_saveexec_b64 s[4:5], s[2:3]
	s_cbranch_execz .LBB12_48
; %bb.39:
	v_add_u32_e32 v90, -10, v0
	v_add_u32_e32 v89, -9, v0
	v_cmp_lt_u32_e32 vcc, 6, v90
	v_mov_b32_e32 v90, 9
	s_and_saveexec_b64 s[2:3], vcc
	s_cbranch_execz .LBB12_43
; %bb.40:
	v_and_b32_e32 v90, -8, v89
	v_sub_u32_e32 v91, 0, v90
	s_mov_b64 s[6:7], 16
	s_movk_i32 s10, 0xb8
	s_mov_b64 s[8:9], 0
.LBB12_41:                              ; =>This Inner Loop Header: Depth=1
	s_lshl_b32 s11, s6, 1
	s_add_i32 s12, s11, -13
	v_mov_b32_e32 v90, s10
	s_add_i32 s13, s11, -14
	s_set_gpr_idx_on s12, gpr_idx(SRC0)
	v_mov_b32_e32 v97, v28
	s_set_gpr_idx_off
	s_set_gpr_idx_on s13, gpr_idx(SRC0)
	v_mov_b32_e32 v96, v28
	s_set_gpr_idx_off
	ds_read2_b64 v[92:95], v90 offset1:1
	s_add_i32 s12, s11, -11
	s_add_i32 s13, s11, -12
	;; [unrolled: 1-line block ×4, first 2 shown]
	s_waitcnt lgkmcnt(0)
	v_fma_f64 v[86:87], v[96:97], v[92:93], v[86:87]
	s_set_gpr_idx_on s12, gpr_idx(SRC0)
	v_mov_b32_e32 v93, v28
	s_set_gpr_idx_off
	s_set_gpr_idx_on s13, gpr_idx(SRC0)
	v_mov_b32_e32 v92, v28
	s_set_gpr_idx_off
	s_add_i32 s12, s11, -7
	s_add_i32 s13, s11, -8
	v_fma_f64 v[86:87], v[92:93], v[94:95], v[86:87]
	s_set_gpr_idx_on s14, gpr_idx(SRC0)
	v_mov_b32_e32 v97, v28
	s_set_gpr_idx_off
	s_set_gpr_idx_on s15, gpr_idx(SRC0)
	v_mov_b32_e32 v96, v28
	s_set_gpr_idx_off
	ds_read2_b64 v[92:95], v90 offset0:2 offset1:3
	s_add_i32 s14, s11, -5
	s_add_i32 s15, s11, -6
	s_waitcnt lgkmcnt(0)
	v_fma_f64 v[86:87], v[96:97], v[92:93], v[86:87]
	s_set_gpr_idx_on s12, gpr_idx(SRC0)
	v_mov_b32_e32 v93, v28
	s_set_gpr_idx_off
	s_set_gpr_idx_on s13, gpr_idx(SRC0)
	v_mov_b32_e32 v92, v28
	s_set_gpr_idx_off
	s_add_i32 s12, s11, -3
	s_add_i32 s13, s11, -4
	v_fma_f64 v[86:87], v[92:93], v[94:95], v[86:87]
	s_set_gpr_idx_on s14, gpr_idx(SRC0)
	v_mov_b32_e32 v97, v28
	s_set_gpr_idx_off
	s_set_gpr_idx_on s15, gpr_idx(SRC0)
	v_mov_b32_e32 v96, v28
	s_set_gpr_idx_off
	ds_read2_b64 v[92:95], v90 offset0:4 offset1:5
	s_add_i32 s14, s11, -1
	s_add_i32 s15, s11, -2
	s_add_u32 s6, s6, 8
	s_addc_u32 s7, s7, 0
	s_waitcnt lgkmcnt(0)
	v_fma_f64 v[86:87], v[96:97], v[92:93], v[86:87]
	s_set_gpr_idx_on s12, gpr_idx(SRC0)
	v_mov_b32_e32 v93, v28
	s_set_gpr_idx_off
	s_set_gpr_idx_on s13, gpr_idx(SRC0)
	v_mov_b32_e32 v92, v28
	s_set_gpr_idx_off
	s_add_i32 s10, s10, 64
	v_fma_f64 v[86:87], v[92:93], v[94:95], v[86:87]
	s_set_gpr_idx_on s14, gpr_idx(SRC0)
	v_mov_b32_e32 v97, v28
	s_set_gpr_idx_off
	s_set_gpr_idx_on s15, gpr_idx(SRC0)
	v_mov_b32_e32 v96, v28
	s_set_gpr_idx_off
	ds_read2_b64 v[92:95], v90 offset0:6 offset1:7
	v_add_u32_e32 v90, s6, v91
	v_cmp_eq_u32_e32 vcc, 16, v90
	s_waitcnt lgkmcnt(0)
	v_fma_f64 v[86:87], v[96:97], v[92:93], v[86:87]
	s_set_gpr_idx_on s11, gpr_idx(SRC0)
	v_mov_b32_e32 v93, v29
	v_mov_b32_e32 v92, v28
	s_set_gpr_idx_off
	s_add_i32 s11, s6, -7
	s_or_b64 s[8:9], vcc, s[8:9]
	v_mov_b32_e32 v90, s11
	v_fma_f64 v[86:87], v[92:93], v[94:95], v[86:87]
	s_andn2_b64 exec, exec, s[8:9]
	s_cbranch_execnz .LBB12_41
; %bb.42:
	s_or_b64 exec, exec, s[8:9]
.LBB12_43:
	s_or_b64 exec, exec, s[2:3]
	v_and_b32_e32 v54, 7, v89
	v_cmp_ne_u32_e32 vcc, 0, v54
	s_and_saveexec_b64 s[6:7], vcc
	s_cbranch_execz .LBB12_47
; %bb.44:
	v_mov_b32_e32 v55, 0x70
	v_lshl_add_u32 v55, v90, 3, v55
	v_mov_b32_e32 v56, 0
	s_mov_b64 s[8:9], 0
.LBB12_45:                              ; =>This Inner Loop Header: Depth=1
	v_cmp_eq_u32_e32 vcc, 1, v90
	v_cndmask_b32_e32 v59, v29, v31, vcc
	v_cmp_eq_u32_e64 s[2:3], 2, v90
	v_cndmask_b32_e64 v59, v59, v33, s[2:3]
	v_cndmask_b32_e32 v89, v28, v30, vcc
	v_cmp_eq_u32_e32 vcc, 3, v90
	v_cndmask_b32_e32 v59, v59, v35, vcc
	v_cndmask_b32_e64 v89, v89, v32, s[2:3]
	v_cmp_eq_u32_e64 s[2:3], 4, v90
	v_cndmask_b32_e64 v59, v59, v37, s[2:3]
	v_cndmask_b32_e32 v89, v89, v34, vcc
	v_cmp_eq_u32_e32 vcc, 5, v90
	v_cndmask_b32_e32 v59, v59, v39, vcc
	v_cndmask_b32_e64 v89, v89, v36, s[2:3]
	;; [unrolled: 6-line block ×3, first 2 shown]
	v_cmp_eq_u32_e64 s[2:3], 8, v90
	v_cndmask_b32_e64 v59, v59, v45, s[2:3]
	v_cndmask_b32_e32 v89, v89, v42, vcc
	v_cmp_eq_u32_e32 vcc, 9, v90
	ds_read_b64 v[57:58], v55
	v_cndmask_b32_e32 v59, v59, v47, vcc
	v_cndmask_b32_e64 v89, v89, v44, s[2:3]
	v_cmp_eq_u32_e64 s[2:3], 10, v90
	v_cndmask_b32_e64 v59, v59, v49, s[2:3]
	v_cndmask_b32_e32 v89, v89, v46, vcc
	v_cmp_eq_u32_e32 vcc, 11, v90
	v_cndmask_b32_e32 v59, v59, v51, vcc
	v_cndmask_b32_e64 v89, v89, v48, s[2:3]
	v_cmp_eq_u32_e64 s[2:3], 12, v90
	v_cndmask_b32_e64 v92, v59, v53, s[2:3]
	v_cndmask_b32_e32 v59, v89, v50, vcc
	v_cndmask_b32_e64 v91, v59, v52, s[2:3]
	s_waitcnt lgkmcnt(0)
	v_fma_f64 v[86:87], v[91:92], v[57:58], v[86:87]
	v_add_u32_e32 v54, -1, v54
	v_cmp_eq_u32_e32 vcc, 0, v54
	s_or_b64 s[8:9], vcc, s[8:9]
	v_add_co_u32_e32 v90, vcc, 1, v90
	v_add_u32_e32 v55, 8, v55
	v_addc_co_u32_e32 v56, vcc, 0, v56, vcc
	s_andn2_b64 exec, exec, s[8:9]
	s_cbranch_execnz .LBB12_45
; %bb.46:
	s_or_b64 exec, exec, s[8:9]
.LBB12_47:
	s_or_b64 exec, exec, s[6:7]
.LBB12_48:
	s_or_b64 exec, exec, s[4:5]
	v_mov_b32_e32 v44, 0
	ds_read_b64 v[44:45], v44 offset:64
	s_waitcnt lgkmcnt(0)
	v_mul_f64 v[44:45], v[86:87], v[44:45]
.LBB12_49:
	s_or_b64 exec, exec, s[28:29]
	v_cmp_lt_u32_e64 s[2:3], 7, v0
	ds_write_b64 v88, v[42:43]
	s_waitcnt lgkmcnt(0)
	; wave barrier
	s_and_saveexec_b64 s[28:29], s[2:3]
	s_cbranch_execz .LBB12_65
; %bb.50:
	s_andn2_b64 vcc, exec, s[26:27]
	s_cbranch_vccnz .LBB12_52
; %bb.51:
	v_cmp_eq_u32_e32 vcc, 1, v0
	v_cndmask_b32_e32 v86, v29, v31, vcc
	v_cmp_eq_u32_e64 s[4:5], 2, v0
	v_cndmask_b32_e64 v86, v86, v33, s[4:5]
	v_cmp_eq_u32_e64 s[6:7], 3, v0
	v_cndmask_b32_e64 v86, v86, v35, s[6:7]
	;; [unrolled: 2-line block ×11, first 2 shown]
	v_cndmask_b32_e32 v86, v28, v30, vcc
	v_cndmask_b32_e64 v86, v86, v32, s[4:5]
	v_cndmask_b32_e64 v86, v86, v34, s[6:7]
	;; [unrolled: 1-line block ×7, first 2 shown]
	ds_read_b64 v[89:90], v88
	v_cndmask_b32_e64 v86, v86, v46, s[18:19]
	v_cndmask_b32_e64 v86, v86, v48, s[20:21]
	;; [unrolled: 1-line block ×4, first 2 shown]
	s_waitcnt lgkmcnt(0)
	v_mul_f64 v[86:87], v[86:87], v[89:90]
	s_cbranch_execz .LBB12_53
	s_branch .LBB12_54
.LBB12_52:
                                        ; implicit-def: $vgpr86_vgpr87
.LBB12_53:
	ds_read_b64 v[86:87], v88
.LBB12_54:
	s_and_saveexec_b64 s[4:5], s[0:1]
	s_cbranch_execz .LBB12_64
; %bb.55:
	v_add_u32_e32 v89, -9, v0
	v_cmp_lt_u32_e32 vcc, 6, v89
	v_mov_b32_e32 v89, 8
	s_and_saveexec_b64 s[0:1], vcc
	s_cbranch_execz .LBB12_59
; %bb.56:
	v_and_b32_e32 v89, 8, v0
	v_sub_u32_e32 v90, 0, v89
	s_mov_b64 s[6:7], 15
	s_movk_i32 s10, 0xb0
	s_mov_b64 s[8:9], 0
.LBB12_57:                              ; =>This Inner Loop Header: Depth=1
	s_lshl_b32 s11, s6, 1
	s_add_i32 s12, s11, -13
	v_mov_b32_e32 v89, s10
	s_add_i32 s13, s11, -14
	s_set_gpr_idx_on s12, gpr_idx(SRC0)
	v_mov_b32_e32 v100, v28
	s_set_gpr_idx_off
	s_set_gpr_idx_on s13, gpr_idx(SRC0)
	v_mov_b32_e32 v99, v28
	s_set_gpr_idx_off
	ds_read_b128 v[91:94], v89
	ds_read_b128 v[95:98], v89 offset:16
	s_add_i32 s12, s11, -11
	s_add_i32 s13, s11, -12
	s_waitcnt lgkmcnt(1)
	v_fma_f64 v[86:87], v[99:100], v[91:92], v[86:87]
	ds_read_b128 v[99:102], v89 offset:32
	ds_read_b128 v[103:106], v89 offset:48
	s_set_gpr_idx_on s12, gpr_idx(SRC0)
	v_mov_b32_e32 v92, v28
	s_set_gpr_idx_off
	s_set_gpr_idx_on s13, gpr_idx(SRC0)
	v_mov_b32_e32 v91, v28
	s_set_gpr_idx_off
	s_add_i32 s12, s11, -9
	s_add_i32 s13, s11, -10
	v_fma_f64 v[86:87], v[91:92], v[93:94], v[86:87]
	s_set_gpr_idx_on s12, gpr_idx(SRC0)
	v_mov_b32_e32 v92, v28
	s_set_gpr_idx_off
	s_set_gpr_idx_on s13, gpr_idx(SRC0)
	v_mov_b32_e32 v91, v28
	s_set_gpr_idx_off
	s_add_i32 s12, s11, -7
	s_add_i32 s13, s11, -8
	s_waitcnt lgkmcnt(2)
	v_fma_f64 v[86:87], v[91:92], v[95:96], v[86:87]
	s_set_gpr_idx_on s12, gpr_idx(SRC0)
	v_mov_b32_e32 v92, v28
	s_set_gpr_idx_off
	s_set_gpr_idx_on s13, gpr_idx(SRC0)
	v_mov_b32_e32 v91, v28
	s_set_gpr_idx_off
	s_add_i32 s12, s11, -5
	s_add_i32 s13, s11, -6
	v_fma_f64 v[86:87], v[91:92], v[97:98], v[86:87]
	s_set_gpr_idx_on s12, gpr_idx(SRC0)
	v_mov_b32_e32 v92, v28
	s_set_gpr_idx_off
	s_set_gpr_idx_on s13, gpr_idx(SRC0)
	v_mov_b32_e32 v91, v28
	s_set_gpr_idx_off
	s_add_i32 s12, s11, -3
	s_add_i32 s13, s11, -4
	s_waitcnt lgkmcnt(1)
	v_fma_f64 v[86:87], v[91:92], v[99:100], v[86:87]
	s_set_gpr_idx_on s12, gpr_idx(SRC0)
	v_mov_b32_e32 v92, v28
	s_set_gpr_idx_off
	s_set_gpr_idx_on s13, gpr_idx(SRC0)
	v_mov_b32_e32 v91, v28
	s_set_gpr_idx_off
	s_add_i32 s12, s11, -1
	s_add_i32 s13, s11, -2
	s_add_u32 s6, s6, 8
	v_add_u32_e32 v89, s6, v90
	s_addc_u32 s7, s7, 0
	v_fma_f64 v[86:87], v[91:92], v[101:102], v[86:87]
	s_set_gpr_idx_on s12, gpr_idx(SRC0)
	v_mov_b32_e32 v92, v28
	s_set_gpr_idx_off
	s_set_gpr_idx_on s13, gpr_idx(SRC0)
	v_mov_b32_e32 v91, v28
	s_set_gpr_idx_off
	s_add_i32 s10, s10, 64
	v_cmp_eq_u32_e32 vcc, 7, v89
	s_waitcnt lgkmcnt(0)
	v_fma_f64 v[86:87], v[91:92], v[103:104], v[86:87]
	s_set_gpr_idx_on s11, gpr_idx(SRC0)
	v_mov_b32_e32 v92, v29
	v_mov_b32_e32 v91, v28
	s_set_gpr_idx_off
	s_add_i32 s11, s6, -7
	s_or_b64 s[8:9], vcc, s[8:9]
	v_mov_b32_e32 v89, s11
	v_fma_f64 v[86:87], v[91:92], v[105:106], v[86:87]
	s_andn2_b64 exec, exec, s[8:9]
	s_cbranch_execnz .LBB12_57
; %bb.58:
	s_or_b64 exec, exec, s[8:9]
.LBB12_59:
	s_or_b64 exec, exec, s[0:1]
	v_and_b32_e32 v54, 7, v0
	v_cmp_ne_u32_e32 vcc, 0, v54
	s_and_saveexec_b64 s[6:7], vcc
	s_cbranch_execz .LBB12_63
; %bb.60:
	v_mov_b32_e32 v55, 0x70
	v_lshl_add_u32 v55, v89, 3, v55
	v_mov_b32_e32 v56, 0
	s_mov_b64 s[8:9], 0
.LBB12_61:                              ; =>This Inner Loop Header: Depth=1
	v_cmp_eq_u32_e32 vcc, 1, v89
	v_cndmask_b32_e32 v59, v29, v31, vcc
	v_cmp_eq_u32_e64 s[0:1], 2, v89
	v_cndmask_b32_e64 v59, v59, v33, s[0:1]
	v_cndmask_b32_e32 v90, v28, v30, vcc
	v_cmp_eq_u32_e32 vcc, 3, v89
	v_cndmask_b32_e32 v59, v59, v35, vcc
	v_cndmask_b32_e64 v90, v90, v32, s[0:1]
	v_cmp_eq_u32_e64 s[0:1], 4, v89
	v_cndmask_b32_e64 v59, v59, v37, s[0:1]
	v_cndmask_b32_e32 v90, v90, v34, vcc
	v_cmp_eq_u32_e32 vcc, 5, v89
	v_cndmask_b32_e32 v59, v59, v39, vcc
	v_cndmask_b32_e64 v90, v90, v36, s[0:1]
	;; [unrolled: 6-line block ×3, first 2 shown]
	v_cmp_eq_u32_e64 s[0:1], 8, v89
	v_cndmask_b32_e64 v59, v59, v45, s[0:1]
	v_cndmask_b32_e32 v90, v90, v42, vcc
	v_cmp_eq_u32_e32 vcc, 9, v89
	ds_read_b64 v[57:58], v55
	v_cndmask_b32_e32 v59, v59, v47, vcc
	v_cndmask_b32_e64 v90, v90, v44, s[0:1]
	v_cmp_eq_u32_e64 s[0:1], 10, v89
	v_cndmask_b32_e64 v59, v59, v49, s[0:1]
	v_cndmask_b32_e32 v90, v90, v46, vcc
	v_cmp_eq_u32_e32 vcc, 11, v89
	v_cndmask_b32_e32 v59, v59, v51, vcc
	v_cndmask_b32_e64 v90, v90, v48, s[0:1]
	v_cmp_eq_u32_e64 s[0:1], 12, v89
	v_cndmask_b32_e64 v91, v59, v53, s[0:1]
	v_cndmask_b32_e32 v59, v90, v50, vcc
	v_cndmask_b32_e64 v90, v59, v52, s[0:1]
	s_waitcnt lgkmcnt(0)
	v_fma_f64 v[86:87], v[90:91], v[57:58], v[86:87]
	v_add_u32_e32 v54, -1, v54
	v_cmp_eq_u32_e32 vcc, 0, v54
	s_or_b64 s[8:9], vcc, s[8:9]
	v_add_co_u32_e32 v89, vcc, 1, v89
	v_add_u32_e32 v55, 8, v55
	v_addc_co_u32_e32 v56, vcc, 0, v56, vcc
	s_andn2_b64 exec, exec, s[8:9]
	s_cbranch_execnz .LBB12_61
; %bb.62:
	s_or_b64 exec, exec, s[8:9]
.LBB12_63:
	s_or_b64 exec, exec, s[6:7]
.LBB12_64:
	s_or_b64 exec, exec, s[4:5]
	v_mov_b32_e32 v42, 0
	ds_read_b64 v[42:43], v42 offset:56
	s_waitcnt lgkmcnt(0)
	v_mul_f64 v[42:43], v[86:87], v[42:43]
.LBB12_65:
	s_or_b64 exec, exec, s[28:29]
	v_cmp_lt_u32_e64 s[0:1], 6, v0
	ds_write_b64 v88, v[40:41]
	s_waitcnt lgkmcnt(0)
	; wave barrier
	s_and_saveexec_b64 s[28:29], s[0:1]
	s_cbranch_execz .LBB12_81
; %bb.66:
	s_andn2_b64 vcc, exec, s[26:27]
	s_cbranch_vccnz .LBB12_68
; %bb.67:
	v_cmp_eq_u32_e32 vcc, 1, v0
	v_cndmask_b32_e32 v86, v29, v31, vcc
	v_cmp_eq_u32_e64 s[4:5], 2, v0
	v_cndmask_b32_e64 v86, v86, v33, s[4:5]
	v_cmp_eq_u32_e64 s[6:7], 3, v0
	v_cndmask_b32_e64 v86, v86, v35, s[6:7]
	;; [unrolled: 2-line block ×11, first 2 shown]
	v_cndmask_b32_e32 v86, v28, v30, vcc
	v_cndmask_b32_e64 v86, v86, v32, s[4:5]
	v_cndmask_b32_e64 v86, v86, v34, s[6:7]
	;; [unrolled: 1-line block ×7, first 2 shown]
	ds_read_b64 v[89:90], v88
	v_cndmask_b32_e64 v86, v86, v46, s[18:19]
	v_cndmask_b32_e64 v86, v86, v48, s[20:21]
	;; [unrolled: 1-line block ×4, first 2 shown]
	s_waitcnt lgkmcnt(0)
	v_mul_f64 v[86:87], v[86:87], v[89:90]
	s_cbranch_execz .LBB12_69
	s_branch .LBB12_70
.LBB12_68:
                                        ; implicit-def: $vgpr86_vgpr87
.LBB12_69:
	ds_read_b64 v[86:87], v88
.LBB12_70:
	s_and_saveexec_b64 s[4:5], s[2:3]
	s_cbranch_execz .LBB12_80
; %bb.71:
	v_add_u32_e32 v90, -8, v0
	v_add_u32_e32 v89, -7, v0
	v_cmp_lt_u32_e32 vcc, 6, v90
	v_mov_b32_e32 v90, 7
	s_and_saveexec_b64 s[2:3], vcc
	s_cbranch_execz .LBB12_75
; %bb.72:
	v_and_b32_e32 v90, -8, v89
	v_sub_u32_e32 v91, 0, v90
	s_mov_b64 s[6:7], 14
	s_movk_i32 s10, 0xa8
	s_mov_b64 s[8:9], 0
.LBB12_73:                              ; =>This Inner Loop Header: Depth=1
	s_lshl_b32 s11, s6, 1
	s_add_i32 s12, s11, -13
	v_mov_b32_e32 v90, s10
	s_add_i32 s13, s11, -14
	s_set_gpr_idx_on s12, gpr_idx(SRC0)
	v_mov_b32_e32 v97, v28
	s_set_gpr_idx_off
	s_set_gpr_idx_on s13, gpr_idx(SRC0)
	v_mov_b32_e32 v96, v28
	s_set_gpr_idx_off
	ds_read2_b64 v[92:95], v90 offset1:1
	s_add_i32 s12, s11, -11
	s_add_i32 s13, s11, -12
	;; [unrolled: 1-line block ×4, first 2 shown]
	s_waitcnt lgkmcnt(0)
	v_fma_f64 v[86:87], v[96:97], v[92:93], v[86:87]
	s_set_gpr_idx_on s12, gpr_idx(SRC0)
	v_mov_b32_e32 v93, v28
	s_set_gpr_idx_off
	s_set_gpr_idx_on s13, gpr_idx(SRC0)
	v_mov_b32_e32 v92, v28
	s_set_gpr_idx_off
	s_add_i32 s12, s11, -7
	s_add_i32 s13, s11, -8
	v_fma_f64 v[86:87], v[92:93], v[94:95], v[86:87]
	s_set_gpr_idx_on s14, gpr_idx(SRC0)
	v_mov_b32_e32 v97, v28
	s_set_gpr_idx_off
	s_set_gpr_idx_on s15, gpr_idx(SRC0)
	v_mov_b32_e32 v96, v28
	s_set_gpr_idx_off
	ds_read2_b64 v[92:95], v90 offset0:2 offset1:3
	s_add_i32 s14, s11, -5
	s_add_i32 s15, s11, -6
	s_waitcnt lgkmcnt(0)
	v_fma_f64 v[86:87], v[96:97], v[92:93], v[86:87]
	s_set_gpr_idx_on s12, gpr_idx(SRC0)
	v_mov_b32_e32 v93, v28
	s_set_gpr_idx_off
	s_set_gpr_idx_on s13, gpr_idx(SRC0)
	v_mov_b32_e32 v92, v28
	s_set_gpr_idx_off
	s_add_i32 s12, s11, -3
	s_add_i32 s13, s11, -4
	v_fma_f64 v[86:87], v[92:93], v[94:95], v[86:87]
	s_set_gpr_idx_on s14, gpr_idx(SRC0)
	v_mov_b32_e32 v97, v28
	s_set_gpr_idx_off
	s_set_gpr_idx_on s15, gpr_idx(SRC0)
	v_mov_b32_e32 v96, v28
	s_set_gpr_idx_off
	ds_read2_b64 v[92:95], v90 offset0:4 offset1:5
	s_add_i32 s14, s11, -1
	s_add_i32 s15, s11, -2
	s_add_u32 s6, s6, 8
	s_addc_u32 s7, s7, 0
	s_waitcnt lgkmcnt(0)
	v_fma_f64 v[86:87], v[96:97], v[92:93], v[86:87]
	s_set_gpr_idx_on s12, gpr_idx(SRC0)
	v_mov_b32_e32 v93, v28
	s_set_gpr_idx_off
	s_set_gpr_idx_on s13, gpr_idx(SRC0)
	v_mov_b32_e32 v92, v28
	s_set_gpr_idx_off
	s_add_i32 s10, s10, 64
	v_fma_f64 v[86:87], v[92:93], v[94:95], v[86:87]
	s_set_gpr_idx_on s14, gpr_idx(SRC0)
	v_mov_b32_e32 v97, v28
	s_set_gpr_idx_off
	s_set_gpr_idx_on s15, gpr_idx(SRC0)
	v_mov_b32_e32 v96, v28
	s_set_gpr_idx_off
	ds_read2_b64 v[92:95], v90 offset0:6 offset1:7
	v_add_u32_e32 v90, s6, v91
	v_cmp_eq_u32_e32 vcc, 14, v90
	s_waitcnt lgkmcnt(0)
	v_fma_f64 v[86:87], v[96:97], v[92:93], v[86:87]
	s_set_gpr_idx_on s11, gpr_idx(SRC0)
	v_mov_b32_e32 v93, v29
	v_mov_b32_e32 v92, v28
	s_set_gpr_idx_off
	s_add_i32 s11, s6, -7
	s_or_b64 s[8:9], vcc, s[8:9]
	v_mov_b32_e32 v90, s11
	v_fma_f64 v[86:87], v[92:93], v[94:95], v[86:87]
	s_andn2_b64 exec, exec, s[8:9]
	s_cbranch_execnz .LBB12_73
; %bb.74:
	s_or_b64 exec, exec, s[8:9]
.LBB12_75:
	s_or_b64 exec, exec, s[2:3]
	v_and_b32_e32 v54, 7, v89
	v_cmp_ne_u32_e32 vcc, 0, v54
	s_and_saveexec_b64 s[6:7], vcc
	s_cbranch_execz .LBB12_79
; %bb.76:
	v_mov_b32_e32 v55, 0x70
	v_lshl_add_u32 v55, v90, 3, v55
	v_mov_b32_e32 v56, 0
	s_mov_b64 s[8:9], 0
.LBB12_77:                              ; =>This Inner Loop Header: Depth=1
	v_cmp_eq_u32_e32 vcc, 1, v90
	v_cndmask_b32_e32 v59, v29, v31, vcc
	v_cmp_eq_u32_e64 s[2:3], 2, v90
	v_cndmask_b32_e64 v59, v59, v33, s[2:3]
	v_cndmask_b32_e32 v89, v28, v30, vcc
	v_cmp_eq_u32_e32 vcc, 3, v90
	v_cndmask_b32_e32 v59, v59, v35, vcc
	v_cndmask_b32_e64 v89, v89, v32, s[2:3]
	v_cmp_eq_u32_e64 s[2:3], 4, v90
	v_cndmask_b32_e64 v59, v59, v37, s[2:3]
	v_cndmask_b32_e32 v89, v89, v34, vcc
	v_cmp_eq_u32_e32 vcc, 5, v90
	v_cndmask_b32_e32 v59, v59, v39, vcc
	v_cndmask_b32_e64 v89, v89, v36, s[2:3]
	;; [unrolled: 6-line block ×3, first 2 shown]
	v_cmp_eq_u32_e64 s[2:3], 8, v90
	v_cndmask_b32_e64 v59, v59, v45, s[2:3]
	v_cndmask_b32_e32 v89, v89, v42, vcc
	v_cmp_eq_u32_e32 vcc, 9, v90
	ds_read_b64 v[57:58], v55
	v_cndmask_b32_e32 v59, v59, v47, vcc
	v_cndmask_b32_e64 v89, v89, v44, s[2:3]
	v_cmp_eq_u32_e64 s[2:3], 10, v90
	v_cndmask_b32_e64 v59, v59, v49, s[2:3]
	v_cndmask_b32_e32 v89, v89, v46, vcc
	v_cmp_eq_u32_e32 vcc, 11, v90
	v_cndmask_b32_e32 v59, v59, v51, vcc
	v_cndmask_b32_e64 v89, v89, v48, s[2:3]
	v_cmp_eq_u32_e64 s[2:3], 12, v90
	v_cndmask_b32_e64 v92, v59, v53, s[2:3]
	v_cndmask_b32_e32 v59, v89, v50, vcc
	v_cndmask_b32_e64 v91, v59, v52, s[2:3]
	s_waitcnt lgkmcnt(0)
	v_fma_f64 v[86:87], v[91:92], v[57:58], v[86:87]
	v_add_u32_e32 v54, -1, v54
	v_cmp_eq_u32_e32 vcc, 0, v54
	s_or_b64 s[8:9], vcc, s[8:9]
	v_add_co_u32_e32 v90, vcc, 1, v90
	v_add_u32_e32 v55, 8, v55
	v_addc_co_u32_e32 v56, vcc, 0, v56, vcc
	s_andn2_b64 exec, exec, s[8:9]
	s_cbranch_execnz .LBB12_77
; %bb.78:
	s_or_b64 exec, exec, s[8:9]
.LBB12_79:
	s_or_b64 exec, exec, s[6:7]
.LBB12_80:
	s_or_b64 exec, exec, s[4:5]
	v_mov_b32_e32 v40, 0
	ds_read_b64 v[40:41], v40 offset:48
	s_waitcnt lgkmcnt(0)
	v_mul_f64 v[40:41], v[86:87], v[40:41]
.LBB12_81:
	s_or_b64 exec, exec, s[28:29]
	v_cmp_lt_u32_e64 s[2:3], 5, v0
	ds_write_b64 v88, v[38:39]
	s_waitcnt lgkmcnt(0)
	; wave barrier
	s_and_saveexec_b64 s[28:29], s[2:3]
	s_cbranch_execz .LBB12_97
; %bb.82:
	s_andn2_b64 vcc, exec, s[26:27]
	s_cbranch_vccnz .LBB12_84
; %bb.83:
	v_cmp_eq_u32_e32 vcc, 1, v0
	v_cndmask_b32_e32 v86, v29, v31, vcc
	v_cmp_eq_u32_e64 s[4:5], 2, v0
	v_cndmask_b32_e64 v86, v86, v33, s[4:5]
	v_cmp_eq_u32_e64 s[6:7], 3, v0
	v_cndmask_b32_e64 v86, v86, v35, s[6:7]
	;; [unrolled: 2-line block ×11, first 2 shown]
	v_cndmask_b32_e32 v86, v28, v30, vcc
	v_cndmask_b32_e64 v86, v86, v32, s[4:5]
	v_cndmask_b32_e64 v86, v86, v34, s[6:7]
	;; [unrolled: 1-line block ×7, first 2 shown]
	ds_read_b64 v[89:90], v88
	v_cndmask_b32_e64 v86, v86, v46, s[18:19]
	v_cndmask_b32_e64 v86, v86, v48, s[20:21]
	;; [unrolled: 1-line block ×4, first 2 shown]
	s_waitcnt lgkmcnt(0)
	v_mul_f64 v[86:87], v[86:87], v[89:90]
	s_cbranch_execz .LBB12_85
	s_branch .LBB12_86
.LBB12_84:
                                        ; implicit-def: $vgpr86_vgpr87
.LBB12_85:
	ds_read_b64 v[86:87], v88
.LBB12_86:
	s_and_saveexec_b64 s[4:5], s[0:1]
	s_cbranch_execz .LBB12_96
; %bb.87:
	v_add_u32_e32 v91, -7, v0
	v_add_u32_e32 v90, -6, v0
	v_mov_b32_e32 v89, 6
	v_cmp_lt_u32_e32 vcc, 6, v91
	s_and_saveexec_b64 s[0:1], vcc
	s_cbranch_execz .LBB12_91
; %bb.88:
	v_and_b32_e32 v89, -8, v90
	v_sub_u32_e32 v91, 0, v89
	s_mov_b64 s[6:7], 13
	s_movk_i32 s10, 0xa0
	s_mov_b64 s[8:9], 0
.LBB12_89:                              ; =>This Inner Loop Header: Depth=1
	s_lshl_b32 s11, s6, 1
	s_add_i32 s12, s11, -13
	v_mov_b32_e32 v89, s10
	s_add_i32 s13, s11, -14
	s_set_gpr_idx_on s12, gpr_idx(SRC0)
	v_mov_b32_e32 v101, v28
	s_set_gpr_idx_off
	s_set_gpr_idx_on s13, gpr_idx(SRC0)
	v_mov_b32_e32 v100, v28
	s_set_gpr_idx_off
	ds_read_b128 v[92:95], v89
	ds_read_b128 v[96:99], v89 offset:16
	s_add_i32 s12, s11, -11
	s_add_i32 s13, s11, -12
	s_waitcnt lgkmcnt(1)
	v_fma_f64 v[86:87], v[100:101], v[92:93], v[86:87]
	ds_read_b128 v[100:103], v89 offset:32
	ds_read_b128 v[104:107], v89 offset:48
	s_set_gpr_idx_on s12, gpr_idx(SRC0)
	v_mov_b32_e32 v93, v28
	s_set_gpr_idx_off
	s_set_gpr_idx_on s13, gpr_idx(SRC0)
	v_mov_b32_e32 v92, v28
	s_set_gpr_idx_off
	s_add_i32 s12, s11, -9
	s_add_i32 s13, s11, -10
	v_fma_f64 v[86:87], v[92:93], v[94:95], v[86:87]
	s_set_gpr_idx_on s12, gpr_idx(SRC0)
	v_mov_b32_e32 v93, v28
	s_set_gpr_idx_off
	s_set_gpr_idx_on s13, gpr_idx(SRC0)
	v_mov_b32_e32 v92, v28
	s_set_gpr_idx_off
	s_add_i32 s12, s11, -7
	s_add_i32 s13, s11, -8
	s_waitcnt lgkmcnt(2)
	v_fma_f64 v[86:87], v[92:93], v[96:97], v[86:87]
	s_set_gpr_idx_on s12, gpr_idx(SRC0)
	v_mov_b32_e32 v93, v28
	s_set_gpr_idx_off
	s_set_gpr_idx_on s13, gpr_idx(SRC0)
	v_mov_b32_e32 v92, v28
	s_set_gpr_idx_off
	s_add_i32 s12, s11, -5
	s_add_i32 s13, s11, -6
	v_fma_f64 v[86:87], v[92:93], v[98:99], v[86:87]
	s_set_gpr_idx_on s12, gpr_idx(SRC0)
	v_mov_b32_e32 v93, v28
	s_set_gpr_idx_off
	s_set_gpr_idx_on s13, gpr_idx(SRC0)
	v_mov_b32_e32 v92, v28
	s_set_gpr_idx_off
	s_add_i32 s12, s11, -3
	s_add_i32 s13, s11, -4
	s_waitcnt lgkmcnt(1)
	v_fma_f64 v[86:87], v[92:93], v[100:101], v[86:87]
	s_set_gpr_idx_on s12, gpr_idx(SRC0)
	v_mov_b32_e32 v93, v28
	s_set_gpr_idx_off
	s_set_gpr_idx_on s13, gpr_idx(SRC0)
	v_mov_b32_e32 v92, v28
	s_set_gpr_idx_off
	s_add_i32 s12, s11, -1
	s_add_i32 s13, s11, -2
	s_add_u32 s6, s6, 8
	v_add_u32_e32 v89, s6, v91
	s_addc_u32 s7, s7, 0
	v_fma_f64 v[86:87], v[92:93], v[102:103], v[86:87]
	s_set_gpr_idx_on s12, gpr_idx(SRC0)
	v_mov_b32_e32 v93, v28
	s_set_gpr_idx_off
	s_set_gpr_idx_on s13, gpr_idx(SRC0)
	v_mov_b32_e32 v92, v28
	s_set_gpr_idx_off
	s_add_i32 s10, s10, 64
	v_cmp_eq_u32_e32 vcc, 13, v89
	s_waitcnt lgkmcnt(0)
	v_fma_f64 v[86:87], v[92:93], v[104:105], v[86:87]
	s_set_gpr_idx_on s11, gpr_idx(SRC0)
	v_mov_b32_e32 v93, v29
	v_mov_b32_e32 v92, v28
	s_set_gpr_idx_off
	s_add_i32 s11, s6, -7
	s_or_b64 s[8:9], vcc, s[8:9]
	v_mov_b32_e32 v89, s11
	v_fma_f64 v[86:87], v[92:93], v[106:107], v[86:87]
	s_andn2_b64 exec, exec, s[8:9]
	s_cbranch_execnz .LBB12_89
; %bb.90:
	s_or_b64 exec, exec, s[8:9]
.LBB12_91:
	s_or_b64 exec, exec, s[0:1]
	v_and_b32_e32 v54, 7, v90
	v_cmp_ne_u32_e32 vcc, 0, v54
	s_and_saveexec_b64 s[6:7], vcc
	s_cbranch_execz .LBB12_95
; %bb.92:
	v_mov_b32_e32 v55, 0x70
	v_lshl_add_u32 v55, v89, 3, v55
	v_mov_b32_e32 v56, 0
	s_mov_b64 s[8:9], 0
.LBB12_93:                              ; =>This Inner Loop Header: Depth=1
	v_cmp_eq_u32_e32 vcc, 1, v89
	v_cndmask_b32_e32 v59, v29, v31, vcc
	v_cmp_eq_u32_e64 s[0:1], 2, v89
	v_cndmask_b32_e64 v59, v59, v33, s[0:1]
	v_cndmask_b32_e32 v90, v28, v30, vcc
	v_cmp_eq_u32_e32 vcc, 3, v89
	v_cndmask_b32_e32 v59, v59, v35, vcc
	v_cndmask_b32_e64 v90, v90, v32, s[0:1]
	v_cmp_eq_u32_e64 s[0:1], 4, v89
	v_cndmask_b32_e64 v59, v59, v37, s[0:1]
	v_cndmask_b32_e32 v90, v90, v34, vcc
	v_cmp_eq_u32_e32 vcc, 5, v89
	v_cndmask_b32_e32 v59, v59, v39, vcc
	v_cndmask_b32_e64 v90, v90, v36, s[0:1]
	;; [unrolled: 6-line block ×3, first 2 shown]
	v_cmp_eq_u32_e64 s[0:1], 8, v89
	v_cndmask_b32_e64 v59, v59, v45, s[0:1]
	v_cndmask_b32_e32 v90, v90, v42, vcc
	v_cmp_eq_u32_e32 vcc, 9, v89
	ds_read_b64 v[57:58], v55
	v_cndmask_b32_e32 v59, v59, v47, vcc
	v_cndmask_b32_e64 v90, v90, v44, s[0:1]
	v_cmp_eq_u32_e64 s[0:1], 10, v89
	v_cndmask_b32_e64 v59, v59, v49, s[0:1]
	v_cndmask_b32_e32 v90, v90, v46, vcc
	v_cmp_eq_u32_e32 vcc, 11, v89
	v_cndmask_b32_e32 v59, v59, v51, vcc
	v_cndmask_b32_e64 v90, v90, v48, s[0:1]
	v_cmp_eq_u32_e64 s[0:1], 12, v89
	v_cndmask_b32_e64 v91, v59, v53, s[0:1]
	v_cndmask_b32_e32 v59, v90, v50, vcc
	v_cndmask_b32_e64 v90, v59, v52, s[0:1]
	s_waitcnt lgkmcnt(0)
	v_fma_f64 v[86:87], v[90:91], v[57:58], v[86:87]
	v_add_u32_e32 v54, -1, v54
	v_cmp_eq_u32_e32 vcc, 0, v54
	s_or_b64 s[8:9], vcc, s[8:9]
	v_add_co_u32_e32 v89, vcc, 1, v89
	v_add_u32_e32 v55, 8, v55
	v_addc_co_u32_e32 v56, vcc, 0, v56, vcc
	s_andn2_b64 exec, exec, s[8:9]
	s_cbranch_execnz .LBB12_93
; %bb.94:
	s_or_b64 exec, exec, s[8:9]
.LBB12_95:
	s_or_b64 exec, exec, s[6:7]
.LBB12_96:
	s_or_b64 exec, exec, s[4:5]
	v_mov_b32_e32 v38, 0
	ds_read_b64 v[38:39], v38 offset:40
	s_waitcnt lgkmcnt(0)
	v_mul_f64 v[38:39], v[86:87], v[38:39]
.LBB12_97:
	s_or_b64 exec, exec, s[28:29]
	v_cmp_lt_u32_e64 s[0:1], 4, v0
	ds_write_b64 v88, v[36:37]
	s_waitcnt lgkmcnt(0)
	; wave barrier
	s_and_saveexec_b64 s[28:29], s[0:1]
	s_cbranch_execz .LBB12_113
; %bb.98:
	s_andn2_b64 vcc, exec, s[26:27]
	s_cbranch_vccnz .LBB12_100
; %bb.99:
	v_cmp_eq_u32_e32 vcc, 1, v0
	v_cndmask_b32_e32 v86, v29, v31, vcc
	v_cmp_eq_u32_e64 s[4:5], 2, v0
	v_cndmask_b32_e64 v86, v86, v33, s[4:5]
	v_cmp_eq_u32_e64 s[6:7], 3, v0
	v_cndmask_b32_e64 v86, v86, v35, s[6:7]
	v_cmp_eq_u32_e64 s[8:9], 4, v0
	v_cndmask_b32_e64 v86, v86, v37, s[8:9]
	v_cmp_eq_u32_e64 s[10:11], 5, v0
	v_cndmask_b32_e64 v86, v86, v39, s[10:11]
	v_cmp_eq_u32_e64 s[12:13], 6, v0
	v_cndmask_b32_e64 v86, v86, v41, s[12:13]
	v_cmp_eq_u32_e64 s[14:15], 7, v0
	v_cndmask_b32_e64 v86, v86, v43, s[14:15]
	v_cmp_eq_u32_e64 s[16:17], 8, v0
	v_cndmask_b32_e64 v86, v86, v45, s[16:17]
	v_cmp_eq_u32_e64 s[18:19], 9, v0
	v_cndmask_b32_e64 v86, v86, v47, s[18:19]
	v_cmp_eq_u32_e64 s[20:21], 10, v0
	v_cndmask_b32_e64 v86, v86, v49, s[20:21]
	v_cmp_eq_u32_e64 s[22:23], 11, v0
	v_cndmask_b32_e64 v86, v86, v51, s[22:23]
	v_cmp_eq_u32_e64 s[24:25], 12, v0
	v_cndmask_b32_e64 v87, v86, v53, s[24:25]
	v_cndmask_b32_e32 v86, v28, v30, vcc
	v_cndmask_b32_e64 v86, v86, v32, s[4:5]
	v_cndmask_b32_e64 v86, v86, v34, s[6:7]
	;; [unrolled: 1-line block ×7, first 2 shown]
	ds_read_b64 v[89:90], v88
	v_cndmask_b32_e64 v86, v86, v46, s[18:19]
	v_cndmask_b32_e64 v86, v86, v48, s[20:21]
	;; [unrolled: 1-line block ×4, first 2 shown]
	s_waitcnt lgkmcnt(0)
	v_mul_f64 v[86:87], v[86:87], v[89:90]
	s_cbranch_execz .LBB12_101
	s_branch .LBB12_102
.LBB12_100:
                                        ; implicit-def: $vgpr86_vgpr87
.LBB12_101:
	ds_read_b64 v[86:87], v88
.LBB12_102:
	s_and_saveexec_b64 s[4:5], s[2:3]
	s_cbranch_execz .LBB12_112
; %bb.103:
	v_add_u32_e32 v90, -6, v0
	v_add_u32_e32 v89, -5, v0
	v_cmp_lt_u32_e32 vcc, 6, v90
	v_mov_b32_e32 v90, 5
	s_and_saveexec_b64 s[2:3], vcc
	s_cbranch_execz .LBB12_107
; %bb.104:
	v_and_b32_e32 v90, -8, v89
	v_sub_u32_e32 v91, 0, v90
	s_mov_b64 s[6:7], 12
	s_movk_i32 s10, 0x98
	s_mov_b64 s[8:9], 0
.LBB12_105:                             ; =>This Inner Loop Header: Depth=1
	s_lshl_b32 s11, s6, 1
	s_add_i32 s12, s11, -13
	v_mov_b32_e32 v90, s10
	s_add_i32 s13, s11, -14
	s_set_gpr_idx_on s12, gpr_idx(SRC0)
	v_mov_b32_e32 v97, v28
	s_set_gpr_idx_off
	s_set_gpr_idx_on s13, gpr_idx(SRC0)
	v_mov_b32_e32 v96, v28
	s_set_gpr_idx_off
	ds_read2_b64 v[92:95], v90 offset1:1
	s_add_i32 s12, s11, -11
	s_add_i32 s13, s11, -12
	;; [unrolled: 1-line block ×4, first 2 shown]
	s_waitcnt lgkmcnt(0)
	v_fma_f64 v[86:87], v[96:97], v[92:93], v[86:87]
	s_set_gpr_idx_on s12, gpr_idx(SRC0)
	v_mov_b32_e32 v93, v28
	s_set_gpr_idx_off
	s_set_gpr_idx_on s13, gpr_idx(SRC0)
	v_mov_b32_e32 v92, v28
	s_set_gpr_idx_off
	s_add_i32 s12, s11, -7
	s_add_i32 s13, s11, -8
	v_fma_f64 v[86:87], v[92:93], v[94:95], v[86:87]
	s_set_gpr_idx_on s14, gpr_idx(SRC0)
	v_mov_b32_e32 v97, v28
	s_set_gpr_idx_off
	s_set_gpr_idx_on s15, gpr_idx(SRC0)
	v_mov_b32_e32 v96, v28
	s_set_gpr_idx_off
	ds_read2_b64 v[92:95], v90 offset0:2 offset1:3
	s_add_i32 s14, s11, -5
	s_add_i32 s15, s11, -6
	s_waitcnt lgkmcnt(0)
	v_fma_f64 v[86:87], v[96:97], v[92:93], v[86:87]
	s_set_gpr_idx_on s12, gpr_idx(SRC0)
	v_mov_b32_e32 v93, v28
	s_set_gpr_idx_off
	s_set_gpr_idx_on s13, gpr_idx(SRC0)
	v_mov_b32_e32 v92, v28
	s_set_gpr_idx_off
	s_add_i32 s12, s11, -3
	s_add_i32 s13, s11, -4
	v_fma_f64 v[86:87], v[92:93], v[94:95], v[86:87]
	s_set_gpr_idx_on s14, gpr_idx(SRC0)
	v_mov_b32_e32 v97, v28
	s_set_gpr_idx_off
	s_set_gpr_idx_on s15, gpr_idx(SRC0)
	v_mov_b32_e32 v96, v28
	s_set_gpr_idx_off
	ds_read2_b64 v[92:95], v90 offset0:4 offset1:5
	s_add_i32 s14, s11, -1
	s_add_i32 s15, s11, -2
	s_add_u32 s6, s6, 8
	s_addc_u32 s7, s7, 0
	s_waitcnt lgkmcnt(0)
	v_fma_f64 v[86:87], v[96:97], v[92:93], v[86:87]
	s_set_gpr_idx_on s12, gpr_idx(SRC0)
	v_mov_b32_e32 v93, v28
	s_set_gpr_idx_off
	s_set_gpr_idx_on s13, gpr_idx(SRC0)
	v_mov_b32_e32 v92, v28
	s_set_gpr_idx_off
	s_add_i32 s10, s10, 64
	v_fma_f64 v[86:87], v[92:93], v[94:95], v[86:87]
	s_set_gpr_idx_on s14, gpr_idx(SRC0)
	v_mov_b32_e32 v97, v28
	s_set_gpr_idx_off
	s_set_gpr_idx_on s15, gpr_idx(SRC0)
	v_mov_b32_e32 v96, v28
	s_set_gpr_idx_off
	ds_read2_b64 v[92:95], v90 offset0:6 offset1:7
	v_add_u32_e32 v90, s6, v91
	v_cmp_eq_u32_e32 vcc, 12, v90
	s_waitcnt lgkmcnt(0)
	v_fma_f64 v[86:87], v[96:97], v[92:93], v[86:87]
	s_set_gpr_idx_on s11, gpr_idx(SRC0)
	v_mov_b32_e32 v93, v29
	v_mov_b32_e32 v92, v28
	s_set_gpr_idx_off
	s_add_i32 s11, s6, -7
	s_or_b64 s[8:9], vcc, s[8:9]
	v_mov_b32_e32 v90, s11
	v_fma_f64 v[86:87], v[92:93], v[94:95], v[86:87]
	s_andn2_b64 exec, exec, s[8:9]
	s_cbranch_execnz .LBB12_105
; %bb.106:
	s_or_b64 exec, exec, s[8:9]
.LBB12_107:
	s_or_b64 exec, exec, s[2:3]
	v_and_b32_e32 v54, 7, v89
	v_cmp_ne_u32_e32 vcc, 0, v54
	s_and_saveexec_b64 s[6:7], vcc
	s_cbranch_execz .LBB12_111
; %bb.108:
	v_mov_b32_e32 v55, 0x70
	v_lshl_add_u32 v55, v90, 3, v55
	v_mov_b32_e32 v56, 0
	s_mov_b64 s[8:9], 0
.LBB12_109:                             ; =>This Inner Loop Header: Depth=1
	v_cmp_eq_u32_e32 vcc, 1, v90
	v_cndmask_b32_e32 v59, v29, v31, vcc
	v_cmp_eq_u32_e64 s[2:3], 2, v90
	v_cndmask_b32_e64 v59, v59, v33, s[2:3]
	v_cndmask_b32_e32 v89, v28, v30, vcc
	v_cmp_eq_u32_e32 vcc, 3, v90
	v_cndmask_b32_e32 v59, v59, v35, vcc
	v_cndmask_b32_e64 v89, v89, v32, s[2:3]
	v_cmp_eq_u32_e64 s[2:3], 4, v90
	v_cndmask_b32_e64 v59, v59, v37, s[2:3]
	v_cndmask_b32_e32 v89, v89, v34, vcc
	v_cmp_eq_u32_e32 vcc, 5, v90
	v_cndmask_b32_e32 v59, v59, v39, vcc
	v_cndmask_b32_e64 v89, v89, v36, s[2:3]
	;; [unrolled: 6-line block ×3, first 2 shown]
	v_cmp_eq_u32_e64 s[2:3], 8, v90
	v_cndmask_b32_e64 v59, v59, v45, s[2:3]
	v_cndmask_b32_e32 v89, v89, v42, vcc
	v_cmp_eq_u32_e32 vcc, 9, v90
	ds_read_b64 v[57:58], v55
	v_cndmask_b32_e32 v59, v59, v47, vcc
	v_cndmask_b32_e64 v89, v89, v44, s[2:3]
	v_cmp_eq_u32_e64 s[2:3], 10, v90
	v_cndmask_b32_e64 v59, v59, v49, s[2:3]
	v_cndmask_b32_e32 v89, v89, v46, vcc
	v_cmp_eq_u32_e32 vcc, 11, v90
	v_cndmask_b32_e32 v59, v59, v51, vcc
	v_cndmask_b32_e64 v89, v89, v48, s[2:3]
	v_cmp_eq_u32_e64 s[2:3], 12, v90
	v_cndmask_b32_e64 v92, v59, v53, s[2:3]
	v_cndmask_b32_e32 v59, v89, v50, vcc
	v_cndmask_b32_e64 v91, v59, v52, s[2:3]
	s_waitcnt lgkmcnt(0)
	v_fma_f64 v[86:87], v[91:92], v[57:58], v[86:87]
	v_add_u32_e32 v54, -1, v54
	v_cmp_eq_u32_e32 vcc, 0, v54
	s_or_b64 s[8:9], vcc, s[8:9]
	v_add_co_u32_e32 v90, vcc, 1, v90
	v_add_u32_e32 v55, 8, v55
	v_addc_co_u32_e32 v56, vcc, 0, v56, vcc
	s_andn2_b64 exec, exec, s[8:9]
	s_cbranch_execnz .LBB12_109
; %bb.110:
	s_or_b64 exec, exec, s[8:9]
.LBB12_111:
	s_or_b64 exec, exec, s[6:7]
.LBB12_112:
	s_or_b64 exec, exec, s[4:5]
	v_mov_b32_e32 v36, 0
	ds_read_b64 v[36:37], v36 offset:32
	s_waitcnt lgkmcnt(0)
	v_mul_f64 v[36:37], v[86:87], v[36:37]
.LBB12_113:
	s_or_b64 exec, exec, s[28:29]
	v_cmp_lt_u32_e64 s[2:3], 3, v0
	ds_write_b64 v88, v[34:35]
	s_waitcnt lgkmcnt(0)
	; wave barrier
	s_and_saveexec_b64 s[28:29], s[2:3]
	s_cbranch_execz .LBB12_129
; %bb.114:
	s_andn2_b64 vcc, exec, s[26:27]
	s_cbranch_vccnz .LBB12_116
; %bb.115:
	v_cmp_eq_u32_e32 vcc, 1, v0
	v_cndmask_b32_e32 v86, v29, v31, vcc
	v_cmp_eq_u32_e64 s[4:5], 2, v0
	v_cndmask_b32_e64 v86, v86, v33, s[4:5]
	v_cmp_eq_u32_e64 s[6:7], 3, v0
	v_cndmask_b32_e64 v86, v86, v35, s[6:7]
	v_cmp_eq_u32_e64 s[8:9], 4, v0
	v_cndmask_b32_e64 v86, v86, v37, s[8:9]
	v_cmp_eq_u32_e64 s[10:11], 5, v0
	v_cndmask_b32_e64 v86, v86, v39, s[10:11]
	v_cmp_eq_u32_e64 s[12:13], 6, v0
	v_cndmask_b32_e64 v86, v86, v41, s[12:13]
	v_cmp_eq_u32_e64 s[14:15], 7, v0
	v_cndmask_b32_e64 v86, v86, v43, s[14:15]
	v_cmp_eq_u32_e64 s[16:17], 8, v0
	v_cndmask_b32_e64 v86, v86, v45, s[16:17]
	v_cmp_eq_u32_e64 s[18:19], 9, v0
	v_cndmask_b32_e64 v86, v86, v47, s[18:19]
	v_cmp_eq_u32_e64 s[20:21], 10, v0
	v_cndmask_b32_e64 v86, v86, v49, s[20:21]
	v_cmp_eq_u32_e64 s[22:23], 11, v0
	v_cndmask_b32_e64 v86, v86, v51, s[22:23]
	v_cmp_eq_u32_e64 s[24:25], 12, v0
	v_cndmask_b32_e64 v87, v86, v53, s[24:25]
	v_cndmask_b32_e32 v86, v28, v30, vcc
	v_cndmask_b32_e64 v86, v86, v32, s[4:5]
	v_cndmask_b32_e64 v86, v86, v34, s[6:7]
	;; [unrolled: 1-line block ×7, first 2 shown]
	ds_read_b64 v[89:90], v88
	v_cndmask_b32_e64 v86, v86, v46, s[18:19]
	v_cndmask_b32_e64 v86, v86, v48, s[20:21]
	;; [unrolled: 1-line block ×4, first 2 shown]
	s_waitcnt lgkmcnt(0)
	v_mul_f64 v[86:87], v[86:87], v[89:90]
	s_cbranch_execz .LBB12_117
	s_branch .LBB12_118
.LBB12_116:
                                        ; implicit-def: $vgpr86_vgpr87
.LBB12_117:
	ds_read_b64 v[86:87], v88
.LBB12_118:
	s_and_saveexec_b64 s[4:5], s[0:1]
	s_cbranch_execz .LBB12_128
; %bb.119:
	v_add_u32_e32 v89, -5, v0
	v_add_u32_e32 v90, -4, v0
	v_cmp_lt_u32_e32 vcc, 6, v89
	v_mov_b32_e32 v89, 4
	s_and_saveexec_b64 s[0:1], vcc
	s_cbranch_execz .LBB12_123
; %bb.120:
	v_and_b32_e32 v89, -8, v90
	v_sub_u32_e32 v91, 0, v89
	s_mov_b64 s[6:7], 5
	s_movk_i32 s10, 0x90
	s_mov_b64 s[8:9], 0
.LBB12_121:                             ; =>This Inner Loop Header: Depth=1
	s_lshl_b32 s11, s6, 1
	s_add_i32 s12, s11, -1
	v_mov_b32_e32 v89, s10
	s_add_i32 s13, s11, -2
	s_set_gpr_idx_on s12, gpr_idx(SRC0)
	v_mov_b32_e32 v101, v28
	s_set_gpr_idx_off
	s_set_gpr_idx_on s13, gpr_idx(SRC0)
	v_mov_b32_e32 v100, v28
	s_set_gpr_idx_off
	ds_read_b128 v[92:95], v89
	ds_read_b128 v[96:99], v89 offset:16
	s_add_i32 s12, s11, 3
	s_add_i32 s13, s11, 2
	s_waitcnt lgkmcnt(1)
	v_fma_f64 v[86:87], v[100:101], v[92:93], v[86:87]
	ds_read_b128 v[100:103], v89 offset:32
	ds_read_b128 v[104:107], v89 offset:48
	s_set_gpr_idx_on s11, gpr_idx(SRC0)
	v_mov_b32_e32 v93, v29
	v_mov_b32_e32 v92, v28
	s_set_gpr_idx_off
	v_fma_f64 v[86:87], v[92:93], v[94:95], v[86:87]
	s_set_gpr_idx_on s12, gpr_idx(SRC0)
	v_mov_b32_e32 v93, v28
	s_set_gpr_idx_off
	s_set_gpr_idx_on s13, gpr_idx(SRC0)
	v_mov_b32_e32 v92, v28
	s_set_gpr_idx_off
	s_add_i32 s12, s11, 5
	s_add_i32 s13, s11, 4
	s_waitcnt lgkmcnt(2)
	v_fma_f64 v[86:87], v[92:93], v[96:97], v[86:87]
	s_set_gpr_idx_on s12, gpr_idx(SRC0)
	v_mov_b32_e32 v93, v28
	s_set_gpr_idx_off
	s_set_gpr_idx_on s13, gpr_idx(SRC0)
	v_mov_b32_e32 v92, v28
	s_set_gpr_idx_off
	s_add_i32 s12, s11, 7
	s_add_i32 s13, s11, 6
	v_fma_f64 v[86:87], v[92:93], v[98:99], v[86:87]
	s_set_gpr_idx_on s12, gpr_idx(SRC0)
	v_mov_b32_e32 v93, v28
	s_set_gpr_idx_off
	s_set_gpr_idx_on s13, gpr_idx(SRC0)
	v_mov_b32_e32 v92, v28
	s_set_gpr_idx_off
	s_add_i32 s12, s11, 9
	s_add_i32 s13, s11, 8
	s_waitcnt lgkmcnt(1)
	v_fma_f64 v[86:87], v[92:93], v[100:101], v[86:87]
	s_set_gpr_idx_on s12, gpr_idx(SRC0)
	v_mov_b32_e32 v93, v28
	s_set_gpr_idx_off
	s_set_gpr_idx_on s13, gpr_idx(SRC0)
	v_mov_b32_e32 v92, v28
	s_set_gpr_idx_off
	s_add_i32 s12, s11, 11
	s_add_i32 s13, s11, 10
	v_fma_f64 v[86:87], v[92:93], v[102:103], v[86:87]
	s_set_gpr_idx_on s12, gpr_idx(SRC0)
	v_mov_b32_e32 v93, v28
	s_set_gpr_idx_off
	s_set_gpr_idx_on s13, gpr_idx(SRC0)
	v_mov_b32_e32 v92, v28
	s_set_gpr_idx_off
	s_add_i32 s12, s11, 13
	s_add_i32 s11, s11, 12
	s_add_u32 s6, s6, 8
	v_add_u32_e32 v89, s6, v91
	s_addc_u32 s7, s7, 0
	s_waitcnt lgkmcnt(0)
	v_fma_f64 v[86:87], v[92:93], v[104:105], v[86:87]
	s_set_gpr_idx_on s12, gpr_idx(SRC0)
	v_mov_b32_e32 v93, v28
	s_set_gpr_idx_off
	s_set_gpr_idx_on s11, gpr_idx(SRC0)
	v_mov_b32_e32 v92, v28
	s_set_gpr_idx_off
	s_add_i32 s10, s10, 64
	s_add_i32 s11, s6, -1
	v_cmp_eq_u32_e32 vcc, 5, v89
	s_or_b64 s[8:9], vcc, s[8:9]
	v_mov_b32_e32 v89, s11
	v_fma_f64 v[86:87], v[92:93], v[106:107], v[86:87]
	s_andn2_b64 exec, exec, s[8:9]
	s_cbranch_execnz .LBB12_121
; %bb.122:
	s_or_b64 exec, exec, s[8:9]
.LBB12_123:
	s_or_b64 exec, exec, s[0:1]
	v_and_b32_e32 v54, 7, v90
	v_cmp_ne_u32_e32 vcc, 0, v54
	s_and_saveexec_b64 s[6:7], vcc
	s_cbranch_execz .LBB12_127
; %bb.124:
	v_mov_b32_e32 v55, 0x70
	v_lshl_add_u32 v55, v89, 3, v55
	v_mov_b32_e32 v56, 0
	s_mov_b64 s[8:9], 0
.LBB12_125:                             ; =>This Inner Loop Header: Depth=1
	v_cmp_eq_u32_e32 vcc, 1, v89
	v_cndmask_b32_e32 v59, v29, v31, vcc
	v_cmp_eq_u32_e64 s[0:1], 2, v89
	v_cndmask_b32_e64 v59, v59, v33, s[0:1]
	v_cndmask_b32_e32 v90, v28, v30, vcc
	v_cmp_eq_u32_e32 vcc, 3, v89
	v_cndmask_b32_e32 v59, v59, v35, vcc
	v_cndmask_b32_e64 v90, v90, v32, s[0:1]
	v_cmp_eq_u32_e64 s[0:1], 4, v89
	v_cndmask_b32_e64 v59, v59, v37, s[0:1]
	v_cndmask_b32_e32 v90, v90, v34, vcc
	v_cmp_eq_u32_e32 vcc, 5, v89
	v_cndmask_b32_e32 v59, v59, v39, vcc
	v_cndmask_b32_e64 v90, v90, v36, s[0:1]
	;; [unrolled: 6-line block ×3, first 2 shown]
	v_cmp_eq_u32_e64 s[0:1], 8, v89
	v_cndmask_b32_e64 v59, v59, v45, s[0:1]
	v_cndmask_b32_e32 v90, v90, v42, vcc
	v_cmp_eq_u32_e32 vcc, 9, v89
	ds_read_b64 v[57:58], v55
	v_cndmask_b32_e32 v59, v59, v47, vcc
	v_cndmask_b32_e64 v90, v90, v44, s[0:1]
	v_cmp_eq_u32_e64 s[0:1], 10, v89
	v_cndmask_b32_e64 v59, v59, v49, s[0:1]
	v_cndmask_b32_e32 v90, v90, v46, vcc
	v_cmp_eq_u32_e32 vcc, 11, v89
	v_cndmask_b32_e32 v59, v59, v51, vcc
	v_cndmask_b32_e64 v90, v90, v48, s[0:1]
	v_cmp_eq_u32_e64 s[0:1], 12, v89
	v_cndmask_b32_e64 v91, v59, v53, s[0:1]
	v_cndmask_b32_e32 v59, v90, v50, vcc
	v_cndmask_b32_e64 v90, v59, v52, s[0:1]
	s_waitcnt lgkmcnt(0)
	v_fma_f64 v[86:87], v[90:91], v[57:58], v[86:87]
	v_add_u32_e32 v54, -1, v54
	v_cmp_eq_u32_e32 vcc, 0, v54
	s_or_b64 s[8:9], vcc, s[8:9]
	v_add_co_u32_e32 v89, vcc, 1, v89
	v_add_u32_e32 v55, 8, v55
	v_addc_co_u32_e32 v56, vcc, 0, v56, vcc
	s_andn2_b64 exec, exec, s[8:9]
	s_cbranch_execnz .LBB12_125
; %bb.126:
	s_or_b64 exec, exec, s[8:9]
.LBB12_127:
	s_or_b64 exec, exec, s[6:7]
.LBB12_128:
	s_or_b64 exec, exec, s[4:5]
	v_mov_b32_e32 v34, 0
	ds_read_b64 v[34:35], v34 offset:24
	s_waitcnt lgkmcnt(0)
	v_mul_f64 v[34:35], v[86:87], v[34:35]
.LBB12_129:
	s_or_b64 exec, exec, s[28:29]
	v_cmp_lt_u32_e64 s[0:1], 2, v0
	ds_write_b64 v88, v[32:33]
	s_waitcnt lgkmcnt(0)
	; wave barrier
	s_and_saveexec_b64 s[28:29], s[0:1]
	s_cbranch_execz .LBB12_145
; %bb.130:
	s_andn2_b64 vcc, exec, s[26:27]
	s_cbranch_vccnz .LBB12_132
; %bb.131:
	v_cmp_eq_u32_e32 vcc, 1, v0
	v_cndmask_b32_e32 v86, v29, v31, vcc
	v_cmp_eq_u32_e64 s[4:5], 2, v0
	v_cndmask_b32_e64 v86, v86, v33, s[4:5]
	v_cmp_eq_u32_e64 s[6:7], 3, v0
	v_cndmask_b32_e64 v86, v86, v35, s[6:7]
	;; [unrolled: 2-line block ×11, first 2 shown]
	v_cndmask_b32_e32 v86, v28, v30, vcc
	v_cndmask_b32_e64 v86, v86, v32, s[4:5]
	v_cndmask_b32_e64 v86, v86, v34, s[6:7]
	;; [unrolled: 1-line block ×7, first 2 shown]
	ds_read_b64 v[89:90], v88
	v_cndmask_b32_e64 v86, v86, v46, s[18:19]
	v_cndmask_b32_e64 v86, v86, v48, s[20:21]
	;; [unrolled: 1-line block ×4, first 2 shown]
	s_waitcnt lgkmcnt(0)
	v_mul_f64 v[86:87], v[86:87], v[89:90]
	s_cbranch_execz .LBB12_133
	s_branch .LBB12_134
.LBB12_132:
                                        ; implicit-def: $vgpr86_vgpr87
.LBB12_133:
	ds_read_b64 v[86:87], v88
.LBB12_134:
	s_and_saveexec_b64 s[4:5], s[2:3]
	s_cbranch_execz .LBB12_144
; %bb.135:
	v_add_u32_e32 v90, -4, v0
	v_add_u32_e32 v89, -3, v0
	v_cmp_lt_u32_e32 vcc, 6, v90
	v_mov_b32_e32 v90, 3
	s_and_saveexec_b64 s[2:3], vcc
	s_cbranch_execz .LBB12_139
; %bb.136:
	v_and_b32_e32 v90, -8, v89
	v_sub_u32_e32 v91, 0, v90
	s_mov_b64 s[6:7], 10
	s_movk_i32 s10, 0x88
	s_mov_b64 s[8:9], 0
.LBB12_137:                             ; =>This Inner Loop Header: Depth=1
	s_lshl_b32 s11, s6, 1
	s_add_i32 s12, s11, -13
	v_mov_b32_e32 v90, s10
	s_add_i32 s13, s11, -14
	s_set_gpr_idx_on s12, gpr_idx(SRC0)
	v_mov_b32_e32 v97, v28
	s_set_gpr_idx_off
	s_set_gpr_idx_on s13, gpr_idx(SRC0)
	v_mov_b32_e32 v96, v28
	s_set_gpr_idx_off
	ds_read2_b64 v[92:95], v90 offset1:1
	s_add_i32 s12, s11, -11
	s_add_i32 s13, s11, -12
	;; [unrolled: 1-line block ×4, first 2 shown]
	s_waitcnt lgkmcnt(0)
	v_fma_f64 v[86:87], v[96:97], v[92:93], v[86:87]
	s_set_gpr_idx_on s12, gpr_idx(SRC0)
	v_mov_b32_e32 v93, v28
	s_set_gpr_idx_off
	s_set_gpr_idx_on s13, gpr_idx(SRC0)
	v_mov_b32_e32 v92, v28
	s_set_gpr_idx_off
	s_add_i32 s12, s11, -7
	s_add_i32 s13, s11, -8
	v_fma_f64 v[86:87], v[92:93], v[94:95], v[86:87]
	s_set_gpr_idx_on s14, gpr_idx(SRC0)
	v_mov_b32_e32 v97, v28
	s_set_gpr_idx_off
	s_set_gpr_idx_on s15, gpr_idx(SRC0)
	v_mov_b32_e32 v96, v28
	s_set_gpr_idx_off
	ds_read2_b64 v[92:95], v90 offset0:2 offset1:3
	s_add_i32 s14, s11, -5
	s_add_i32 s15, s11, -6
	s_waitcnt lgkmcnt(0)
	v_fma_f64 v[86:87], v[96:97], v[92:93], v[86:87]
	s_set_gpr_idx_on s12, gpr_idx(SRC0)
	v_mov_b32_e32 v93, v28
	s_set_gpr_idx_off
	s_set_gpr_idx_on s13, gpr_idx(SRC0)
	v_mov_b32_e32 v92, v28
	s_set_gpr_idx_off
	s_add_i32 s12, s11, -3
	s_add_i32 s13, s11, -4
	v_fma_f64 v[86:87], v[92:93], v[94:95], v[86:87]
	s_set_gpr_idx_on s14, gpr_idx(SRC0)
	v_mov_b32_e32 v97, v28
	s_set_gpr_idx_off
	s_set_gpr_idx_on s15, gpr_idx(SRC0)
	v_mov_b32_e32 v96, v28
	s_set_gpr_idx_off
	ds_read2_b64 v[92:95], v90 offset0:4 offset1:5
	s_add_i32 s14, s11, -1
	s_add_i32 s15, s11, -2
	s_add_u32 s6, s6, 8
	s_addc_u32 s7, s7, 0
	s_waitcnt lgkmcnt(0)
	v_fma_f64 v[86:87], v[96:97], v[92:93], v[86:87]
	s_set_gpr_idx_on s12, gpr_idx(SRC0)
	v_mov_b32_e32 v93, v28
	s_set_gpr_idx_off
	s_set_gpr_idx_on s13, gpr_idx(SRC0)
	v_mov_b32_e32 v92, v28
	s_set_gpr_idx_off
	s_add_i32 s10, s10, 64
	v_fma_f64 v[86:87], v[92:93], v[94:95], v[86:87]
	s_set_gpr_idx_on s14, gpr_idx(SRC0)
	v_mov_b32_e32 v97, v28
	s_set_gpr_idx_off
	s_set_gpr_idx_on s15, gpr_idx(SRC0)
	v_mov_b32_e32 v96, v28
	s_set_gpr_idx_off
	ds_read2_b64 v[92:95], v90 offset0:6 offset1:7
	v_add_u32_e32 v90, s6, v91
	v_cmp_eq_u32_e32 vcc, 10, v90
	s_waitcnt lgkmcnt(0)
	v_fma_f64 v[86:87], v[96:97], v[92:93], v[86:87]
	s_set_gpr_idx_on s11, gpr_idx(SRC0)
	v_mov_b32_e32 v93, v29
	v_mov_b32_e32 v92, v28
	s_set_gpr_idx_off
	s_add_i32 s11, s6, -7
	s_or_b64 s[8:9], vcc, s[8:9]
	v_mov_b32_e32 v90, s11
	v_fma_f64 v[86:87], v[92:93], v[94:95], v[86:87]
	s_andn2_b64 exec, exec, s[8:9]
	s_cbranch_execnz .LBB12_137
; %bb.138:
	s_or_b64 exec, exec, s[8:9]
.LBB12_139:
	s_or_b64 exec, exec, s[2:3]
	v_and_b32_e32 v54, 7, v89
	v_cmp_ne_u32_e32 vcc, 0, v54
	s_and_saveexec_b64 s[6:7], vcc
	s_cbranch_execz .LBB12_143
; %bb.140:
	v_mov_b32_e32 v55, 0x70
	v_lshl_add_u32 v55, v90, 3, v55
	v_mov_b32_e32 v56, 0
	s_mov_b64 s[8:9], 0
.LBB12_141:                             ; =>This Inner Loop Header: Depth=1
	v_cmp_eq_u32_e32 vcc, 1, v90
	v_cndmask_b32_e32 v59, v29, v31, vcc
	v_cmp_eq_u32_e64 s[2:3], 2, v90
	v_cndmask_b32_e64 v59, v59, v33, s[2:3]
	v_cndmask_b32_e32 v89, v28, v30, vcc
	v_cmp_eq_u32_e32 vcc, 3, v90
	v_cndmask_b32_e32 v59, v59, v35, vcc
	v_cndmask_b32_e64 v89, v89, v32, s[2:3]
	v_cmp_eq_u32_e64 s[2:3], 4, v90
	v_cndmask_b32_e64 v59, v59, v37, s[2:3]
	v_cndmask_b32_e32 v89, v89, v34, vcc
	v_cmp_eq_u32_e32 vcc, 5, v90
	v_cndmask_b32_e32 v59, v59, v39, vcc
	v_cndmask_b32_e64 v89, v89, v36, s[2:3]
	;; [unrolled: 6-line block ×3, first 2 shown]
	v_cmp_eq_u32_e64 s[2:3], 8, v90
	v_cndmask_b32_e64 v59, v59, v45, s[2:3]
	v_cndmask_b32_e32 v89, v89, v42, vcc
	v_cmp_eq_u32_e32 vcc, 9, v90
	ds_read_b64 v[57:58], v55
	v_cndmask_b32_e32 v59, v59, v47, vcc
	v_cndmask_b32_e64 v89, v89, v44, s[2:3]
	v_cmp_eq_u32_e64 s[2:3], 10, v90
	v_cndmask_b32_e64 v59, v59, v49, s[2:3]
	v_cndmask_b32_e32 v89, v89, v46, vcc
	v_cmp_eq_u32_e32 vcc, 11, v90
	v_cndmask_b32_e32 v59, v59, v51, vcc
	v_cndmask_b32_e64 v89, v89, v48, s[2:3]
	v_cmp_eq_u32_e64 s[2:3], 12, v90
	v_cndmask_b32_e64 v92, v59, v53, s[2:3]
	v_cndmask_b32_e32 v59, v89, v50, vcc
	v_cndmask_b32_e64 v91, v59, v52, s[2:3]
	s_waitcnt lgkmcnt(0)
	v_fma_f64 v[86:87], v[91:92], v[57:58], v[86:87]
	v_add_u32_e32 v54, -1, v54
	v_cmp_eq_u32_e32 vcc, 0, v54
	s_or_b64 s[8:9], vcc, s[8:9]
	v_add_co_u32_e32 v90, vcc, 1, v90
	v_add_u32_e32 v55, 8, v55
	v_addc_co_u32_e32 v56, vcc, 0, v56, vcc
	s_andn2_b64 exec, exec, s[8:9]
	s_cbranch_execnz .LBB12_141
; %bb.142:
	s_or_b64 exec, exec, s[8:9]
.LBB12_143:
	s_or_b64 exec, exec, s[6:7]
.LBB12_144:
	s_or_b64 exec, exec, s[4:5]
	v_mov_b32_e32 v32, 0
	ds_read_b64 v[32:33], v32 offset:16
	s_waitcnt lgkmcnt(0)
	v_mul_f64 v[32:33], v[86:87], v[32:33]
.LBB12_145:
	s_or_b64 exec, exec, s[28:29]
	v_cmp_lt_u32_e64 s[2:3], 1, v0
	ds_write_b64 v88, v[30:31]
	s_waitcnt lgkmcnt(0)
	; wave barrier
	s_and_saveexec_b64 s[28:29], s[2:3]
	s_cbranch_execz .LBB12_161
; %bb.146:
	s_andn2_b64 vcc, exec, s[26:27]
	s_cbranch_vccnz .LBB12_148
; %bb.147:
	v_cmp_eq_u32_e32 vcc, 1, v0
	v_cndmask_b32_e32 v86, v29, v31, vcc
	v_cmp_eq_u32_e64 s[4:5], 2, v0
	v_cndmask_b32_e64 v86, v86, v33, s[4:5]
	v_cmp_eq_u32_e64 s[6:7], 3, v0
	v_cndmask_b32_e64 v86, v86, v35, s[6:7]
	;; [unrolled: 2-line block ×11, first 2 shown]
	v_cndmask_b32_e32 v86, v28, v30, vcc
	v_cndmask_b32_e64 v86, v86, v32, s[4:5]
	v_cndmask_b32_e64 v86, v86, v34, s[6:7]
	;; [unrolled: 1-line block ×7, first 2 shown]
	ds_read_b64 v[89:90], v88
	v_cndmask_b32_e64 v86, v86, v46, s[18:19]
	v_cndmask_b32_e64 v86, v86, v48, s[20:21]
	;; [unrolled: 1-line block ×4, first 2 shown]
	s_waitcnt lgkmcnt(0)
	v_mul_f64 v[86:87], v[86:87], v[89:90]
	s_cbranch_execz .LBB12_149
	s_branch .LBB12_150
.LBB12_148:
                                        ; implicit-def: $vgpr86_vgpr87
.LBB12_149:
	ds_read_b64 v[86:87], v88
.LBB12_150:
	s_and_saveexec_b64 s[4:5], s[0:1]
	s_cbranch_execz .LBB12_160
; %bb.151:
	v_add_u32_e32 v90, -3, v0
	v_add_u32_e32 v89, -2, v0
	v_cmp_lt_u32_e32 vcc, 6, v90
	v_mov_b32_e32 v90, 2
	s_and_saveexec_b64 s[0:1], vcc
	s_cbranch_execz .LBB12_155
; %bb.152:
	v_and_b32_e32 v90, -8, v89
	v_sub_u32_e32 v91, 0, v90
	s_mov_b64 s[6:7], 9
	s_movk_i32 s10, 0x80
	s_mov_b64 s[8:9], 0
.LBB12_153:                             ; =>This Inner Loop Header: Depth=1
	s_lshl_b32 s11, s6, 1
	s_add_i32 s12, s11, -13
	v_mov_b32_e32 v90, s10
	s_add_i32 s13, s11, -14
	s_set_gpr_idx_on s12, gpr_idx(SRC0)
	v_mov_b32_e32 v101, v28
	s_set_gpr_idx_off
	s_set_gpr_idx_on s13, gpr_idx(SRC0)
	v_mov_b32_e32 v100, v28
	s_set_gpr_idx_off
	ds_read_b128 v[92:95], v90
	ds_read_b128 v[96:99], v90 offset:16
	s_add_i32 s12, s11, -11
	s_add_i32 s13, s11, -12
	s_waitcnt lgkmcnt(1)
	v_fma_f64 v[86:87], v[100:101], v[92:93], v[86:87]
	ds_read_b128 v[100:103], v90 offset:32
	ds_read_b128 v[104:107], v90 offset:48
	s_set_gpr_idx_on s12, gpr_idx(SRC0)
	v_mov_b32_e32 v93, v28
	s_set_gpr_idx_off
	s_set_gpr_idx_on s13, gpr_idx(SRC0)
	v_mov_b32_e32 v92, v28
	s_set_gpr_idx_off
	s_add_i32 s12, s11, -9
	s_add_i32 s13, s11, -10
	v_fma_f64 v[86:87], v[92:93], v[94:95], v[86:87]
	s_set_gpr_idx_on s12, gpr_idx(SRC0)
	v_mov_b32_e32 v93, v28
	s_set_gpr_idx_off
	s_set_gpr_idx_on s13, gpr_idx(SRC0)
	v_mov_b32_e32 v92, v28
	s_set_gpr_idx_off
	s_add_i32 s12, s11, -7
	s_add_i32 s13, s11, -8
	s_waitcnt lgkmcnt(2)
	v_fma_f64 v[86:87], v[92:93], v[96:97], v[86:87]
	s_set_gpr_idx_on s12, gpr_idx(SRC0)
	v_mov_b32_e32 v93, v28
	s_set_gpr_idx_off
	s_set_gpr_idx_on s13, gpr_idx(SRC0)
	v_mov_b32_e32 v92, v28
	s_set_gpr_idx_off
	s_add_i32 s12, s11, -5
	s_add_i32 s13, s11, -6
	v_fma_f64 v[86:87], v[92:93], v[98:99], v[86:87]
	s_set_gpr_idx_on s12, gpr_idx(SRC0)
	v_mov_b32_e32 v93, v28
	s_set_gpr_idx_off
	s_set_gpr_idx_on s13, gpr_idx(SRC0)
	v_mov_b32_e32 v92, v28
	s_set_gpr_idx_off
	s_add_i32 s12, s11, -3
	s_add_i32 s13, s11, -4
	s_waitcnt lgkmcnt(1)
	v_fma_f64 v[86:87], v[92:93], v[100:101], v[86:87]
	s_set_gpr_idx_on s12, gpr_idx(SRC0)
	v_mov_b32_e32 v93, v28
	s_set_gpr_idx_off
	s_set_gpr_idx_on s13, gpr_idx(SRC0)
	v_mov_b32_e32 v92, v28
	s_set_gpr_idx_off
	s_add_i32 s12, s11, -1
	s_add_i32 s13, s11, -2
	s_add_u32 s6, s6, 8
	v_add_u32_e32 v90, s6, v91
	s_addc_u32 s7, s7, 0
	v_fma_f64 v[86:87], v[92:93], v[102:103], v[86:87]
	s_set_gpr_idx_on s12, gpr_idx(SRC0)
	v_mov_b32_e32 v93, v28
	s_set_gpr_idx_off
	s_set_gpr_idx_on s13, gpr_idx(SRC0)
	v_mov_b32_e32 v92, v28
	s_set_gpr_idx_off
	s_add_i32 s10, s10, 64
	v_cmp_eq_u32_e32 vcc, 9, v90
	s_waitcnt lgkmcnt(0)
	v_fma_f64 v[86:87], v[92:93], v[104:105], v[86:87]
	s_set_gpr_idx_on s11, gpr_idx(SRC0)
	v_mov_b32_e32 v93, v29
	v_mov_b32_e32 v92, v28
	s_set_gpr_idx_off
	s_add_i32 s11, s6, -7
	s_or_b64 s[8:9], vcc, s[8:9]
	v_mov_b32_e32 v90, s11
	v_fma_f64 v[86:87], v[92:93], v[106:107], v[86:87]
	s_andn2_b64 exec, exec, s[8:9]
	s_cbranch_execnz .LBB12_153
; %bb.154:
	s_or_b64 exec, exec, s[8:9]
.LBB12_155:
	s_or_b64 exec, exec, s[0:1]
	v_and_b32_e32 v54, 7, v89
	v_cmp_ne_u32_e32 vcc, 0, v54
	s_and_saveexec_b64 s[6:7], vcc
	s_cbranch_execz .LBB12_159
; %bb.156:
	v_mov_b32_e32 v55, 0x70
	v_lshl_add_u32 v55, v90, 3, v55
	v_mov_b32_e32 v56, 0
	s_mov_b64 s[8:9], 0
.LBB12_157:                             ; =>This Inner Loop Header: Depth=1
	v_cmp_eq_u32_e32 vcc, 1, v90
	v_cndmask_b32_e32 v59, v29, v31, vcc
	v_cmp_eq_u32_e64 s[0:1], 2, v90
	v_cndmask_b32_e64 v59, v59, v33, s[0:1]
	v_cndmask_b32_e32 v89, v28, v30, vcc
	v_cmp_eq_u32_e32 vcc, 3, v90
	v_cndmask_b32_e32 v59, v59, v35, vcc
	v_cndmask_b32_e64 v89, v89, v32, s[0:1]
	v_cmp_eq_u32_e64 s[0:1], 4, v90
	v_cndmask_b32_e64 v59, v59, v37, s[0:1]
	v_cndmask_b32_e32 v89, v89, v34, vcc
	v_cmp_eq_u32_e32 vcc, 5, v90
	v_cndmask_b32_e32 v59, v59, v39, vcc
	v_cndmask_b32_e64 v89, v89, v36, s[0:1]
	;; [unrolled: 6-line block ×3, first 2 shown]
	v_cmp_eq_u32_e64 s[0:1], 8, v90
	v_cndmask_b32_e64 v59, v59, v45, s[0:1]
	v_cndmask_b32_e32 v89, v89, v42, vcc
	v_cmp_eq_u32_e32 vcc, 9, v90
	ds_read_b64 v[57:58], v55
	v_cndmask_b32_e32 v59, v59, v47, vcc
	v_cndmask_b32_e64 v89, v89, v44, s[0:1]
	v_cmp_eq_u32_e64 s[0:1], 10, v90
	v_cndmask_b32_e64 v59, v59, v49, s[0:1]
	v_cndmask_b32_e32 v89, v89, v46, vcc
	v_cmp_eq_u32_e32 vcc, 11, v90
	v_cndmask_b32_e32 v59, v59, v51, vcc
	v_cndmask_b32_e64 v89, v89, v48, s[0:1]
	v_cmp_eq_u32_e64 s[0:1], 12, v90
	v_cndmask_b32_e64 v92, v59, v53, s[0:1]
	v_cndmask_b32_e32 v59, v89, v50, vcc
	v_cndmask_b32_e64 v91, v59, v52, s[0:1]
	s_waitcnt lgkmcnt(0)
	v_fma_f64 v[86:87], v[91:92], v[57:58], v[86:87]
	v_add_u32_e32 v54, -1, v54
	v_cmp_eq_u32_e32 vcc, 0, v54
	s_or_b64 s[8:9], vcc, s[8:9]
	v_add_co_u32_e32 v90, vcc, 1, v90
	v_add_u32_e32 v55, 8, v55
	v_addc_co_u32_e32 v56, vcc, 0, v56, vcc
	s_andn2_b64 exec, exec, s[8:9]
	s_cbranch_execnz .LBB12_157
; %bb.158:
	s_or_b64 exec, exec, s[8:9]
.LBB12_159:
	s_or_b64 exec, exec, s[6:7]
.LBB12_160:
	s_or_b64 exec, exec, s[4:5]
	v_mov_b32_e32 v30, 0
	ds_read_b64 v[30:31], v30 offset:8
	s_waitcnt lgkmcnt(0)
	v_mul_f64 v[30:31], v[86:87], v[30:31]
.LBB12_161:
	s_or_b64 exec, exec, s[28:29]
	v_cmp_ne_u32_e32 vcc, 0, v0
	ds_write_b64 v88, v[28:29]
	s_waitcnt lgkmcnt(0)
	; wave barrier
	s_and_saveexec_b64 s[24:25], vcc
	s_cbranch_execz .LBB12_177
; %bb.162:
	s_andn2_b64 vcc, exec, s[26:27]
	s_cbranch_vccnz .LBB12_164
; %bb.163:
	v_cmp_eq_u32_e32 vcc, 1, v0
	v_cndmask_b32_e32 v86, v29, v31, vcc
	v_cmp_eq_u32_e64 s[0:1], 2, v0
	v_cndmask_b32_e64 v86, v86, v33, s[0:1]
	v_cmp_eq_u32_e64 s[4:5], 3, v0
	v_cndmask_b32_e64 v86, v86, v35, s[4:5]
	v_cmp_eq_u32_e64 s[6:7], 4, v0
	v_cndmask_b32_e64 v86, v86, v37, s[6:7]
	v_cmp_eq_u32_e64 s[8:9], 5, v0
	v_cndmask_b32_e64 v86, v86, v39, s[8:9]
	v_cmp_eq_u32_e64 s[10:11], 6, v0
	v_cndmask_b32_e64 v86, v86, v41, s[10:11]
	v_cmp_eq_u32_e64 s[12:13], 7, v0
	v_cndmask_b32_e64 v86, v86, v43, s[12:13]
	v_cmp_eq_u32_e64 s[14:15], 8, v0
	v_cndmask_b32_e64 v86, v86, v45, s[14:15]
	v_cmp_eq_u32_e64 s[16:17], 9, v0
	v_cndmask_b32_e64 v86, v86, v47, s[16:17]
	v_cmp_eq_u32_e64 s[18:19], 10, v0
	v_cndmask_b32_e64 v86, v86, v49, s[18:19]
	v_cmp_eq_u32_e64 s[20:21], 11, v0
	v_cndmask_b32_e64 v86, v86, v51, s[20:21]
	v_cmp_eq_u32_e64 s[22:23], 12, v0
	v_cndmask_b32_e64 v87, v86, v53, s[22:23]
	v_cndmask_b32_e32 v86, v28, v30, vcc
	v_cndmask_b32_e64 v86, v86, v32, s[0:1]
	v_cndmask_b32_e64 v86, v86, v34, s[4:5]
	;; [unrolled: 1-line block ×7, first 2 shown]
	ds_read_b64 v[89:90], v88
	v_cndmask_b32_e64 v86, v86, v46, s[16:17]
	v_cndmask_b32_e64 v86, v86, v48, s[18:19]
	;; [unrolled: 1-line block ×4, first 2 shown]
	s_waitcnt lgkmcnt(0)
	v_mul_f64 v[86:87], v[86:87], v[89:90]
	s_cbranch_execz .LBB12_165
	s_branch .LBB12_166
.LBB12_164:
                                        ; implicit-def: $vgpr86_vgpr87
.LBB12_165:
	ds_read_b64 v[86:87], v88
.LBB12_166:
	s_and_saveexec_b64 s[4:5], s[2:3]
	s_cbranch_execz .LBB12_176
; %bb.167:
	v_add_u32_e32 v90, -2, v0
	v_add_u32_e32 v89, -1, v0
	v_cmp_lt_u32_e32 vcc, 6, v90
	v_mov_b32_e32 v90, 1
	s_and_saveexec_b64 s[0:1], vcc
	s_cbranch_execz .LBB12_171
; %bb.168:
	v_and_b32_e32 v90, -8, v89
	v_sub_u32_e32 v91, 0, v90
	s_mov_b64 s[2:3], 8
	s_movk_i32 s8, 0x78
	s_mov_b64 s[6:7], 0
.LBB12_169:                             ; =>This Inner Loop Header: Depth=1
	s_lshl_b32 s9, s2, 1
	s_add_i32 s10, s9, -13
	v_mov_b32_e32 v90, s8
	s_add_i32 s11, s9, -14
	s_set_gpr_idx_on s10, gpr_idx(SRC0)
	v_mov_b32_e32 v97, v28
	s_set_gpr_idx_off
	s_set_gpr_idx_on s11, gpr_idx(SRC0)
	v_mov_b32_e32 v96, v28
	s_set_gpr_idx_off
	ds_read2_b64 v[92:95], v90 offset1:1
	s_add_i32 s10, s9, -11
	s_add_i32 s11, s9, -12
	;; [unrolled: 1-line block ×4, first 2 shown]
	s_waitcnt lgkmcnt(0)
	v_fma_f64 v[86:87], v[96:97], v[92:93], v[86:87]
	s_set_gpr_idx_on s10, gpr_idx(SRC0)
	v_mov_b32_e32 v93, v28
	s_set_gpr_idx_off
	s_set_gpr_idx_on s11, gpr_idx(SRC0)
	v_mov_b32_e32 v92, v28
	s_set_gpr_idx_off
	s_add_i32 s10, s9, -7
	s_add_i32 s11, s9, -8
	v_fma_f64 v[86:87], v[92:93], v[94:95], v[86:87]
	s_set_gpr_idx_on s12, gpr_idx(SRC0)
	v_mov_b32_e32 v97, v28
	s_set_gpr_idx_off
	s_set_gpr_idx_on s13, gpr_idx(SRC0)
	v_mov_b32_e32 v96, v28
	s_set_gpr_idx_off
	ds_read2_b64 v[92:95], v90 offset0:2 offset1:3
	s_add_i32 s12, s9, -5
	s_add_i32 s13, s9, -6
	s_waitcnt lgkmcnt(0)
	v_fma_f64 v[86:87], v[96:97], v[92:93], v[86:87]
	s_set_gpr_idx_on s10, gpr_idx(SRC0)
	v_mov_b32_e32 v93, v28
	s_set_gpr_idx_off
	s_set_gpr_idx_on s11, gpr_idx(SRC0)
	v_mov_b32_e32 v92, v28
	s_set_gpr_idx_off
	s_add_i32 s10, s9, -3
	s_add_i32 s11, s9, -4
	v_fma_f64 v[86:87], v[92:93], v[94:95], v[86:87]
	s_set_gpr_idx_on s12, gpr_idx(SRC0)
	v_mov_b32_e32 v97, v28
	s_set_gpr_idx_off
	s_set_gpr_idx_on s13, gpr_idx(SRC0)
	v_mov_b32_e32 v96, v28
	s_set_gpr_idx_off
	ds_read2_b64 v[92:95], v90 offset0:4 offset1:5
	s_add_i32 s12, s9, -1
	s_add_i32 s13, s9, -2
	s_add_u32 s2, s2, 8
	s_addc_u32 s3, s3, 0
	s_waitcnt lgkmcnt(0)
	v_fma_f64 v[86:87], v[96:97], v[92:93], v[86:87]
	s_set_gpr_idx_on s10, gpr_idx(SRC0)
	v_mov_b32_e32 v93, v28
	s_set_gpr_idx_off
	s_set_gpr_idx_on s11, gpr_idx(SRC0)
	v_mov_b32_e32 v92, v28
	s_set_gpr_idx_off
	s_add_i32 s8, s8, 64
	v_fma_f64 v[86:87], v[92:93], v[94:95], v[86:87]
	s_set_gpr_idx_on s12, gpr_idx(SRC0)
	v_mov_b32_e32 v97, v28
	s_set_gpr_idx_off
	s_set_gpr_idx_on s13, gpr_idx(SRC0)
	v_mov_b32_e32 v96, v28
	s_set_gpr_idx_off
	ds_read2_b64 v[92:95], v90 offset0:6 offset1:7
	v_add_u32_e32 v90, s2, v91
	v_cmp_eq_u32_e32 vcc, 8, v90
	s_waitcnt lgkmcnt(0)
	v_fma_f64 v[86:87], v[96:97], v[92:93], v[86:87]
	s_set_gpr_idx_on s9, gpr_idx(SRC0)
	v_mov_b32_e32 v93, v29
	v_mov_b32_e32 v92, v28
	s_set_gpr_idx_off
	s_add_i32 s9, s2, -7
	s_or_b64 s[6:7], vcc, s[6:7]
	v_mov_b32_e32 v90, s9
	v_fma_f64 v[86:87], v[92:93], v[94:95], v[86:87]
	s_andn2_b64 exec, exec, s[6:7]
	s_cbranch_execnz .LBB12_169
; %bb.170:
	s_or_b64 exec, exec, s[6:7]
.LBB12_171:
	s_or_b64 exec, exec, s[0:1]
	v_and_b32_e32 v54, 7, v89
	v_cmp_ne_u32_e32 vcc, 0, v54
	s_and_saveexec_b64 s[2:3], vcc
	s_cbranch_execz .LBB12_175
; %bb.172:
	v_mov_b32_e32 v55, 0x70
	v_lshl_add_u32 v55, v90, 3, v55
	v_mov_b32_e32 v56, 0
	s_mov_b64 s[6:7], 0
.LBB12_173:                             ; =>This Inner Loop Header: Depth=1
	v_cmp_eq_u32_e32 vcc, 1, v90
	v_cndmask_b32_e32 v59, v29, v31, vcc
	v_cmp_eq_u32_e64 s[0:1], 2, v90
	v_cndmask_b32_e64 v59, v59, v33, s[0:1]
	v_cndmask_b32_e32 v89, v28, v30, vcc
	v_cmp_eq_u32_e32 vcc, 3, v90
	v_cndmask_b32_e32 v59, v59, v35, vcc
	v_cndmask_b32_e64 v89, v89, v32, s[0:1]
	v_cmp_eq_u32_e64 s[0:1], 4, v90
	v_cndmask_b32_e64 v59, v59, v37, s[0:1]
	v_cndmask_b32_e32 v89, v89, v34, vcc
	v_cmp_eq_u32_e32 vcc, 5, v90
	v_cndmask_b32_e32 v59, v59, v39, vcc
	v_cndmask_b32_e64 v89, v89, v36, s[0:1]
	;; [unrolled: 6-line block ×3, first 2 shown]
	v_cmp_eq_u32_e64 s[0:1], 8, v90
	v_cndmask_b32_e64 v59, v59, v45, s[0:1]
	v_cndmask_b32_e32 v89, v89, v42, vcc
	v_cmp_eq_u32_e32 vcc, 9, v90
	ds_read_b64 v[57:58], v55
	v_cndmask_b32_e32 v59, v59, v47, vcc
	v_cndmask_b32_e64 v89, v89, v44, s[0:1]
	v_cmp_eq_u32_e64 s[0:1], 10, v90
	v_cndmask_b32_e64 v59, v59, v49, s[0:1]
	v_cndmask_b32_e32 v89, v89, v46, vcc
	v_cmp_eq_u32_e32 vcc, 11, v90
	v_cndmask_b32_e32 v59, v59, v51, vcc
	v_cndmask_b32_e64 v89, v89, v48, s[0:1]
	v_cmp_eq_u32_e64 s[0:1], 12, v90
	v_cndmask_b32_e64 v92, v59, v53, s[0:1]
	v_cndmask_b32_e32 v59, v89, v50, vcc
	v_cndmask_b32_e64 v91, v59, v52, s[0:1]
	s_waitcnt lgkmcnt(0)
	v_fma_f64 v[86:87], v[91:92], v[57:58], v[86:87]
	v_add_u32_e32 v54, -1, v54
	v_cmp_eq_u32_e32 vcc, 0, v54
	s_or_b64 s[6:7], vcc, s[6:7]
	v_add_co_u32_e32 v90, vcc, 1, v90
	v_add_u32_e32 v55, 8, v55
	v_addc_co_u32_e32 v56, vcc, 0, v56, vcc
	s_andn2_b64 exec, exec, s[6:7]
	s_cbranch_execnz .LBB12_173
; %bb.174:
	s_or_b64 exec, exec, s[6:7]
.LBB12_175:
	s_or_b64 exec, exec, s[2:3]
.LBB12_176:
	s_or_b64 exec, exec, s[4:5]
	v_mov_b32_e32 v28, 0
	ds_read_b64 v[28:29], v28
	s_waitcnt lgkmcnt(0)
	v_mul_f64 v[28:29], v[86:87], v[28:29]
.LBB12_177:
	s_or_b64 exec, exec, s[24:25]
	s_branch .LBB12_301
.LBB12_178:
	v_cmp_eq_u32_e64 s[2:3], 0, v0
	s_waitcnt vmcnt(11)
	ds_write_b64 v88, v[4:5]
	s_waitcnt lgkmcnt(0)
	; wave barrier
	s_and_saveexec_b64 s[24:25], s[2:3]
	s_cbranch_execz .LBB12_184
; %bb.179:
	s_and_b64 vcc, exec, s[26:27]
	s_cbranch_vccz .LBB12_181
; %bb.180:
	v_cmp_eq_u32_e32 vcc, 1, v0
	v_cndmask_b32_e32 v5, v3, v5, vcc
	v_cmp_eq_u32_e64 s[0:1], 2, v0
	v_cndmask_b32_e32 v4, v2, v4, vcc
	s_waitcnt vmcnt(10)
	v_cndmask_b32_e64 v5, v5, v7, s[0:1]
	v_cmp_eq_u32_e64 s[4:5], 3, v0
	v_cndmask_b32_e64 v4, v4, v6, s[0:1]
	s_waitcnt vmcnt(9)
	v_cndmask_b32_e64 v5, v5, v9, s[4:5]
	v_cmp_eq_u32_e64 s[6:7], 4, v0
	v_cndmask_b32_e64 v4, v4, v8, s[4:5]
	s_waitcnt vmcnt(8)
	v_cndmask_b32_e64 v5, v5, v11, s[6:7]
	v_cmp_eq_u32_e64 s[8:9], 5, v0
	v_cndmask_b32_e64 v4, v4, v10, s[6:7]
	s_waitcnt vmcnt(7)
	v_cndmask_b32_e64 v5, v5, v13, s[8:9]
	v_cmp_eq_u32_e64 s[10:11], 6, v0
	v_cndmask_b32_e64 v4, v4, v12, s[8:9]
	s_waitcnt vmcnt(6)
	v_cndmask_b32_e64 v5, v5, v15, s[10:11]
	v_cmp_eq_u32_e64 s[12:13], 7, v0
	v_cndmask_b32_e64 v4, v4, v14, s[10:11]
	s_waitcnt vmcnt(5)
	v_cndmask_b32_e64 v5, v5, v17, s[12:13]
	v_cmp_eq_u32_e64 s[14:15], 8, v0
	v_cndmask_b32_e64 v4, v4, v16, s[12:13]
	s_waitcnt vmcnt(4)
	v_cndmask_b32_e64 v5, v5, v19, s[14:15]
	v_cmp_eq_u32_e64 s[16:17], 9, v0
	v_cndmask_b32_e64 v4, v4, v18, s[14:15]
	ds_read_b64 v[28:29], v88
	s_waitcnt vmcnt(3)
	v_cndmask_b32_e64 v5, v5, v21, s[16:17]
	v_cmp_eq_u32_e64 s[18:19], 10, v0
	v_cndmask_b32_e64 v4, v4, v20, s[16:17]
	s_waitcnt vmcnt(2)
	v_cndmask_b32_e64 v5, v5, v23, s[18:19]
	v_cmp_eq_u32_e64 s[20:21], 11, v0
	v_cndmask_b32_e64 v4, v4, v22, s[18:19]
	s_waitcnt vmcnt(1)
	v_cndmask_b32_e64 v5, v5, v25, s[20:21]
	v_cmp_eq_u32_e64 s[22:23], 12, v0
	v_cndmask_b32_e64 v4, v4, v24, s[20:21]
	s_waitcnt vmcnt(0)
	v_cndmask_b32_e64 v5, v5, v27, s[22:23]
	v_cndmask_b32_e64 v4, v4, v26, s[22:23]
	s_waitcnt lgkmcnt(0)
	v_mul_f64 v[4:5], v[4:5], v[28:29]
	s_cbranch_execz .LBB12_182
	s_branch .LBB12_183
.LBB12_181:
                                        ; implicit-def: $vgpr4_vgpr5
.LBB12_182:
	ds_read_b64 v[4:5], v88
.LBB12_183:
	v_mov_b32_e32 v28, 0
	ds_read_b64 v[28:29], v28 offset:8
	s_waitcnt lgkmcnt(0)
	v_mul_f64 v[4:5], v[4:5], v[28:29]
.LBB12_184:
	s_or_b64 exec, exec, s[24:25]
	v_cndmask_b32_e64 v28, 0, 1, s[26:27]
	v_cmp_gt_u32_e32 vcc, 2, v0
	v_cmp_ne_u32_e64 s[0:1], 1, v28
	s_waitcnt vmcnt(10)
	ds_write_b64 v88, v[6:7]
	s_waitcnt lgkmcnt(0)
	; wave barrier
	s_and_saveexec_b64 s[26:27], vcc
	s_cbranch_execz .LBB12_190
; %bb.185:
	s_and_b64 vcc, exec, s[0:1]
	s_cbranch_vccnz .LBB12_187
; %bb.186:
	v_cmp_eq_u32_e32 vcc, 1, v0
	v_cndmask_b32_e32 v28, v3, v5, vcc
	v_cmp_eq_u32_e64 s[4:5], 2, v0
	v_cndmask_b32_e64 v7, v28, v7, s[4:5]
	v_cndmask_b32_e32 v28, v2, v4, vcc
	v_cmp_eq_u32_e64 s[6:7], 3, v0
	v_cndmask_b32_e64 v6, v28, v6, s[4:5]
	s_waitcnt vmcnt(9)
	v_cndmask_b32_e64 v7, v7, v9, s[6:7]
	v_cmp_eq_u32_e64 s[8:9], 4, v0
	v_cndmask_b32_e64 v6, v6, v8, s[6:7]
	s_waitcnt vmcnt(8)
	v_cndmask_b32_e64 v7, v7, v11, s[8:9]
	v_cmp_eq_u32_e64 s[10:11], 5, v0
	v_cndmask_b32_e64 v6, v6, v10, s[8:9]
	s_waitcnt vmcnt(7)
	v_cndmask_b32_e64 v7, v7, v13, s[10:11]
	v_cmp_eq_u32_e64 s[12:13], 6, v0
	v_cndmask_b32_e64 v6, v6, v12, s[10:11]
	s_waitcnt vmcnt(6)
	v_cndmask_b32_e64 v7, v7, v15, s[12:13]
	v_cmp_eq_u32_e64 s[14:15], 7, v0
	v_cndmask_b32_e64 v6, v6, v14, s[12:13]
	s_waitcnt vmcnt(5)
	v_cndmask_b32_e64 v7, v7, v17, s[14:15]
	v_cmp_eq_u32_e64 s[16:17], 8, v0
	v_cndmask_b32_e64 v6, v6, v16, s[14:15]
	s_waitcnt vmcnt(4)
	v_cndmask_b32_e64 v7, v7, v19, s[16:17]
	v_cmp_eq_u32_e64 s[18:19], 9, v0
	v_cndmask_b32_e64 v6, v6, v18, s[16:17]
	ds_read_b64 v[28:29], v88
	s_waitcnt vmcnt(3)
	v_cndmask_b32_e64 v7, v7, v21, s[18:19]
	v_cmp_eq_u32_e64 s[20:21], 10, v0
	v_cndmask_b32_e64 v6, v6, v20, s[18:19]
	s_waitcnt vmcnt(2)
	v_cndmask_b32_e64 v7, v7, v23, s[20:21]
	v_cmp_eq_u32_e64 s[22:23], 11, v0
	v_cndmask_b32_e64 v6, v6, v22, s[20:21]
	;; [unrolled: 4-line block ×3, first 2 shown]
	s_waitcnt vmcnt(0)
	v_cndmask_b32_e64 v7, v7, v27, s[24:25]
	v_cndmask_b32_e64 v6, v6, v26, s[24:25]
	s_waitcnt lgkmcnt(0)
	v_mul_f64 v[6:7], v[6:7], v[28:29]
	s_cbranch_execz .LBB12_188
	s_branch .LBB12_189
.LBB12_187:
                                        ; implicit-def: $vgpr6_vgpr7
.LBB12_188:
	ds_read_b64 v[6:7], v88
.LBB12_189:
	v_mov_b32_e32 v28, 0
	ds_read2_b64 v[28:31], v28 offset0:2 offset1:15
	s_waitcnt lgkmcnt(0)
	v_fma_f64 v[30:31], v[4:5], v[30:31], v[6:7]
	v_cndmask_b32_e64 v7, v7, v31, s[2:3]
	v_cndmask_b32_e64 v6, v6, v30, s[2:3]
	v_mul_f64 v[6:7], v[6:7], v[28:29]
.LBB12_190:
	s_or_b64 exec, exec, s[26:27]
	v_add_u32_e32 v32, 1, v0
	v_cmp_gt_u32_e64 s[4:5], 3, v0
	s_waitcnt vmcnt(9)
	ds_write_b64 v88, v[8:9]
	s_waitcnt lgkmcnt(0)
	; wave barrier
	s_and_saveexec_b64 s[28:29], s[4:5]
	s_cbranch_execz .LBB12_198
; %bb.191:
	s_and_b64 vcc, exec, s[0:1]
	s_cbranch_vccnz .LBB12_193
; %bb.192:
	v_cmp_eq_u32_e32 vcc, 1, v0
	v_cndmask_b32_e32 v28, v3, v5, vcc
	v_cmp_eq_u32_e64 s[6:7], 2, v0
	v_cndmask_b32_e64 v28, v28, v7, s[6:7]
	v_cmp_eq_u32_e64 s[8:9], 3, v0
	v_cndmask_b32_e64 v28, v28, v9, s[8:9]
	v_cmp_eq_u32_e64 s[10:11], 4, v0
	s_waitcnt vmcnt(8)
	v_cndmask_b32_e64 v28, v28, v11, s[10:11]
	v_cmp_eq_u32_e64 s[12:13], 5, v0
	s_waitcnt vmcnt(7)
	;; [unrolled: 3-line block ×9, first 2 shown]
	v_cndmask_b32_e64 v29, v28, v27, s[26:27]
	v_cndmask_b32_e32 v28, v2, v4, vcc
	v_cndmask_b32_e64 v28, v28, v6, s[6:7]
	v_cndmask_b32_e64 v28, v28, v8, s[8:9]
	;; [unrolled: 1-line block ×7, first 2 shown]
	ds_read_b64 v[30:31], v88
	v_cndmask_b32_e64 v28, v28, v20, s[20:21]
	v_cndmask_b32_e64 v28, v28, v22, s[22:23]
	;; [unrolled: 1-line block ×4, first 2 shown]
	s_waitcnt lgkmcnt(0)
	v_mul_f64 v[28:29], v[28:29], v[30:31]
	s_cbranch_execz .LBB12_194
	s_branch .LBB12_195
.LBB12_193:
                                        ; implicit-def: $vgpr28_vgpr29
.LBB12_194:
	ds_read_b64 v[28:29], v88
.LBB12_195:
	v_cmp_ne_u32_e32 vcc, 2, v0
	s_and_saveexec_b64 s[30:31], vcc
	s_cbranch_execz .LBB12_197
; %bb.196:
	v_cmp_eq_u32_e32 vcc, 1, v32
	v_cndmask_b32_e32 v30, v3, v5, vcc
	v_cmp_eq_u32_e64 s[6:7], 2, v32
	v_cndmask_b32_e64 v30, v30, v7, s[6:7]
	v_cmp_eq_u32_e64 s[8:9], 3, v32
	v_cndmask_b32_e64 v9, v30, v9, s[8:9]
	v_cndmask_b32_e32 v30, v2, v4, vcc
	v_cndmask_b32_e64 v30, v30, v6, s[6:7]
	v_cmp_eq_u32_e64 s[10:11], 4, v32
	v_cndmask_b32_e64 v8, v30, v8, s[8:9]
	s_waitcnt vmcnt(8)
	v_cndmask_b32_e64 v9, v9, v11, s[10:11]
	v_cmp_eq_u32_e64 s[12:13], 5, v32
	v_cndmask_b32_e64 v8, v8, v10, s[10:11]
	s_waitcnt vmcnt(7)
	;; [unrolled: 4-line block ×5, first 2 shown]
	v_cndmask_b32_e64 v9, v9, v19, s[18:19]
	v_cmp_eq_u32_e64 s[20:21], 9, v32
	v_cndmask_b32_e64 v8, v8, v18, s[18:19]
	ds_read_b64 v[30:31], v88 offset:8
	s_waitcnt vmcnt(3)
	v_cndmask_b32_e64 v9, v9, v21, s[20:21]
	v_cmp_eq_u32_e64 s[22:23], 10, v32
	v_cndmask_b32_e64 v8, v8, v20, s[20:21]
	s_waitcnt vmcnt(2)
	v_cndmask_b32_e64 v9, v9, v23, s[22:23]
	v_cmp_eq_u32_e64 s[24:25], 11, v32
	v_cndmask_b32_e64 v8, v8, v22, s[22:23]
	;; [unrolled: 4-line block ×3, first 2 shown]
	s_waitcnt vmcnt(0)
	v_cndmask_b32_e64 v9, v9, v27, s[26:27]
	v_cndmask_b32_e64 v8, v8, v26, s[26:27]
	v_mov_b32_e32 v33, 0
	ds_read_b64 v[33:34], v33 offset:128
	s_waitcnt lgkmcnt(1)
	v_fma_f64 v[8:9], v[8:9], v[30:31], v[28:29]
	s_waitcnt lgkmcnt(0)
	v_fma_f64 v[28:29], v[6:7], v[33:34], v[8:9]
	v_cndmask_b32_e64 v29, v9, v29, s[2:3]
	v_cndmask_b32_e64 v28, v8, v28, s[2:3]
.LBB12_197:
	s_or_b64 exec, exec, s[30:31]
	v_mov_b32_e32 v8, 0
	ds_read_b64 v[8:9], v8 offset:24
	s_waitcnt lgkmcnt(0)
	v_mul_f64 v[8:9], v[28:29], v[8:9]
.LBB12_198:
	s_or_b64 exec, exec, s[28:29]
	v_cmp_gt_u32_e32 vcc, 4, v0
	s_waitcnt vmcnt(8)
	ds_write_b64 v88, v[10:11]
	s_waitcnt lgkmcnt(0)
	; wave barrier
	s_and_saveexec_b64 s[28:29], vcc
	s_cbranch_execz .LBB12_208
; %bb.199:
	s_and_b64 vcc, exec, s[0:1]
	s_cbranch_vccnz .LBB12_201
; %bb.200:
	v_cmp_eq_u32_e32 vcc, 1, v0
	v_cndmask_b32_e32 v28, v3, v5, vcc
	v_cmp_eq_u32_e64 s[6:7], 2, v0
	v_cndmask_b32_e64 v28, v28, v7, s[6:7]
	v_cmp_eq_u32_e64 s[8:9], 3, v0
	v_cndmask_b32_e64 v28, v28, v9, s[8:9]
	;; [unrolled: 2-line block ×3, first 2 shown]
	v_cmp_eq_u32_e64 s[12:13], 5, v0
	s_waitcnt vmcnt(7)
	v_cndmask_b32_e64 v28, v28, v13, s[12:13]
	v_cmp_eq_u32_e64 s[14:15], 6, v0
	s_waitcnt vmcnt(6)
	v_cndmask_b32_e64 v28, v28, v15, s[14:15]
	;; [unrolled: 3-line block ×8, first 2 shown]
	v_cndmask_b32_e32 v28, v2, v4, vcc
	v_cndmask_b32_e64 v28, v28, v6, s[6:7]
	v_cndmask_b32_e64 v28, v28, v8, s[8:9]
	;; [unrolled: 1-line block ×7, first 2 shown]
	ds_read_b64 v[30:31], v88
	v_cndmask_b32_e64 v28, v28, v20, s[20:21]
	v_cndmask_b32_e64 v28, v28, v22, s[22:23]
	;; [unrolled: 1-line block ×4, first 2 shown]
	s_waitcnt lgkmcnt(0)
	v_mul_f64 v[28:29], v[28:29], v[30:31]
	s_cbranch_execz .LBB12_202
	s_branch .LBB12_203
.LBB12_201:
                                        ; implicit-def: $vgpr28_vgpr29
.LBB12_202:
	ds_read_b64 v[28:29], v88
.LBB12_203:
	v_cmp_ne_u32_e32 vcc, 3, v0
	s_and_saveexec_b64 s[8:9], vcc
	s_cbranch_execz .LBB12_207
; %bb.204:
	v_mov_b32_e32 v30, 0x78
	v_lshl_add_u32 v33, v0, 3, v30
	v_mov_b32_e32 v31, v1
	s_mov_b64 s[10:11], 0
	v_mov_b32_e32 v30, v0
.LBB12_205:                             ; =>This Inner Loop Header: Depth=1
	v_add_co_u32_e32 v30, vcc, 1, v30
	v_addc_co_u32_e32 v31, vcc, 0, v31, vcc
	v_cmp_eq_u32_e32 vcc, 1, v30
	v_cndmask_b32_e32 v36, v3, v5, vcc
	v_cmp_eq_u32_e64 s[6:7], 2, v30
	v_cndmask_b32_e64 v36, v36, v7, s[6:7]
	v_cndmask_b32_e32 v37, v2, v4, vcc
	v_cmp_eq_u32_e32 vcc, 3, v30
	v_cndmask_b32_e32 v36, v36, v9, vcc
	v_cndmask_b32_e64 v37, v37, v6, s[6:7]
	v_cmp_eq_u32_e64 s[6:7], 4, v30
	v_cndmask_b32_e64 v36, v36, v11, s[6:7]
	v_cndmask_b32_e32 v37, v37, v8, vcc
	v_cmp_eq_u32_e32 vcc, 5, v30
	s_waitcnt vmcnt(7)
	v_cndmask_b32_e32 v36, v36, v13, vcc
	v_cndmask_b32_e64 v37, v37, v10, s[6:7]
	v_cmp_eq_u32_e64 s[6:7], 6, v30
	s_waitcnt vmcnt(6)
	v_cndmask_b32_e64 v36, v36, v15, s[6:7]
	v_cndmask_b32_e32 v37, v37, v12, vcc
	v_cmp_eq_u32_e32 vcc, 7, v30
	s_waitcnt vmcnt(5)
	v_cndmask_b32_e32 v36, v36, v17, vcc
	v_cndmask_b32_e64 v37, v37, v14, s[6:7]
	v_cmp_eq_u32_e64 s[6:7], 8, v30
	s_waitcnt vmcnt(4)
	v_cndmask_b32_e64 v36, v36, v19, s[6:7]
	v_cndmask_b32_e32 v37, v37, v16, vcc
	v_cmp_eq_u32_e32 vcc, 9, v30
	ds_read_b64 v[34:35], v33
	s_waitcnt vmcnt(3)
	v_cndmask_b32_e32 v36, v36, v21, vcc
	v_cndmask_b32_e64 v37, v37, v18, s[6:7]
	v_cmp_eq_u32_e64 s[6:7], 10, v30
	s_waitcnt vmcnt(2)
	v_cndmask_b32_e64 v36, v36, v23, s[6:7]
	v_cndmask_b32_e32 v37, v37, v20, vcc
	v_cmp_eq_u32_e32 vcc, 11, v30
	s_waitcnt vmcnt(1)
	v_cndmask_b32_e32 v36, v36, v25, vcc
	v_cndmask_b32_e64 v38, v37, v22, s[6:7]
	v_cmp_eq_u32_e64 s[6:7], 12, v30
	s_waitcnt vmcnt(0)
	v_cndmask_b32_e64 v37, v36, v27, s[6:7]
	v_cndmask_b32_e32 v36, v38, v24, vcc
	v_cndmask_b32_e64 v36, v36, v26, s[6:7]
	s_waitcnt lgkmcnt(0)
	v_fma_f64 v[28:29], v[36:37], v[34:35], v[28:29]
	v_cmp_lt_u32_e32 vcc, 2, v30
	s_or_b64 s[10:11], vcc, s[10:11]
	v_add_u32_e32 v33, 8, v33
	s_andn2_b64 exec, exec, s[10:11]
	s_cbranch_execnz .LBB12_205
; %bb.206:
	s_or_b64 exec, exec, s[10:11]
.LBB12_207:
	s_or_b64 exec, exec, s[8:9]
	v_mov_b32_e32 v10, 0
	ds_read_b64 v[10:11], v10 offset:32
	s_waitcnt lgkmcnt(0)
	v_mul_f64 v[10:11], v[28:29], v[10:11]
.LBB12_208:
	s_or_b64 exec, exec, s[28:29]
	v_cmp_gt_u32_e64 s[6:7], 5, v0
	s_waitcnt vmcnt(7)
	ds_write_b64 v88, v[12:13]
	s_waitcnt lgkmcnt(0)
	; wave barrier
	s_and_saveexec_b64 s[30:31], s[6:7]
	s_cbranch_execz .LBB12_218
; %bb.209:
	s_and_b64 vcc, exec, s[0:1]
	s_cbranch_vccnz .LBB12_211
; %bb.210:
	v_cmp_eq_u32_e32 vcc, 1, v0
	v_cndmask_b32_e32 v28, v3, v5, vcc
	v_cmp_eq_u32_e64 s[8:9], 2, v0
	v_cndmask_b32_e64 v28, v28, v7, s[8:9]
	v_cmp_eq_u32_e64 s[10:11], 3, v0
	v_cndmask_b32_e64 v28, v28, v9, s[10:11]
	;; [unrolled: 2-line block ×4, first 2 shown]
	v_cmp_eq_u32_e64 s[16:17], 6, v0
	s_waitcnt vmcnt(6)
	v_cndmask_b32_e64 v28, v28, v15, s[16:17]
	v_cmp_eq_u32_e64 s[18:19], 7, v0
	s_waitcnt vmcnt(5)
	v_cndmask_b32_e64 v28, v28, v17, s[18:19]
	;; [unrolled: 3-line block ×7, first 2 shown]
	v_cndmask_b32_e32 v28, v2, v4, vcc
	v_cndmask_b32_e64 v28, v28, v6, s[8:9]
	v_cndmask_b32_e64 v28, v28, v8, s[10:11]
	;; [unrolled: 1-line block ×7, first 2 shown]
	ds_read_b64 v[30:31], v88
	v_cndmask_b32_e64 v28, v28, v20, s[22:23]
	v_cndmask_b32_e64 v28, v28, v22, s[24:25]
	;; [unrolled: 1-line block ×4, first 2 shown]
	s_waitcnt lgkmcnt(0)
	v_mul_f64 v[28:29], v[28:29], v[30:31]
	s_cbranch_execz .LBB12_212
	s_branch .LBB12_213
.LBB12_211:
                                        ; implicit-def: $vgpr28_vgpr29
.LBB12_212:
	ds_read_b64 v[28:29], v88
.LBB12_213:
	v_cmp_ne_u32_e32 vcc, 4, v0
	s_and_saveexec_b64 s[10:11], vcc
	s_cbranch_execz .LBB12_217
; %bb.214:
	v_mov_b32_e32 v30, 0x78
	v_lshl_add_u32 v33, v0, 3, v30
	v_mov_b32_e32 v31, v1
	s_mov_b64 s[12:13], 0
	v_mov_b32_e32 v30, v0
.LBB12_215:                             ; =>This Inner Loop Header: Depth=1
	v_add_co_u32_e32 v30, vcc, 1, v30
	v_addc_co_u32_e32 v31, vcc, 0, v31, vcc
	v_cmp_eq_u32_e32 vcc, 1, v30
	v_cndmask_b32_e32 v36, v3, v5, vcc
	v_cmp_eq_u32_e64 s[8:9], 2, v30
	v_cndmask_b32_e64 v36, v36, v7, s[8:9]
	v_cndmask_b32_e32 v37, v2, v4, vcc
	v_cmp_eq_u32_e32 vcc, 3, v30
	v_cndmask_b32_e32 v36, v36, v9, vcc
	v_cndmask_b32_e64 v37, v37, v6, s[8:9]
	v_cmp_eq_u32_e64 s[8:9], 4, v30
	v_cndmask_b32_e64 v36, v36, v11, s[8:9]
	v_cndmask_b32_e32 v37, v37, v8, vcc
	v_cmp_eq_u32_e32 vcc, 5, v30
	v_cndmask_b32_e32 v36, v36, v13, vcc
	v_cndmask_b32_e64 v37, v37, v10, s[8:9]
	v_cmp_eq_u32_e64 s[8:9], 6, v30
	s_waitcnt vmcnt(6)
	v_cndmask_b32_e64 v36, v36, v15, s[8:9]
	v_cndmask_b32_e32 v37, v37, v12, vcc
	v_cmp_eq_u32_e32 vcc, 7, v30
	s_waitcnt vmcnt(5)
	v_cndmask_b32_e32 v36, v36, v17, vcc
	v_cndmask_b32_e64 v37, v37, v14, s[8:9]
	v_cmp_eq_u32_e64 s[8:9], 8, v30
	s_waitcnt vmcnt(4)
	v_cndmask_b32_e64 v36, v36, v19, s[8:9]
	v_cndmask_b32_e32 v37, v37, v16, vcc
	v_cmp_eq_u32_e32 vcc, 9, v30
	ds_read_b64 v[34:35], v33
	s_waitcnt vmcnt(3)
	v_cndmask_b32_e32 v36, v36, v21, vcc
	v_cndmask_b32_e64 v37, v37, v18, s[8:9]
	v_cmp_eq_u32_e64 s[8:9], 10, v30
	s_waitcnt vmcnt(2)
	v_cndmask_b32_e64 v36, v36, v23, s[8:9]
	v_cndmask_b32_e32 v37, v37, v20, vcc
	v_cmp_eq_u32_e32 vcc, 11, v30
	s_waitcnt vmcnt(1)
	v_cndmask_b32_e32 v36, v36, v25, vcc
	v_cndmask_b32_e64 v38, v37, v22, s[8:9]
	v_cmp_eq_u32_e64 s[8:9], 12, v30
	s_waitcnt vmcnt(0)
	v_cndmask_b32_e64 v37, v36, v27, s[8:9]
	v_cndmask_b32_e32 v36, v38, v24, vcc
	v_cndmask_b32_e64 v36, v36, v26, s[8:9]
	s_waitcnt lgkmcnt(0)
	v_fma_f64 v[28:29], v[36:37], v[34:35], v[28:29]
	v_cmp_lt_u32_e32 vcc, 3, v30
	s_or_b64 s[12:13], vcc, s[12:13]
	v_add_u32_e32 v33, 8, v33
	s_andn2_b64 exec, exec, s[12:13]
	s_cbranch_execnz .LBB12_215
; %bb.216:
	s_or_b64 exec, exec, s[12:13]
.LBB12_217:
	s_or_b64 exec, exec, s[10:11]
	v_mov_b32_e32 v12, 0
	ds_read_b64 v[12:13], v12 offset:40
	s_waitcnt lgkmcnt(0)
	v_mul_f64 v[12:13], v[28:29], v[12:13]
.LBB12_218:
	s_or_b64 exec, exec, s[30:31]
	v_cmp_gt_u32_e32 vcc, 6, v0
	s_waitcnt vmcnt(6)
	ds_write_b64 v88, v[14:15]
	s_waitcnt lgkmcnt(0)
	; wave barrier
	s_and_saveexec_b64 s[30:31], vcc
	s_cbranch_execz .LBB12_228
; %bb.219:
	s_and_b64 vcc, exec, s[0:1]
	s_cbranch_vccnz .LBB12_221
; %bb.220:
	v_cmp_eq_u32_e32 vcc, 1, v0
	v_cndmask_b32_e32 v28, v3, v5, vcc
	v_cmp_eq_u32_e64 s[8:9], 2, v0
	v_cndmask_b32_e64 v28, v28, v7, s[8:9]
	v_cmp_eq_u32_e64 s[10:11], 3, v0
	v_cndmask_b32_e64 v28, v28, v9, s[10:11]
	;; [unrolled: 2-line block ×5, first 2 shown]
	v_cmp_eq_u32_e64 s[18:19], 7, v0
	s_waitcnt vmcnt(5)
	v_cndmask_b32_e64 v28, v28, v17, s[18:19]
	v_cmp_eq_u32_e64 s[20:21], 8, v0
	s_waitcnt vmcnt(4)
	v_cndmask_b32_e64 v28, v28, v19, s[20:21]
	;; [unrolled: 3-line block ×6, first 2 shown]
	v_cndmask_b32_e32 v28, v2, v4, vcc
	v_cndmask_b32_e64 v28, v28, v6, s[8:9]
	v_cndmask_b32_e64 v28, v28, v8, s[10:11]
	;; [unrolled: 1-line block ×7, first 2 shown]
	ds_read_b64 v[30:31], v88
	v_cndmask_b32_e64 v28, v28, v20, s[22:23]
	v_cndmask_b32_e64 v28, v28, v22, s[24:25]
	;; [unrolled: 1-line block ×4, first 2 shown]
	s_waitcnt lgkmcnt(0)
	v_mul_f64 v[28:29], v[28:29], v[30:31]
	s_cbranch_execz .LBB12_222
	s_branch .LBB12_223
.LBB12_221:
                                        ; implicit-def: $vgpr28_vgpr29
.LBB12_222:
	ds_read_b64 v[28:29], v88
.LBB12_223:
	v_cmp_ne_u32_e32 vcc, 5, v0
	s_and_saveexec_b64 s[10:11], vcc
	s_cbranch_execz .LBB12_227
; %bb.224:
	v_mov_b32_e32 v30, 0x78
	v_lshl_add_u32 v33, v0, 3, v30
	v_mov_b32_e32 v31, v1
	s_mov_b64 s[12:13], 0
	v_mov_b32_e32 v30, v0
.LBB12_225:                             ; =>This Inner Loop Header: Depth=1
	v_add_co_u32_e32 v30, vcc, 1, v30
	v_addc_co_u32_e32 v31, vcc, 0, v31, vcc
	v_cmp_eq_u32_e32 vcc, 1, v30
	v_cndmask_b32_e32 v36, v3, v5, vcc
	v_cmp_eq_u32_e64 s[8:9], 2, v30
	v_cndmask_b32_e64 v36, v36, v7, s[8:9]
	v_cndmask_b32_e32 v37, v2, v4, vcc
	v_cmp_eq_u32_e32 vcc, 3, v30
	v_cndmask_b32_e32 v36, v36, v9, vcc
	v_cndmask_b32_e64 v37, v37, v6, s[8:9]
	v_cmp_eq_u32_e64 s[8:9], 4, v30
	v_cndmask_b32_e64 v36, v36, v11, s[8:9]
	v_cndmask_b32_e32 v37, v37, v8, vcc
	v_cmp_eq_u32_e32 vcc, 5, v30
	v_cndmask_b32_e32 v36, v36, v13, vcc
	v_cndmask_b32_e64 v37, v37, v10, s[8:9]
	v_cmp_eq_u32_e64 s[8:9], 6, v30
	v_cndmask_b32_e64 v36, v36, v15, s[8:9]
	v_cndmask_b32_e32 v37, v37, v12, vcc
	v_cmp_eq_u32_e32 vcc, 7, v30
	s_waitcnt vmcnt(5)
	v_cndmask_b32_e32 v36, v36, v17, vcc
	v_cndmask_b32_e64 v37, v37, v14, s[8:9]
	v_cmp_eq_u32_e64 s[8:9], 8, v30
	s_waitcnt vmcnt(4)
	v_cndmask_b32_e64 v36, v36, v19, s[8:9]
	v_cndmask_b32_e32 v37, v37, v16, vcc
	v_cmp_eq_u32_e32 vcc, 9, v30
	ds_read_b64 v[34:35], v33
	s_waitcnt vmcnt(3)
	v_cndmask_b32_e32 v36, v36, v21, vcc
	v_cndmask_b32_e64 v37, v37, v18, s[8:9]
	v_cmp_eq_u32_e64 s[8:9], 10, v30
	s_waitcnt vmcnt(2)
	v_cndmask_b32_e64 v36, v36, v23, s[8:9]
	v_cndmask_b32_e32 v37, v37, v20, vcc
	v_cmp_eq_u32_e32 vcc, 11, v30
	s_waitcnt vmcnt(1)
	v_cndmask_b32_e32 v36, v36, v25, vcc
	v_cndmask_b32_e64 v38, v37, v22, s[8:9]
	v_cmp_eq_u32_e64 s[8:9], 12, v30
	s_waitcnt vmcnt(0)
	v_cndmask_b32_e64 v37, v36, v27, s[8:9]
	v_cndmask_b32_e32 v36, v38, v24, vcc
	v_cndmask_b32_e64 v36, v36, v26, s[8:9]
	s_waitcnt lgkmcnt(0)
	v_fma_f64 v[28:29], v[36:37], v[34:35], v[28:29]
	v_cmp_lt_u32_e32 vcc, 4, v30
	s_or_b64 s[12:13], vcc, s[12:13]
	v_add_u32_e32 v33, 8, v33
	s_andn2_b64 exec, exec, s[12:13]
	s_cbranch_execnz .LBB12_225
; %bb.226:
	s_or_b64 exec, exec, s[12:13]
.LBB12_227:
	s_or_b64 exec, exec, s[10:11]
	v_mov_b32_e32 v14, 0
	ds_read_b64 v[14:15], v14 offset:48
	s_waitcnt lgkmcnt(0)
	v_mul_f64 v[14:15], v[28:29], v[14:15]
.LBB12_228:
	s_or_b64 exec, exec, s[30:31]
	v_cmp_gt_u32_e64 s[8:9], 7, v0
	s_waitcnt vmcnt(5)
	ds_write_b64 v88, v[16:17]
	s_waitcnt lgkmcnt(0)
	; wave barrier
	s_and_saveexec_b64 s[34:35], s[8:9]
	s_cbranch_execz .LBB12_238
; %bb.229:
	s_and_b64 vcc, exec, s[0:1]
	s_cbranch_vccnz .LBB12_231
; %bb.230:
	v_cmp_eq_u32_e32 vcc, 1, v0
	v_cndmask_b32_e32 v28, v3, v5, vcc
	v_cmp_eq_u32_e64 s[10:11], 2, v0
	v_cndmask_b32_e64 v28, v28, v7, s[10:11]
	v_cmp_eq_u32_e64 s[12:13], 3, v0
	v_cndmask_b32_e64 v28, v28, v9, s[12:13]
	;; [unrolled: 2-line block ×6, first 2 shown]
	v_cmp_eq_u32_e64 s[22:23], 8, v0
	s_waitcnt vmcnt(4)
	v_cndmask_b32_e64 v28, v28, v19, s[22:23]
	v_cmp_eq_u32_e64 s[24:25], 9, v0
	s_waitcnt vmcnt(3)
	v_cndmask_b32_e64 v28, v28, v21, s[24:25]
	;; [unrolled: 3-line block ×5, first 2 shown]
	v_cndmask_b32_e32 v28, v2, v4, vcc
	v_cndmask_b32_e64 v28, v28, v6, s[10:11]
	v_cndmask_b32_e64 v28, v28, v8, s[12:13]
	;; [unrolled: 1-line block ×7, first 2 shown]
	ds_read_b64 v[30:31], v88
	v_cndmask_b32_e64 v28, v28, v20, s[24:25]
	v_cndmask_b32_e64 v28, v28, v22, s[26:27]
	;; [unrolled: 1-line block ×4, first 2 shown]
	s_waitcnt lgkmcnt(0)
	v_mul_f64 v[28:29], v[28:29], v[30:31]
	s_cbranch_execz .LBB12_232
	s_branch .LBB12_233
.LBB12_231:
                                        ; implicit-def: $vgpr28_vgpr29
.LBB12_232:
	ds_read_b64 v[28:29], v88
.LBB12_233:
	v_cmp_ne_u32_e32 vcc, 6, v0
	s_and_saveexec_b64 s[12:13], vcc
	s_cbranch_execz .LBB12_237
; %bb.234:
	v_mov_b32_e32 v30, 0x78
	v_lshl_add_u32 v33, v0, 3, v30
	v_mov_b32_e32 v31, v1
	s_mov_b64 s[14:15], 0
	v_mov_b32_e32 v30, v0
.LBB12_235:                             ; =>This Inner Loop Header: Depth=1
	v_add_co_u32_e32 v30, vcc, 1, v30
	v_addc_co_u32_e32 v31, vcc, 0, v31, vcc
	v_cmp_eq_u32_e32 vcc, 1, v30
	v_cndmask_b32_e32 v36, v3, v5, vcc
	v_cmp_eq_u32_e64 s[10:11], 2, v30
	v_cndmask_b32_e64 v36, v36, v7, s[10:11]
	v_cndmask_b32_e32 v37, v2, v4, vcc
	v_cmp_eq_u32_e32 vcc, 3, v30
	v_cndmask_b32_e32 v36, v36, v9, vcc
	v_cndmask_b32_e64 v37, v37, v6, s[10:11]
	v_cmp_eq_u32_e64 s[10:11], 4, v30
	v_cndmask_b32_e64 v36, v36, v11, s[10:11]
	v_cndmask_b32_e32 v37, v37, v8, vcc
	v_cmp_eq_u32_e32 vcc, 5, v30
	v_cndmask_b32_e32 v36, v36, v13, vcc
	v_cndmask_b32_e64 v37, v37, v10, s[10:11]
	;; [unrolled: 6-line block ×3, first 2 shown]
	v_cmp_eq_u32_e64 s[10:11], 8, v30
	s_waitcnt vmcnt(4)
	v_cndmask_b32_e64 v36, v36, v19, s[10:11]
	v_cndmask_b32_e32 v37, v37, v16, vcc
	v_cmp_eq_u32_e32 vcc, 9, v30
	ds_read_b64 v[34:35], v33
	s_waitcnt vmcnt(3)
	v_cndmask_b32_e32 v36, v36, v21, vcc
	v_cndmask_b32_e64 v37, v37, v18, s[10:11]
	v_cmp_eq_u32_e64 s[10:11], 10, v30
	s_waitcnt vmcnt(2)
	v_cndmask_b32_e64 v36, v36, v23, s[10:11]
	v_cndmask_b32_e32 v37, v37, v20, vcc
	v_cmp_eq_u32_e32 vcc, 11, v30
	s_waitcnt vmcnt(1)
	v_cndmask_b32_e32 v36, v36, v25, vcc
	v_cndmask_b32_e64 v38, v37, v22, s[10:11]
	v_cmp_eq_u32_e64 s[10:11], 12, v30
	s_waitcnt vmcnt(0)
	v_cndmask_b32_e64 v37, v36, v27, s[10:11]
	v_cndmask_b32_e32 v36, v38, v24, vcc
	v_cndmask_b32_e64 v36, v36, v26, s[10:11]
	s_waitcnt lgkmcnt(0)
	v_fma_f64 v[28:29], v[36:37], v[34:35], v[28:29]
	v_cmp_lt_u32_e32 vcc, 5, v30
	s_or_b64 s[14:15], vcc, s[14:15]
	v_add_u32_e32 v33, 8, v33
	s_andn2_b64 exec, exec, s[14:15]
	s_cbranch_execnz .LBB12_235
; %bb.236:
	s_or_b64 exec, exec, s[14:15]
.LBB12_237:
	s_or_b64 exec, exec, s[12:13]
	v_mov_b32_e32 v16, 0
	ds_read_b64 v[16:17], v16 offset:56
	s_waitcnt lgkmcnt(0)
	v_mul_f64 v[16:17], v[28:29], v[16:17]
.LBB12_238:
	s_or_b64 exec, exec, s[34:35]
	v_cmp_gt_u32_e32 vcc, 8, v0
	s_waitcnt vmcnt(4)
	ds_write_b64 v88, v[18:19]
	s_waitcnt lgkmcnt(0)
	; wave barrier
	s_and_saveexec_b64 s[34:35], vcc
	s_cbranch_execz .LBB12_248
; %bb.239:
	s_and_b64 vcc, exec, s[0:1]
	s_cbranch_vccnz .LBB12_241
; %bb.240:
	v_cmp_eq_u32_e32 vcc, 1, v0
	v_cndmask_b32_e32 v28, v3, v5, vcc
	v_cmp_eq_u32_e64 s[10:11], 2, v0
	v_cndmask_b32_e64 v28, v28, v7, s[10:11]
	v_cmp_eq_u32_e64 s[12:13], 3, v0
	v_cndmask_b32_e64 v28, v28, v9, s[12:13]
	;; [unrolled: 2-line block ×7, first 2 shown]
	v_cmp_eq_u32_e64 s[24:25], 9, v0
	s_waitcnt vmcnt(3)
	v_cndmask_b32_e64 v28, v28, v21, s[24:25]
	v_cmp_eq_u32_e64 s[26:27], 10, v0
	s_waitcnt vmcnt(2)
	v_cndmask_b32_e64 v28, v28, v23, s[26:27]
	;; [unrolled: 3-line block ×4, first 2 shown]
	v_cndmask_b32_e32 v28, v2, v4, vcc
	v_cndmask_b32_e64 v28, v28, v6, s[10:11]
	v_cndmask_b32_e64 v28, v28, v8, s[12:13]
	;; [unrolled: 1-line block ×7, first 2 shown]
	ds_read_b64 v[30:31], v88
	v_cndmask_b32_e64 v28, v28, v20, s[24:25]
	v_cndmask_b32_e64 v28, v28, v22, s[26:27]
	;; [unrolled: 1-line block ×4, first 2 shown]
	s_waitcnt lgkmcnt(0)
	v_mul_f64 v[28:29], v[28:29], v[30:31]
	s_cbranch_execz .LBB12_242
	s_branch .LBB12_243
.LBB12_241:
                                        ; implicit-def: $vgpr28_vgpr29
.LBB12_242:
	ds_read_b64 v[28:29], v88
.LBB12_243:
	v_cmp_ne_u32_e32 vcc, 7, v0
	s_and_saveexec_b64 s[12:13], vcc
	s_cbranch_execz .LBB12_247
; %bb.244:
	v_mov_b32_e32 v30, 0x78
	v_lshl_add_u32 v33, v0, 3, v30
	v_mov_b32_e32 v31, v1
	s_mov_b64 s[14:15], 0
	v_mov_b32_e32 v30, v0
.LBB12_245:                             ; =>This Inner Loop Header: Depth=1
	v_add_co_u32_e32 v30, vcc, 1, v30
	v_addc_co_u32_e32 v31, vcc, 0, v31, vcc
	v_cmp_eq_u32_e32 vcc, 1, v30
	v_cndmask_b32_e32 v36, v3, v5, vcc
	v_cmp_eq_u32_e64 s[10:11], 2, v30
	v_cndmask_b32_e64 v36, v36, v7, s[10:11]
	v_cndmask_b32_e32 v37, v2, v4, vcc
	v_cmp_eq_u32_e32 vcc, 3, v30
	v_cndmask_b32_e32 v36, v36, v9, vcc
	v_cndmask_b32_e64 v37, v37, v6, s[10:11]
	v_cmp_eq_u32_e64 s[10:11], 4, v30
	v_cndmask_b32_e64 v36, v36, v11, s[10:11]
	v_cndmask_b32_e32 v37, v37, v8, vcc
	v_cmp_eq_u32_e32 vcc, 5, v30
	v_cndmask_b32_e32 v36, v36, v13, vcc
	v_cndmask_b32_e64 v37, v37, v10, s[10:11]
	v_cmp_eq_u32_e64 s[10:11], 6, v30
	v_cndmask_b32_e64 v36, v36, v15, s[10:11]
	v_cndmask_b32_e32 v37, v37, v12, vcc
	v_cmp_eq_u32_e32 vcc, 7, v30
	v_cndmask_b32_e32 v36, v36, v17, vcc
	v_cndmask_b32_e64 v37, v37, v14, s[10:11]
	v_cmp_eq_u32_e64 s[10:11], 8, v30
	v_cndmask_b32_e64 v36, v36, v19, s[10:11]
	v_cndmask_b32_e32 v37, v37, v16, vcc
	v_cmp_eq_u32_e32 vcc, 9, v30
	ds_read_b64 v[34:35], v33
	s_waitcnt vmcnt(3)
	v_cndmask_b32_e32 v36, v36, v21, vcc
	v_cndmask_b32_e64 v37, v37, v18, s[10:11]
	v_cmp_eq_u32_e64 s[10:11], 10, v30
	s_waitcnt vmcnt(2)
	v_cndmask_b32_e64 v36, v36, v23, s[10:11]
	v_cndmask_b32_e32 v37, v37, v20, vcc
	v_cmp_eq_u32_e32 vcc, 11, v30
	s_waitcnt vmcnt(1)
	v_cndmask_b32_e32 v36, v36, v25, vcc
	v_cndmask_b32_e64 v38, v37, v22, s[10:11]
	v_cmp_eq_u32_e64 s[10:11], 12, v30
	s_waitcnt vmcnt(0)
	v_cndmask_b32_e64 v37, v36, v27, s[10:11]
	v_cndmask_b32_e32 v36, v38, v24, vcc
	v_cndmask_b32_e64 v36, v36, v26, s[10:11]
	s_waitcnt lgkmcnt(0)
	v_fma_f64 v[28:29], v[36:37], v[34:35], v[28:29]
	v_cmp_lt_u32_e32 vcc, 6, v30
	s_or_b64 s[14:15], vcc, s[14:15]
	v_add_u32_e32 v33, 8, v33
	s_andn2_b64 exec, exec, s[14:15]
	s_cbranch_execnz .LBB12_245
; %bb.246:
	s_or_b64 exec, exec, s[14:15]
.LBB12_247:
	s_or_b64 exec, exec, s[12:13]
	v_mov_b32_e32 v18, 0
	ds_read_b64 v[18:19], v18 offset:64
	s_waitcnt lgkmcnt(0)
	v_mul_f64 v[18:19], v[28:29], v[18:19]
.LBB12_248:
	s_or_b64 exec, exec, s[34:35]
	v_cmp_gt_u32_e32 vcc, 9, v0
	s_waitcnt vmcnt(3)
	ds_write_b64 v88, v[20:21]
	s_waitcnt lgkmcnt(0)
	; wave barrier
	s_and_saveexec_b64 s[34:35], vcc
	s_cbranch_execz .LBB12_270
; %bb.249:
	s_and_b64 vcc, exec, s[0:1]
	s_cbranch_vccnz .LBB12_251
; %bb.250:
	v_cmp_eq_u32_e32 vcc, 1, v0
	v_cndmask_b32_e32 v28, v3, v5, vcc
	v_cmp_eq_u32_e64 s[10:11], 2, v0
	v_cndmask_b32_e64 v28, v28, v7, s[10:11]
	v_cmp_eq_u32_e64 s[12:13], 3, v0
	v_cndmask_b32_e64 v28, v28, v9, s[12:13]
	;; [unrolled: 2-line block ×8, first 2 shown]
	v_cmp_eq_u32_e64 s[26:27], 10, v0
	s_waitcnt vmcnt(2)
	v_cndmask_b32_e64 v28, v28, v23, s[26:27]
	v_cmp_eq_u32_e64 s[28:29], 11, v0
	s_waitcnt vmcnt(1)
	v_cndmask_b32_e64 v28, v28, v25, s[28:29]
	v_cmp_eq_u32_e64 s[30:31], 12, v0
	s_waitcnt vmcnt(0)
	v_cndmask_b32_e64 v29, v28, v27, s[30:31]
	v_cndmask_b32_e32 v28, v2, v4, vcc
	v_cndmask_b32_e64 v28, v28, v6, s[10:11]
	v_cndmask_b32_e64 v28, v28, v8, s[12:13]
	;; [unrolled: 1-line block ×7, first 2 shown]
	ds_read_b64 v[30:31], v88
	v_cndmask_b32_e64 v28, v28, v20, s[24:25]
	v_cndmask_b32_e64 v28, v28, v22, s[26:27]
	;; [unrolled: 1-line block ×4, first 2 shown]
	s_waitcnt lgkmcnt(0)
	v_mul_f64 v[28:29], v[28:29], v[30:31]
	s_cbranch_execz .LBB12_252
	s_branch .LBB12_253
.LBB12_251:
                                        ; implicit-def: $vgpr28_vgpr29
.LBB12_252:
	ds_read_b64 v[28:29], v88
.LBB12_253:
	v_cmp_ne_u32_e32 vcc, 8, v0
	s_and_saveexec_b64 s[36:37], vcc
	s_cbranch_execz .LBB12_269
; %bb.254:
	v_cmp_eq_u32_e32 vcc, 1, v32
	v_cndmask_b32_e32 v30, v3, v5, vcc
	v_cmp_eq_u32_e64 s[10:11], 2, v32
	v_cndmask_b32_e64 v30, v30, v7, s[10:11]
	v_cmp_eq_u32_e64 s[12:13], 3, v32
	v_cndmask_b32_e64 v30, v30, v9, s[12:13]
	;; [unrolled: 2-line block ×8, first 2 shown]
	v_cmp_eq_u32_e64 s[26:27], 10, v32
	s_waitcnt vmcnt(2)
	v_cndmask_b32_e64 v30, v30, v23, s[26:27]
	v_cmp_eq_u32_e64 s[28:29], 11, v32
	s_waitcnt vmcnt(1)
	v_cndmask_b32_e64 v30, v30, v25, s[28:29]
	;; [unrolled: 3-line block ×3, first 2 shown]
	v_cndmask_b32_e32 v30, v2, v4, vcc
	v_cndmask_b32_e64 v30, v30, v6, s[10:11]
	v_cndmask_b32_e64 v30, v30, v8, s[12:13]
	;; [unrolled: 1-line block ×7, first 2 shown]
	ds_read_b64 v[32:33], v88 offset:8
	v_cndmask_b32_e64 v30, v30, v20, s[24:25]
	v_cndmask_b32_e64 v30, v30, v22, s[26:27]
	;; [unrolled: 1-line block ×4, first 2 shown]
	s_waitcnt lgkmcnt(0)
	v_fma_f64 v[28:29], v[30:31], v[32:33], v[28:29]
	s_and_saveexec_b64 s[30:31], s[8:9]
	s_cbranch_execz .LBB12_268
; %bb.255:
	v_add_u32_e32 v30, 2, v0
	v_cmp_eq_u32_e32 vcc, 1, v30
	v_cndmask_b32_e32 v31, v3, v5, vcc
	v_cmp_eq_u32_e64 s[8:9], 2, v30
	v_cmp_eq_u32_e64 s[10:11], 3, v30
	;; [unrolled: 1-line block ×11, first 2 shown]
	v_cndmask_b32_e32 v30, v2, v4, vcc
	v_cndmask_b32_e64 v31, v31, v7, s[8:9]
	v_cndmask_b32_e64 v30, v30, v6, s[8:9]
	;; [unrolled: 1-line block ×14, first 2 shown]
	ds_read_b64 v[32:33], v88 offset:16
	v_cndmask_b32_e64 v31, v31, v21, s[22:23]
	v_cndmask_b32_e64 v30, v30, v20, s[22:23]
	;; [unrolled: 1-line block ×8, first 2 shown]
	s_waitcnt lgkmcnt(0)
	v_fma_f64 v[28:29], v[30:31], v[32:33], v[28:29]
	v_cmp_ne_u32_e32 vcc, 6, v0
	s_and_saveexec_b64 s[38:39], vcc
	s_cbranch_execz .LBB12_267
; %bb.256:
	v_add_u32_e32 v30, 3, v0
	v_cmp_eq_u32_e32 vcc, 1, v30
	v_cndmask_b32_e32 v31, v3, v5, vcc
	v_cmp_eq_u32_e64 s[8:9], 2, v30
	v_cmp_eq_u32_e64 s[10:11], 3, v30
	v_cmp_eq_u32_e64 s[12:13], 4, v30
	v_cmp_eq_u32_e64 s[14:15], 5, v30
	v_cmp_eq_u32_e64 s[16:17], 6, v30
	v_cmp_eq_u32_e64 s[18:19], 7, v30
	v_cmp_eq_u32_e64 s[20:21], 8, v30
	v_cmp_eq_u32_e64 s[22:23], 9, v30
	v_cmp_eq_u32_e64 s[24:25], 10, v30
	v_cmp_eq_u32_e64 s[26:27], 11, v30
	v_cmp_eq_u32_e64 s[28:29], 12, v30
	v_cndmask_b32_e32 v30, v2, v4, vcc
	v_cndmask_b32_e64 v31, v31, v7, s[8:9]
	v_cndmask_b32_e64 v30, v30, v6, s[8:9]
	;; [unrolled: 1-line block ×14, first 2 shown]
	ds_read_b64 v[32:33], v88 offset:24
	v_cndmask_b32_e64 v31, v31, v21, s[22:23]
	v_cndmask_b32_e64 v30, v30, v20, s[22:23]
	;; [unrolled: 1-line block ×8, first 2 shown]
	s_waitcnt lgkmcnt(0)
	v_fma_f64 v[28:29], v[30:31], v[32:33], v[28:29]
	s_and_saveexec_b64 s[28:29], s[6:7]
	s_cbranch_execz .LBB12_266
; %bb.257:
	v_add_u32_e32 v30, 4, v0
	v_cmp_eq_u32_e32 vcc, 1, v30
	v_cndmask_b32_e32 v31, v3, v5, vcc
	v_cmp_eq_u32_e64 s[6:7], 2, v30
	v_cmp_eq_u32_e64 s[8:9], 3, v30
	;; [unrolled: 1-line block ×11, first 2 shown]
	v_cndmask_b32_e32 v30, v2, v4, vcc
	v_cndmask_b32_e64 v31, v31, v7, s[6:7]
	v_cndmask_b32_e64 v30, v30, v6, s[6:7]
	;; [unrolled: 1-line block ×14, first 2 shown]
	ds_read_b64 v[32:33], v88 offset:32
	v_cndmask_b32_e64 v31, v31, v21, s[20:21]
	v_cndmask_b32_e64 v30, v30, v20, s[20:21]
	;; [unrolled: 1-line block ×8, first 2 shown]
	s_waitcnt lgkmcnt(0)
	v_fma_f64 v[28:29], v[30:31], v[32:33], v[28:29]
	v_cmp_ne_u32_e32 vcc, 4, v0
	s_and_saveexec_b64 s[40:41], vcc
	s_cbranch_execz .LBB12_265
; %bb.258:
	v_add_u32_e32 v30, 5, v0
	v_cmp_eq_u32_e32 vcc, 1, v30
	v_cndmask_b32_e32 v31, v3, v5, vcc
	v_cmp_eq_u32_e64 s[6:7], 2, v30
	v_cmp_eq_u32_e64 s[8:9], 3, v30
	;; [unrolled: 1-line block ×11, first 2 shown]
	v_cndmask_b32_e32 v30, v2, v4, vcc
	v_cndmask_b32_e64 v31, v31, v7, s[6:7]
	v_cndmask_b32_e64 v30, v30, v6, s[6:7]
	;; [unrolled: 1-line block ×14, first 2 shown]
	ds_read_b64 v[32:33], v88 offset:40
	v_cndmask_b32_e64 v31, v31, v21, s[20:21]
	v_cndmask_b32_e64 v30, v30, v20, s[20:21]
	;; [unrolled: 1-line block ×8, first 2 shown]
	s_waitcnt lgkmcnt(0)
	v_fma_f64 v[28:29], v[30:31], v[32:33], v[28:29]
	s_and_saveexec_b64 s[26:27], s[4:5]
	s_cbranch_execz .LBB12_264
; %bb.259:
	v_add_u32_e32 v30, 6, v0
	v_cmp_eq_u32_e32 vcc, 1, v30
	v_cndmask_b32_e32 v31, v3, v5, vcc
	v_cmp_eq_u32_e64 s[4:5], 2, v30
	v_cmp_eq_u32_e64 s[6:7], 3, v30
	;; [unrolled: 1-line block ×11, first 2 shown]
	v_cndmask_b32_e32 v30, v2, v4, vcc
	v_cndmask_b32_e64 v31, v31, v7, s[4:5]
	v_cndmask_b32_e64 v30, v30, v6, s[4:5]
	;; [unrolled: 1-line block ×14, first 2 shown]
	ds_read_b64 v[32:33], v88 offset:48
	v_cndmask_b32_e64 v31, v31, v21, s[18:19]
	v_cndmask_b32_e64 v30, v30, v20, s[18:19]
	;; [unrolled: 1-line block ×8, first 2 shown]
	s_waitcnt lgkmcnt(0)
	v_fma_f64 v[28:29], v[30:31], v[32:33], v[28:29]
	v_cmp_ne_u32_e32 vcc, 2, v0
	s_and_saveexec_b64 s[42:43], vcc
	s_cbranch_execz .LBB12_263
; %bb.260:
	v_add_u32_e32 v30, 7, v0
	v_cmp_eq_u32_e32 vcc, 1, v30
	v_cndmask_b32_e32 v31, v3, v5, vcc
	v_cmp_eq_u32_e64 s[4:5], 2, v30
	v_cndmask_b32_e64 v31, v31, v7, s[4:5]
	v_cmp_eq_u32_e64 s[6:7], 3, v30
	v_cmp_eq_u32_e64 s[8:9], 4, v30
	;; [unrolled: 1-line block ×10, first 2 shown]
	v_cndmask_b32_e32 v30, v2, v4, vcc
	v_cndmask_b32_e64 v31, v31, v9, s[6:7]
	v_cndmask_b32_e64 v30, v30, v6, s[4:5]
	;; [unrolled: 1-line block ×14, first 2 shown]
	ds_read_b64 v[30:31], v88 offset:56
	v_cndmask_b32_e64 v20, v32, v20, s[18:19]
	v_cndmask_b32_e64 v21, v21, v23, s[20:21]
	;; [unrolled: 1-line block ×7, first 2 shown]
	s_waitcnt lgkmcnt(0)
	v_fma_f64 v[28:29], v[20:21], v[30:31], v[28:29]
	s_and_saveexec_b64 s[4:5], s[2:3]
	s_cbranch_execz .LBB12_262
; %bb.261:
	ds_read_b64 v[20:21], v88 offset:64
	s_waitcnt lgkmcnt(0)
	v_fma_f64 v[28:29], v[18:19], v[20:21], v[28:29]
.LBB12_262:
	s_or_b64 exec, exec, s[4:5]
.LBB12_263:
	s_or_b64 exec, exec, s[42:43]
.LBB12_264:
	s_or_b64 exec, exec, s[26:27]
.LBB12_265:
	s_or_b64 exec, exec, s[40:41]
.LBB12_266:
	s_or_b64 exec, exec, s[28:29]
.LBB12_267:
	s_or_b64 exec, exec, s[38:39]
.LBB12_268:
	s_or_b64 exec, exec, s[30:31]
.LBB12_269:
	s_or_b64 exec, exec, s[36:37]
	v_mov_b32_e32 v20, 0
	ds_read_b64 v[20:21], v20 offset:72
	s_waitcnt lgkmcnt(0)
	v_mul_f64 v[20:21], v[28:29], v[20:21]
.LBB12_270:
	s_or_b64 exec, exec, s[34:35]
	v_cmp_gt_u32_e32 vcc, 10, v0
	s_waitcnt vmcnt(2)
	ds_write_b64 v88, v[22:23]
	s_waitcnt lgkmcnt(0)
	; wave barrier
	s_and_saveexec_b64 s[24:25], vcc
	s_cbranch_execz .LBB12_280
; %bb.271:
	s_and_b64 vcc, exec, s[0:1]
	s_cbranch_vccnz .LBB12_273
; %bb.272:
	v_cmp_eq_u32_e32 vcc, 1, v0
	v_cndmask_b32_e32 v28, v3, v5, vcc
	v_cmp_eq_u32_e64 s[2:3], 2, v0
	v_cndmask_b32_e64 v28, v28, v7, s[2:3]
	v_cmp_eq_u32_e64 s[4:5], 3, v0
	v_cndmask_b32_e64 v28, v28, v9, s[4:5]
	v_cmp_eq_u32_e64 s[6:7], 4, v0
	v_cndmask_b32_e64 v28, v28, v11, s[6:7]
	v_cmp_eq_u32_e64 s[8:9], 5, v0
	v_cndmask_b32_e64 v28, v28, v13, s[8:9]
	v_cmp_eq_u32_e64 s[10:11], 6, v0
	v_cndmask_b32_e64 v28, v28, v15, s[10:11]
	v_cmp_eq_u32_e64 s[12:13], 7, v0
	v_cndmask_b32_e64 v28, v28, v17, s[12:13]
	v_cmp_eq_u32_e64 s[14:15], 8, v0
	v_cndmask_b32_e64 v28, v28, v19, s[14:15]
	v_cmp_eq_u32_e64 s[16:17], 9, v0
	v_cndmask_b32_e64 v28, v28, v21, s[16:17]
	v_cmp_eq_u32_e64 s[18:19], 10, v0
	v_cndmask_b32_e64 v28, v28, v23, s[18:19]
	v_cmp_eq_u32_e64 s[20:21], 11, v0
	s_waitcnt vmcnt(1)
	v_cndmask_b32_e64 v28, v28, v25, s[20:21]
	v_cmp_eq_u32_e64 s[22:23], 12, v0
	s_waitcnt vmcnt(0)
	v_cndmask_b32_e64 v29, v28, v27, s[22:23]
	v_cndmask_b32_e32 v28, v2, v4, vcc
	v_cndmask_b32_e64 v28, v28, v6, s[2:3]
	v_cndmask_b32_e64 v28, v28, v8, s[4:5]
	;; [unrolled: 1-line block ×7, first 2 shown]
	ds_read_b64 v[30:31], v88
	v_cndmask_b32_e64 v28, v28, v20, s[16:17]
	v_cndmask_b32_e64 v28, v28, v22, s[18:19]
	;; [unrolled: 1-line block ×4, first 2 shown]
	s_waitcnt lgkmcnt(0)
	v_mul_f64 v[28:29], v[28:29], v[30:31]
	s_cbranch_execz .LBB12_274
	s_branch .LBB12_275
.LBB12_273:
                                        ; implicit-def: $vgpr28_vgpr29
.LBB12_274:
	ds_read_b64 v[28:29], v88
.LBB12_275:
	v_cmp_ne_u32_e32 vcc, 9, v0
	s_and_saveexec_b64 s[4:5], vcc
	s_cbranch_execz .LBB12_279
; %bb.276:
	v_mov_b32_e32 v30, 0x78
	v_lshl_add_u32 v32, v0, 3, v30
	v_mov_b32_e32 v31, v1
	s_mov_b64 s[6:7], 0
	v_mov_b32_e32 v30, v0
.LBB12_277:                             ; =>This Inner Loop Header: Depth=1
	v_add_co_u32_e32 v30, vcc, 1, v30
	v_addc_co_u32_e32 v31, vcc, 0, v31, vcc
	v_cmp_eq_u32_e32 vcc, 1, v30
	v_cndmask_b32_e32 v35, v3, v5, vcc
	v_cmp_eq_u32_e64 s[2:3], 2, v30
	v_cndmask_b32_e64 v35, v35, v7, s[2:3]
	v_cndmask_b32_e32 v36, v2, v4, vcc
	v_cmp_eq_u32_e32 vcc, 3, v30
	v_cndmask_b32_e32 v35, v35, v9, vcc
	v_cndmask_b32_e64 v36, v36, v6, s[2:3]
	v_cmp_eq_u32_e64 s[2:3], 4, v30
	v_cndmask_b32_e64 v35, v35, v11, s[2:3]
	v_cndmask_b32_e32 v36, v36, v8, vcc
	v_cmp_eq_u32_e32 vcc, 5, v30
	v_cndmask_b32_e32 v35, v35, v13, vcc
	v_cndmask_b32_e64 v36, v36, v10, s[2:3]
	;; [unrolled: 6-line block ×3, first 2 shown]
	v_cmp_eq_u32_e64 s[2:3], 8, v30
	v_cndmask_b32_e64 v35, v35, v19, s[2:3]
	v_cndmask_b32_e32 v36, v36, v16, vcc
	v_cmp_eq_u32_e32 vcc, 9, v30
	ds_read_b64 v[33:34], v32
	v_cndmask_b32_e32 v35, v35, v21, vcc
	v_cndmask_b32_e64 v36, v36, v18, s[2:3]
	v_cmp_eq_u32_e64 s[2:3], 10, v30
	v_cndmask_b32_e64 v35, v35, v23, s[2:3]
	v_cndmask_b32_e32 v36, v36, v20, vcc
	v_cmp_eq_u32_e32 vcc, 11, v30
	s_waitcnt vmcnt(1)
	v_cndmask_b32_e32 v35, v35, v25, vcc
	v_cndmask_b32_e64 v37, v36, v22, s[2:3]
	v_cmp_eq_u32_e64 s[2:3], 12, v30
	s_waitcnt vmcnt(0)
	v_cndmask_b32_e64 v36, v35, v27, s[2:3]
	v_cndmask_b32_e32 v35, v37, v24, vcc
	v_cndmask_b32_e64 v35, v35, v26, s[2:3]
	s_waitcnt lgkmcnt(0)
	v_fma_f64 v[28:29], v[35:36], v[33:34], v[28:29]
	v_cmp_lt_u32_e32 vcc, 8, v30
	s_or_b64 s[6:7], vcc, s[6:7]
	v_add_u32_e32 v32, 8, v32
	s_andn2_b64 exec, exec, s[6:7]
	s_cbranch_execnz .LBB12_277
; %bb.278:
	s_or_b64 exec, exec, s[6:7]
.LBB12_279:
	s_or_b64 exec, exec, s[4:5]
	v_mov_b32_e32 v22, 0
	ds_read_b64 v[22:23], v22 offset:80
	s_waitcnt lgkmcnt(0)
	v_mul_f64 v[22:23], v[28:29], v[22:23]
.LBB12_280:
	s_or_b64 exec, exec, s[24:25]
	v_cmp_gt_u32_e64 s[2:3], 11, v0
	s_waitcnt vmcnt(1)
	ds_write_b64 v88, v[24:25]
	s_waitcnt lgkmcnt(0)
	; wave barrier
	s_and_saveexec_b64 s[26:27], s[2:3]
	s_cbranch_execz .LBB12_290
; %bb.281:
	s_and_b64 vcc, exec, s[0:1]
	s_cbranch_vccnz .LBB12_283
; %bb.282:
	v_cmp_eq_u32_e32 vcc, 1, v0
	v_cndmask_b32_e32 v28, v3, v5, vcc
	v_cmp_eq_u32_e64 s[4:5], 2, v0
	v_cndmask_b32_e64 v28, v28, v7, s[4:5]
	v_cmp_eq_u32_e64 s[6:7], 3, v0
	v_cndmask_b32_e64 v28, v28, v9, s[6:7]
	;; [unrolled: 2-line block ×10, first 2 shown]
	v_cmp_eq_u32_e64 s[24:25], 12, v0
	s_waitcnt vmcnt(0)
	v_cndmask_b32_e64 v29, v28, v27, s[24:25]
	v_cndmask_b32_e32 v28, v2, v4, vcc
	v_cndmask_b32_e64 v28, v28, v6, s[4:5]
	v_cndmask_b32_e64 v28, v28, v8, s[6:7]
	;; [unrolled: 1-line block ×7, first 2 shown]
	ds_read_b64 v[30:31], v88
	v_cndmask_b32_e64 v28, v28, v20, s[18:19]
	v_cndmask_b32_e64 v28, v28, v22, s[20:21]
	;; [unrolled: 1-line block ×4, first 2 shown]
	s_waitcnt lgkmcnt(0)
	v_mul_f64 v[28:29], v[28:29], v[30:31]
	s_cbranch_execz .LBB12_284
	s_branch .LBB12_285
.LBB12_283:
                                        ; implicit-def: $vgpr28_vgpr29
.LBB12_284:
	ds_read_b64 v[28:29], v88
.LBB12_285:
	v_cmp_ne_u32_e32 vcc, 10, v0
	s_and_saveexec_b64 s[6:7], vcc
	s_cbranch_execz .LBB12_289
; %bb.286:
	v_mov_b32_e32 v30, 0x78
	v_lshl_add_u32 v32, v0, 3, v30
	v_mov_b32_e32 v31, v1
	s_mov_b64 s[8:9], 0
	v_mov_b32_e32 v30, v0
.LBB12_287:                             ; =>This Inner Loop Header: Depth=1
	v_add_co_u32_e32 v30, vcc, 1, v30
	v_addc_co_u32_e32 v31, vcc, 0, v31, vcc
	v_cmp_eq_u32_e32 vcc, 1, v30
	v_cndmask_b32_e32 v35, v3, v5, vcc
	v_cmp_eq_u32_e64 s[4:5], 2, v30
	v_cndmask_b32_e64 v35, v35, v7, s[4:5]
	v_cndmask_b32_e32 v36, v2, v4, vcc
	v_cmp_eq_u32_e32 vcc, 3, v30
	v_cndmask_b32_e32 v35, v35, v9, vcc
	v_cndmask_b32_e64 v36, v36, v6, s[4:5]
	v_cmp_eq_u32_e64 s[4:5], 4, v30
	v_cndmask_b32_e64 v35, v35, v11, s[4:5]
	v_cndmask_b32_e32 v36, v36, v8, vcc
	v_cmp_eq_u32_e32 vcc, 5, v30
	v_cndmask_b32_e32 v35, v35, v13, vcc
	v_cndmask_b32_e64 v36, v36, v10, s[4:5]
	;; [unrolled: 6-line block ×3, first 2 shown]
	v_cmp_eq_u32_e64 s[4:5], 8, v30
	v_cndmask_b32_e64 v35, v35, v19, s[4:5]
	v_cndmask_b32_e32 v36, v36, v16, vcc
	v_cmp_eq_u32_e32 vcc, 9, v30
	ds_read_b64 v[33:34], v32
	v_cndmask_b32_e32 v35, v35, v21, vcc
	v_cndmask_b32_e64 v36, v36, v18, s[4:5]
	v_cmp_eq_u32_e64 s[4:5], 10, v30
	v_cndmask_b32_e64 v35, v35, v23, s[4:5]
	v_cndmask_b32_e32 v36, v36, v20, vcc
	v_cmp_eq_u32_e32 vcc, 11, v30
	v_cndmask_b32_e32 v35, v35, v25, vcc
	v_cndmask_b32_e64 v37, v36, v22, s[4:5]
	v_cmp_eq_u32_e64 s[4:5], 12, v30
	s_waitcnt vmcnt(0)
	v_cndmask_b32_e64 v36, v35, v27, s[4:5]
	v_cndmask_b32_e32 v35, v37, v24, vcc
	v_cndmask_b32_e64 v35, v35, v26, s[4:5]
	s_waitcnt lgkmcnt(0)
	v_fma_f64 v[28:29], v[35:36], v[33:34], v[28:29]
	v_cmp_lt_u32_e32 vcc, 9, v30
	s_or_b64 s[8:9], vcc, s[8:9]
	v_add_u32_e32 v32, 8, v32
	s_andn2_b64 exec, exec, s[8:9]
	s_cbranch_execnz .LBB12_287
; %bb.288:
	s_or_b64 exec, exec, s[8:9]
.LBB12_289:
	s_or_b64 exec, exec, s[6:7]
	v_mov_b32_e32 v24, 0
	ds_read_b64 v[24:25], v24 offset:88
	s_waitcnt lgkmcnt(0)
	v_mul_f64 v[24:25], v[28:29], v[24:25]
.LBB12_290:
	s_or_b64 exec, exec, s[26:27]
	v_cmp_ne_u32_e32 vcc, 12, v0
	s_waitcnt vmcnt(0)
	ds_write_b64 v88, v[26:27]
	s_waitcnt lgkmcnt(0)
	; wave barrier
	s_and_saveexec_b64 s[24:25], vcc
	s_cbranch_execz .LBB12_300
; %bb.291:
	s_and_b64 vcc, exec, s[0:1]
	s_cbranch_vccnz .LBB12_293
; %bb.292:
	v_cmp_eq_u32_e32 vcc, 1, v0
	v_cndmask_b32_e32 v28, v3, v5, vcc
	v_cmp_eq_u32_e64 s[0:1], 2, v0
	v_cndmask_b32_e64 v28, v28, v7, s[0:1]
	v_cmp_eq_u32_e64 s[4:5], 3, v0
	v_cndmask_b32_e64 v28, v28, v9, s[4:5]
	;; [unrolled: 2-line block ×11, first 2 shown]
	v_cndmask_b32_e32 v28, v2, v4, vcc
	v_cndmask_b32_e64 v28, v28, v6, s[0:1]
	v_cndmask_b32_e64 v28, v28, v8, s[4:5]
	;; [unrolled: 1-line block ×7, first 2 shown]
	ds_read_b64 v[30:31], v88
	v_cndmask_b32_e64 v28, v28, v20, s[16:17]
	v_cndmask_b32_e64 v28, v28, v22, s[18:19]
	;; [unrolled: 1-line block ×4, first 2 shown]
	s_waitcnt lgkmcnt(0)
	v_mul_f64 v[28:29], v[28:29], v[30:31]
	s_cbranch_execz .LBB12_294
	s_branch .LBB12_295
.LBB12_293:
                                        ; implicit-def: $vgpr28_vgpr29
.LBB12_294:
	ds_read_b64 v[28:29], v88
.LBB12_295:
	s_and_saveexec_b64 s[4:5], s[2:3]
	s_cbranch_execz .LBB12_299
; %bb.296:
	v_mov_b32_e32 v30, 0x78
	v_lshl_add_u32 v30, v0, 3, v30
	s_mov_b64 s[2:3], 0
.LBB12_297:                             ; =>This Inner Loop Header: Depth=1
	v_add_co_u32_e32 v0, vcc, 1, v0
	v_addc_co_u32_e32 v1, vcc, 0, v1, vcc
	v_cmp_eq_u32_e32 vcc, 1, v0
	v_cndmask_b32_e32 v33, v3, v5, vcc
	v_cmp_eq_u32_e64 s[0:1], 2, v0
	v_cndmask_b32_e64 v33, v33, v7, s[0:1]
	v_cndmask_b32_e32 v34, v2, v4, vcc
	v_cmp_eq_u32_e32 vcc, 3, v0
	v_cndmask_b32_e32 v33, v33, v9, vcc
	v_cndmask_b32_e64 v34, v34, v6, s[0:1]
	v_cmp_eq_u32_e64 s[0:1], 4, v0
	v_cndmask_b32_e64 v33, v33, v11, s[0:1]
	v_cndmask_b32_e32 v34, v34, v8, vcc
	v_cmp_eq_u32_e32 vcc, 5, v0
	v_cndmask_b32_e32 v33, v33, v13, vcc
	v_cndmask_b32_e64 v34, v34, v10, s[0:1]
	;; [unrolled: 6-line block ×3, first 2 shown]
	v_cmp_eq_u32_e64 s[0:1], 8, v0
	v_cndmask_b32_e64 v33, v33, v19, s[0:1]
	v_cndmask_b32_e32 v34, v34, v16, vcc
	v_cmp_eq_u32_e32 vcc, 9, v0
	ds_read_b64 v[31:32], v30
	v_cndmask_b32_e32 v33, v33, v21, vcc
	v_cndmask_b32_e64 v34, v34, v18, s[0:1]
	v_cmp_eq_u32_e64 s[0:1], 10, v0
	v_cndmask_b32_e64 v33, v33, v23, s[0:1]
	v_cndmask_b32_e32 v34, v34, v20, vcc
	v_cmp_eq_u32_e32 vcc, 11, v0
	v_cndmask_b32_e32 v33, v33, v25, vcc
	v_cndmask_b32_e64 v35, v34, v22, s[0:1]
	v_cmp_eq_u32_e64 s[0:1], 12, v0
	v_cndmask_b32_e64 v34, v33, v27, s[0:1]
	v_cndmask_b32_e32 v33, v35, v24, vcc
	v_cndmask_b32_e64 v33, v33, v26, s[0:1]
	s_waitcnt lgkmcnt(0)
	v_fma_f64 v[28:29], v[33:34], v[31:32], v[28:29]
	v_cmp_lt_u32_e32 vcc, 10, v0
	s_or_b64 s[2:3], vcc, s[2:3]
	v_add_u32_e32 v30, 8, v30
	s_andn2_b64 exec, exec, s[2:3]
	s_cbranch_execnz .LBB12_297
; %bb.298:
	s_or_b64 exec, exec, s[2:3]
.LBB12_299:
	s_or_b64 exec, exec, s[4:5]
	v_mov_b32_e32 v0, 0
	ds_read_b64 v[0:1], v0 offset:96
	s_waitcnt lgkmcnt(0)
	v_mul_f64 v[26:27], v[28:29], v[0:1]
.LBB12_300:
	s_or_b64 exec, exec, s[24:25]
	v_mov_b32_e32 v59, v33
	v_mov_b32_e32 v58, v32
	;; [unrolled: 1-line block ×32, first 2 shown]
.LBB12_301:
	global_store_dwordx2 v[82:83], v[28:29], off
	global_store_dwordx2 v[84:85], v[30:31], off
	;; [unrolled: 1-line block ×13, first 2 shown]
.LBB12_302:
	s_endpgm
	.section	.rodata,"a",@progbits
	.p2align	6, 0x0
	.amdhsa_kernel _ZN9rocsolver6v33100L18trti2_kernel_smallILi13EdPdEEv13rocblas_fill_17rocblas_diagonal_T1_iil
		.amdhsa_group_segment_fixed_size 216
		.amdhsa_private_segment_fixed_size 0
		.amdhsa_kernarg_size 32
		.amdhsa_user_sgpr_count 6
		.amdhsa_user_sgpr_private_segment_buffer 1
		.amdhsa_user_sgpr_dispatch_ptr 0
		.amdhsa_user_sgpr_queue_ptr 0
		.amdhsa_user_sgpr_kernarg_segment_ptr 1
		.amdhsa_user_sgpr_dispatch_id 0
		.amdhsa_user_sgpr_flat_scratch_init 0
		.amdhsa_user_sgpr_private_segment_size 0
		.amdhsa_uses_dynamic_stack 0
		.amdhsa_system_sgpr_private_segment_wavefront_offset 0
		.amdhsa_system_sgpr_workgroup_id_x 1
		.amdhsa_system_sgpr_workgroup_id_y 0
		.amdhsa_system_sgpr_workgroup_id_z 0
		.amdhsa_system_sgpr_workgroup_info 0
		.amdhsa_system_vgpr_workitem_id 0
		.amdhsa_next_free_vgpr 108
		.amdhsa_next_free_sgpr 44
		.amdhsa_reserve_vcc 1
		.amdhsa_reserve_flat_scratch 0
		.amdhsa_float_round_mode_32 0
		.amdhsa_float_round_mode_16_64 0
		.amdhsa_float_denorm_mode_32 3
		.amdhsa_float_denorm_mode_16_64 3
		.amdhsa_dx10_clamp 1
		.amdhsa_ieee_mode 1
		.amdhsa_fp16_overflow 0
		.amdhsa_exception_fp_ieee_invalid_op 0
		.amdhsa_exception_fp_denorm_src 0
		.amdhsa_exception_fp_ieee_div_zero 0
		.amdhsa_exception_fp_ieee_overflow 0
		.amdhsa_exception_fp_ieee_underflow 0
		.amdhsa_exception_fp_ieee_inexact 0
		.amdhsa_exception_int_div_zero 0
	.end_amdhsa_kernel
	.section	.text._ZN9rocsolver6v33100L18trti2_kernel_smallILi13EdPdEEv13rocblas_fill_17rocblas_diagonal_T1_iil,"axG",@progbits,_ZN9rocsolver6v33100L18trti2_kernel_smallILi13EdPdEEv13rocblas_fill_17rocblas_diagonal_T1_iil,comdat
.Lfunc_end12:
	.size	_ZN9rocsolver6v33100L18trti2_kernel_smallILi13EdPdEEv13rocblas_fill_17rocblas_diagonal_T1_iil, .Lfunc_end12-_ZN9rocsolver6v33100L18trti2_kernel_smallILi13EdPdEEv13rocblas_fill_17rocblas_diagonal_T1_iil
                                        ; -- End function
	.set _ZN9rocsolver6v33100L18trti2_kernel_smallILi13EdPdEEv13rocblas_fill_17rocblas_diagonal_T1_iil.num_vgpr, 108
	.set _ZN9rocsolver6v33100L18trti2_kernel_smallILi13EdPdEEv13rocblas_fill_17rocblas_diagonal_T1_iil.num_agpr, 0
	.set _ZN9rocsolver6v33100L18trti2_kernel_smallILi13EdPdEEv13rocblas_fill_17rocblas_diagonal_T1_iil.numbered_sgpr, 44
	.set _ZN9rocsolver6v33100L18trti2_kernel_smallILi13EdPdEEv13rocblas_fill_17rocblas_diagonal_T1_iil.num_named_barrier, 0
	.set _ZN9rocsolver6v33100L18trti2_kernel_smallILi13EdPdEEv13rocblas_fill_17rocblas_diagonal_T1_iil.private_seg_size, 0
	.set _ZN9rocsolver6v33100L18trti2_kernel_smallILi13EdPdEEv13rocblas_fill_17rocblas_diagonal_T1_iil.uses_vcc, 1
	.set _ZN9rocsolver6v33100L18trti2_kernel_smallILi13EdPdEEv13rocblas_fill_17rocblas_diagonal_T1_iil.uses_flat_scratch, 0
	.set _ZN9rocsolver6v33100L18trti2_kernel_smallILi13EdPdEEv13rocblas_fill_17rocblas_diagonal_T1_iil.has_dyn_sized_stack, 0
	.set _ZN9rocsolver6v33100L18trti2_kernel_smallILi13EdPdEEv13rocblas_fill_17rocblas_diagonal_T1_iil.has_recursion, 0
	.set _ZN9rocsolver6v33100L18trti2_kernel_smallILi13EdPdEEv13rocblas_fill_17rocblas_diagonal_T1_iil.has_indirect_call, 0
	.section	.AMDGPU.csdata,"",@progbits
; Kernel info:
; codeLenInByte = 24080
; TotalNumSgprs: 48
; NumVgprs: 108
; ScratchSize: 0
; MemoryBound: 0
; FloatMode: 240
; IeeeMode: 1
; LDSByteSize: 216 bytes/workgroup (compile time only)
; SGPRBlocks: 5
; VGPRBlocks: 26
; NumSGPRsForWavesPerEU: 48
; NumVGPRsForWavesPerEU: 108
; Occupancy: 2
; WaveLimiterHint : 0
; COMPUTE_PGM_RSRC2:SCRATCH_EN: 0
; COMPUTE_PGM_RSRC2:USER_SGPR: 6
; COMPUTE_PGM_RSRC2:TRAP_HANDLER: 0
; COMPUTE_PGM_RSRC2:TGID_X_EN: 1
; COMPUTE_PGM_RSRC2:TGID_Y_EN: 0
; COMPUTE_PGM_RSRC2:TGID_Z_EN: 0
; COMPUTE_PGM_RSRC2:TIDIG_COMP_CNT: 0
	.section	.text._ZN9rocsolver6v33100L18trti2_kernel_smallILi14EdPdEEv13rocblas_fill_17rocblas_diagonal_T1_iil,"axG",@progbits,_ZN9rocsolver6v33100L18trti2_kernel_smallILi14EdPdEEv13rocblas_fill_17rocblas_diagonal_T1_iil,comdat
	.globl	_ZN9rocsolver6v33100L18trti2_kernel_smallILi14EdPdEEv13rocblas_fill_17rocblas_diagonal_T1_iil ; -- Begin function _ZN9rocsolver6v33100L18trti2_kernel_smallILi14EdPdEEv13rocblas_fill_17rocblas_diagonal_T1_iil
	.p2align	8
	.type	_ZN9rocsolver6v33100L18trti2_kernel_smallILi14EdPdEEv13rocblas_fill_17rocblas_diagonal_T1_iil,@function
_ZN9rocsolver6v33100L18trti2_kernel_smallILi14EdPdEEv13rocblas_fill_17rocblas_diagonal_T1_iil: ; @_ZN9rocsolver6v33100L18trti2_kernel_smallILi14EdPdEEv13rocblas_fill_17rocblas_diagonal_T1_iil
; %bb.0:
	v_cmp_gt_u32_e32 vcc, 14, v0
	s_and_saveexec_b64 s[0:1], vcc
	s_cbranch_execz .LBB13_328
; %bb.1:
	s_load_dwordx8 s[36:43], s[4:5], 0x0
	s_ashr_i32 s2, s6, 31
	v_lshlrev_b32_e32 v32, 3, v0
	v_mov_b32_e32 v30, 0
	v_mov_b32_e32 v31, 0xbff00000
	s_waitcnt lgkmcnt(0)
	s_mul_hi_u32 s3, s42, s6
	s_mul_i32 s2, s42, s2
	s_add_i32 s2, s3, s2
	s_mul_i32 s3, s43, s6
	s_add_i32 s3, s2, s3
	s_mul_i32 s2, s42, s6
	s_ashr_i32 s1, s40, 31
	s_lshl_b64 s[2:3], s[2:3], 3
	s_mov_b32 s0, s40
	s_add_u32 s2, s38, s2
	s_addc_u32 s3, s39, s3
	s_lshl_b64 s[0:1], s[0:1], 3
	s_add_u32 s0, s2, s0
	s_addc_u32 s1, s3, s1
	s_add_i32 s2, s41, s41
	v_add_u32_e32 v1, s2, v0
	v_ashrrev_i32_e32 v2, 31, v1
	v_lshlrev_b64 v[2:3], 3, v[1:2]
	v_add_u32_e32 v1, s41, v1
	v_mov_b32_e32 v4, s1
	v_add_co_u32_e32 v62, vcc, s0, v2
	v_ashrrev_i32_e32 v2, 31, v1
	v_addc_co_u32_e32 v63, vcc, v4, v3, vcc
	v_lshlrev_b64 v[2:3], 3, v[1:2]
	v_add_u32_e32 v1, s41, v1
	v_add_co_u32_e32 v64, vcc, s0, v2
	v_ashrrev_i32_e32 v2, 31, v1
	v_addc_co_u32_e32 v65, vcc, v4, v3, vcc
	v_lshlrev_b64 v[2:3], 3, v[1:2]
	v_add_u32_e32 v1, s41, v1
	;; [unrolled: 5-line block ×10, first 2 shown]
	v_add_co_u32_e32 v82, vcc, s0, v2
	v_ashrrev_i32_e32 v2, 31, v1
	v_lshlrev_b64 v[1:2], 3, v[1:2]
	v_addc_co_u32_e32 v83, vcc, v4, v3, vcc
	v_mov_b32_e32 v3, s1
	v_add_co_u32_e32 v84, vcc, s0, v1
	v_addc_co_u32_e32 v85, vcc, v3, v2, vcc
	v_mov_b32_e32 v1, s1
	v_add_co_u32_e32 v86, vcc, s0, v32
	s_ashr_i32 s3, s41, 31
	s_mov_b32 s2, s41
	v_addc_co_u32_e32 v87, vcc, 0, v1, vcc
	s_lshl_b64 s[2:3], s[2:3], 3
	v_mov_b32_e32 v1, s3
	v_add_co_u32_e32 v88, vcc, s2, v86
	v_addc_co_u32_e32 v89, vcc, v87, v1, vcc
	global_load_dwordx2 v[4:5], v[88:89], off
	global_load_dwordx2 v[6:7], v[62:63], off
	;; [unrolled: 1-line block ×12, first 2 shown]
	global_load_dwordx2 v[2:3], v32, s[0:1]
	global_load_dwordx2 v[28:29], v[84:85], off
	s_cmpk_lg_i32 s37, 0x84
	s_cselect_b64 s[28:29], -1, 0
	s_cmpk_eq_i32 s37, 0x84
	v_mov_b32_e32 v1, 0
	s_cbranch_scc1 .LBB13_3
; %bb.2:
	v_cmp_eq_u32_e64 s[0:1], 1, v0
	s_waitcnt vmcnt(1)
	v_cndmask_b32_e64 v30, v3, v5, s[0:1]
	v_cmp_eq_u32_e64 s[2:3], 2, v0
	v_cndmask_b32_e64 v30, v30, v7, s[2:3]
	v_cmp_eq_u32_e64 s[4:5], 3, v0
	;; [unrolled: 2-line block ×12, first 2 shown]
	s_waitcnt vmcnt(0)
	v_cndmask_b32_e64 v31, v30, v29, s[24:25]
	v_cndmask_b32_e64 v30, v2, v4, s[0:1]
	;; [unrolled: 1-line block ×14, first 2 shown]
	v_div_scale_f64 v[33:34], s[26:27], v[30:31], v[30:31], 1.0
	v_rcp_f64_e32 v[35:36], v[33:34]
	v_fma_f64 v[37:38], -v[33:34], v[35:36], 1.0
	v_fma_f64 v[35:36], v[35:36], v[37:38], v[35:36]
	v_div_scale_f64 v[37:38], vcc, 1.0, v[30:31], 1.0
	v_fma_f64 v[39:40], -v[33:34], v[35:36], 1.0
	v_fma_f64 v[35:36], v[35:36], v[39:40], v[35:36]
	v_mul_f64 v[39:40], v[37:38], v[35:36]
	v_fma_f64 v[33:34], -v[33:34], v[39:40], v[37:38]
	v_div_fmas_f64 v[33:34], v[33:34], v[35:36], v[39:40]
	v_cmp_eq_u32_e32 vcc, 0, v0
	v_div_fixup_f64 v[30:31], v[33:34], v[30:31], 1.0
	v_cndmask_b32_e64 v29, v29, v31, s[24:25]
	v_cndmask_b32_e64 v28, v28, v30, s[24:25]
	;; [unrolled: 1-line block ×26, first 2 shown]
	v_cndmask_b32_e32 v3, v3, v31, vcc
	v_cndmask_b32_e32 v2, v2, v30, vcc
	v_xor_b32_e32 v31, 0x80000000, v31
.LBB13_3:
	s_cmpk_eq_i32 s36, 0x79
	v_add_u32_e32 v92, 0x70, v32
	ds_write_b64 v32, v[30:31]
	s_cbranch_scc1 .LBB13_7
; %bb.4:
	s_waitcnt vmcnt(0)
	v_mov_b32_e32 v61, v33
	v_mov_b32_e32 v60, v32
	;; [unrolled: 1-line block ×32, first 2 shown]
	v_cmp_eq_u32_e64 s[0:1], 13, v0
	ds_write_b64 v92, v[26:27]
	s_waitcnt lgkmcnt(0)
	; wave barrier
	s_and_saveexec_b64 s[26:27], s[0:1]
	s_cbranch_execz .LBB13_11
; %bb.5:
	s_and_b64 vcc, exec, s[28:29]
	s_cbranch_vccz .LBB13_8
; %bb.6:
	v_cmp_eq_u32_e32 vcc, 1, v0
	v_cndmask_b32_e32 v30, v3, v5, vcc
	v_cmp_eq_u32_e64 s[2:3], 2, v0
	v_cndmask_b32_e64 v30, v30, v7, s[2:3]
	v_cmp_eq_u32_e64 s[4:5], 3, v0
	v_cndmask_b32_e64 v30, v30, v9, s[4:5]
	;; [unrolled: 2-line block ×12, first 2 shown]
	v_cndmask_b32_e32 v30, v2, v4, vcc
	v_cndmask_b32_e64 v30, v30, v6, s[2:3]
	v_cndmask_b32_e64 v30, v30, v8, s[4:5]
	;; [unrolled: 1-line block ×8, first 2 shown]
	ds_read_b64 v[32:33], v92
	v_cndmask_b32_e64 v30, v30, v22, s[18:19]
	v_cndmask_b32_e64 v30, v30, v24, s[20:21]
	;; [unrolled: 1-line block ×4, first 2 shown]
	s_waitcnt lgkmcnt(0)
	v_mul_f64 v[34:35], v[30:31], v[32:33]
	s_cbranch_execz .LBB13_9
	s_branch .LBB13_10
.LBB13_7:
                                        ; implicit-def: $vgpr30_vgpr31_vgpr32_vgpr33_vgpr34_vgpr35_vgpr36_vgpr37_vgpr38_vgpr39_vgpr40_vgpr41_vgpr42_vgpr43_vgpr44_vgpr45_vgpr46_vgpr47_vgpr48_vgpr49_vgpr50_vgpr51_vgpr52_vgpr53_vgpr54_vgpr55_vgpr56_vgpr57_vgpr58_vgpr59_vgpr60_vgpr61
	s_cbranch_execnz .LBB13_194
	s_branch .LBB13_327
.LBB13_8:
                                        ; implicit-def: $vgpr34_vgpr35
.LBB13_9:
	ds_read_b64 v[34:35], v92
.LBB13_10:
	v_mov_b32_e32 v30, 0
	ds_read_b64 v[36:37], v30 offset:96
	v_mov_b32_e32 v30, v2
	v_mov_b32_e32 v31, v3
	;; [unrolled: 1-line block ×4, first 2 shown]
	s_waitcnt lgkmcnt(0)
	v_mul_f64 v[54:55], v[34:35], v[36:37]
	v_mov_b32_e32 v34, v6
	v_mov_b32_e32 v35, v7
	;; [unrolled: 1-line block ×22, first 2 shown]
.LBB13_11:
	s_or_b64 exec, exec, s[26:27]
	v_cmp_lt_u32_e64 s[2:3], 11, v0
	ds_write_b64 v92, v[52:53]
	s_waitcnt lgkmcnt(0)
	; wave barrier
	s_and_saveexec_b64 s[30:31], s[2:3]
	s_cbranch_execz .LBB13_17
; %bb.12:
	s_andn2_b64 vcc, exec, s[28:29]
	s_cbranch_vccnz .LBB13_14
; %bb.13:
	v_cmp_eq_u32_e32 vcc, 1, v0
	v_cndmask_b32_e32 v58, v31, v33, vcc
	v_cmp_eq_u32_e64 s[4:5], 2, v0
	v_cndmask_b32_e64 v58, v58, v35, s[4:5]
	v_cmp_eq_u32_e64 s[6:7], 3, v0
	v_cndmask_b32_e64 v58, v58, v37, s[6:7]
	;; [unrolled: 2-line block ×10, first 2 shown]
	v_cndmask_b32_e32 v58, v30, v32, vcc
	v_cndmask_b32_e64 v58, v58, v34, s[4:5]
	v_cndmask_b32_e64 v58, v58, v36, s[6:7]
	;; [unrolled: 1-line block ×8, first 2 shown]
	ds_read_b64 v[58:59], v92
	v_cndmask_b32_e64 v60, v60, v50, s[20:21]
	v_cmp_eq_u32_e64 s[24:25], 12, v0
	v_cndmask_b32_e64 v52, v60, v52, s[22:23]
	v_cndmask_b32_e64 v53, v53, v55, s[24:25]
	v_cmp_eq_u32_e64 s[26:27], 13, v0
	v_cndmask_b32_e64 v52, v52, v54, s[24:25]
	v_cndmask_b32_e64 v53, v53, v57, s[26:27]
	;; [unrolled: 1-line block ×3, first 2 shown]
	s_waitcnt lgkmcnt(0)
	v_mul_f64 v[52:53], v[52:53], v[58:59]
	s_cbranch_execz .LBB13_15
	s_branch .LBB13_16
.LBB13_14:
                                        ; implicit-def: $vgpr52_vgpr53
.LBB13_15:
	ds_read_b64 v[52:53], v92
.LBB13_16:
	v_mov_b32_e32 v58, 0
	ds_read2_b64 v[58:61], v58 offset0:11 offset1:26
	s_waitcnt lgkmcnt(0)
	v_fma_f64 v[60:61], v[54:55], v[60:61], v[52:53]
	v_cndmask_b32_e64 v53, v53, v61, s[0:1]
	v_cndmask_b32_e64 v52, v52, v60, s[0:1]
	v_mul_f64 v[52:53], v[52:53], v[58:59]
.LBB13_17:
	s_or_b64 exec, exec, s[30:31]
	v_cmp_lt_u32_e64 s[0:1], 10, v0
	ds_write_b64 v92, v[50:51]
	s_waitcnt lgkmcnt(0)
	; wave barrier
	s_and_saveexec_b64 s[30:31], s[0:1]
	s_cbranch_execz .LBB13_33
; %bb.18:
	s_andn2_b64 vcc, exec, s[28:29]
	s_cbranch_vccnz .LBB13_20
; %bb.19:
	v_cmp_eq_u32_e32 vcc, 1, v0
	v_cndmask_b32_e32 v90, v31, v33, vcc
	v_cmp_eq_u32_e64 s[4:5], 2, v0
	v_cndmask_b32_e64 v90, v90, v35, s[4:5]
	v_cmp_eq_u32_e64 s[6:7], 3, v0
	v_cndmask_b32_e64 v90, v90, v37, s[6:7]
	;; [unrolled: 2-line block ×12, first 2 shown]
	v_cndmask_b32_e32 v90, v30, v32, vcc
	v_cndmask_b32_e64 v90, v90, v34, s[4:5]
	v_cndmask_b32_e64 v90, v90, v36, s[6:7]
	;; [unrolled: 1-line block ×8, first 2 shown]
	ds_read_b64 v[93:94], v92
	v_cndmask_b32_e64 v90, v90, v50, s[20:21]
	v_cndmask_b32_e64 v90, v90, v52, s[22:23]
	;; [unrolled: 1-line block ×4, first 2 shown]
	s_waitcnt lgkmcnt(0)
	v_mul_f64 v[90:91], v[90:91], v[93:94]
	s_cbranch_execz .LBB13_21
	s_branch .LBB13_22
.LBB13_20:
                                        ; implicit-def: $vgpr90_vgpr91
.LBB13_21:
	ds_read_b64 v[90:91], v92
.LBB13_22:
	s_and_saveexec_b64 s[4:5], s[2:3]
	s_cbranch_execz .LBB13_32
; %bb.23:
	v_add_u32_e32 v93, -12, v0
	v_add_u32_e32 v94, -11, v0
	v_cmp_lt_u32_e32 vcc, 6, v93
	v_mov_b32_e32 v93, 11
	s_and_saveexec_b64 s[2:3], vcc
	s_cbranch_execz .LBB13_27
; %bb.24:
	v_and_b32_e32 v93, -8, v94
	v_sub_u32_e32 v95, 0, v93
	s_mov_b64 s[6:7], 18
	s_movk_i32 s10, 0xc8
	s_mov_b64 s[8:9], 0
.LBB13_25:                              ; =>This Inner Loop Header: Depth=1
	s_lshl_b32 s11, s6, 1
	s_add_i32 s12, s11, -13
	v_mov_b32_e32 v93, s10
	s_add_i32 s13, s11, -14
	s_set_gpr_idx_on s12, gpr_idx(SRC0)
	v_mov_b32_e32 v101, v30
	s_set_gpr_idx_off
	s_set_gpr_idx_on s13, gpr_idx(SRC0)
	v_mov_b32_e32 v100, v30
	s_set_gpr_idx_off
	ds_read2_b64 v[96:99], v93 offset1:1
	s_add_i32 s12, s11, -11
	s_add_i32 s13, s11, -12
	;; [unrolled: 1-line block ×4, first 2 shown]
	s_waitcnt lgkmcnt(0)
	v_fma_f64 v[90:91], v[100:101], v[96:97], v[90:91]
	s_set_gpr_idx_on s12, gpr_idx(SRC0)
	v_mov_b32_e32 v97, v30
	s_set_gpr_idx_off
	s_set_gpr_idx_on s13, gpr_idx(SRC0)
	v_mov_b32_e32 v96, v30
	s_set_gpr_idx_off
	s_add_i32 s12, s11, -7
	s_add_i32 s13, s11, -8
	v_fma_f64 v[90:91], v[96:97], v[98:99], v[90:91]
	s_set_gpr_idx_on s14, gpr_idx(SRC0)
	v_mov_b32_e32 v101, v30
	s_set_gpr_idx_off
	s_set_gpr_idx_on s15, gpr_idx(SRC0)
	v_mov_b32_e32 v100, v30
	s_set_gpr_idx_off
	ds_read2_b64 v[96:99], v93 offset0:2 offset1:3
	s_add_i32 s14, s11, -5
	s_add_i32 s15, s11, -6
	s_waitcnt lgkmcnt(0)
	v_fma_f64 v[90:91], v[100:101], v[96:97], v[90:91]
	s_set_gpr_idx_on s12, gpr_idx(SRC0)
	v_mov_b32_e32 v97, v30
	s_set_gpr_idx_off
	s_set_gpr_idx_on s13, gpr_idx(SRC0)
	v_mov_b32_e32 v96, v30
	s_set_gpr_idx_off
	s_add_i32 s12, s11, -3
	s_add_i32 s13, s11, -4
	v_fma_f64 v[90:91], v[96:97], v[98:99], v[90:91]
	s_set_gpr_idx_on s14, gpr_idx(SRC0)
	v_mov_b32_e32 v101, v30
	s_set_gpr_idx_off
	s_set_gpr_idx_on s15, gpr_idx(SRC0)
	v_mov_b32_e32 v100, v30
	s_set_gpr_idx_off
	ds_read2_b64 v[96:99], v93 offset0:4 offset1:5
	s_add_i32 s14, s11, -1
	s_add_i32 s15, s11, -2
	s_add_u32 s6, s6, 8
	s_addc_u32 s7, s7, 0
	s_waitcnt lgkmcnt(0)
	v_fma_f64 v[90:91], v[100:101], v[96:97], v[90:91]
	s_set_gpr_idx_on s12, gpr_idx(SRC0)
	v_mov_b32_e32 v97, v30
	s_set_gpr_idx_off
	s_set_gpr_idx_on s13, gpr_idx(SRC0)
	v_mov_b32_e32 v96, v30
	s_set_gpr_idx_off
	s_add_i32 s10, s10, 64
	v_fma_f64 v[90:91], v[96:97], v[98:99], v[90:91]
	s_set_gpr_idx_on s14, gpr_idx(SRC0)
	v_mov_b32_e32 v101, v30
	s_set_gpr_idx_off
	s_set_gpr_idx_on s15, gpr_idx(SRC0)
	v_mov_b32_e32 v100, v30
	s_set_gpr_idx_off
	ds_read2_b64 v[96:99], v93 offset0:6 offset1:7
	v_add_u32_e32 v93, s6, v95
	v_cmp_eq_u32_e32 vcc, 18, v93
	s_waitcnt lgkmcnt(0)
	v_fma_f64 v[90:91], v[100:101], v[96:97], v[90:91]
	s_set_gpr_idx_on s11, gpr_idx(SRC0)
	v_mov_b32_e32 v97, v31
	v_mov_b32_e32 v96, v30
	s_set_gpr_idx_off
	s_add_i32 s11, s6, -7
	s_or_b64 s[8:9], vcc, s[8:9]
	v_mov_b32_e32 v93, s11
	v_fma_f64 v[90:91], v[96:97], v[98:99], v[90:91]
	s_andn2_b64 exec, exec, s[8:9]
	s_cbranch_execnz .LBB13_25
; %bb.26:
	s_or_b64 exec, exec, s[8:9]
.LBB13_27:
	s_or_b64 exec, exec, s[2:3]
	v_and_b32_e32 v58, 7, v94
	v_cmp_ne_u32_e32 vcc, 0, v58
	s_and_saveexec_b64 s[6:7], vcc
	s_cbranch_execz .LBB13_31
; %bb.28:
	v_mov_b32_e32 v59, 0x70
	v_lshl_add_u32 v59, v93, 3, v59
	v_mov_b32_e32 v60, 0
	s_mov_b64 s[8:9], 0
.LBB13_29:                              ; =>This Inner Loop Header: Depth=1
	v_cmp_eq_u32_e32 vcc, 1, v93
	v_cndmask_b32_e32 v61, v31, v33, vcc
	v_cmp_eq_u32_e64 s[2:3], 2, v93
	v_cndmask_b32_e64 v61, v61, v35, s[2:3]
	v_cndmask_b32_e32 v96, v30, v32, vcc
	v_cmp_eq_u32_e32 vcc, 3, v93
	v_cndmask_b32_e32 v61, v61, v37, vcc
	v_cndmask_b32_e64 v96, v96, v34, s[2:3]
	v_cmp_eq_u32_e64 s[2:3], 4, v93
	v_cndmask_b32_e64 v61, v61, v39, s[2:3]
	v_cndmask_b32_e32 v96, v96, v36, vcc
	v_cmp_eq_u32_e32 vcc, 5, v93
	v_cndmask_b32_e32 v61, v61, v41, vcc
	v_cndmask_b32_e64 v96, v96, v38, s[2:3]
	;; [unrolled: 6-line block ×4, first 2 shown]
	v_cmp_eq_u32_e64 s[2:3], 10, v93
	ds_read_b64 v[94:95], v59
	v_cndmask_b32_e64 v61, v61, v51, s[2:3]
	v_cndmask_b32_e32 v96, v96, v48, vcc
	v_cmp_eq_u32_e32 vcc, 11, v93
	v_cndmask_b32_e32 v61, v61, v53, vcc
	v_cndmask_b32_e64 v96, v96, v50, s[2:3]
	v_cmp_eq_u32_e64 s[2:3], 12, v93
	v_cndmask_b32_e64 v61, v61, v55, s[2:3]
	v_cndmask_b32_e32 v96, v96, v52, vcc
	v_cmp_eq_u32_e32 vcc, 13, v93
	v_cndmask_b32_e32 v97, v61, v57, vcc
	v_cndmask_b32_e64 v61, v96, v54, s[2:3]
	v_cndmask_b32_e32 v96, v61, v56, vcc
	s_waitcnt lgkmcnt(0)
	v_fma_f64 v[90:91], v[96:97], v[94:95], v[90:91]
	v_add_u32_e32 v58, -1, v58
	v_cmp_eq_u32_e32 vcc, 0, v58
	s_or_b64 s[8:9], vcc, s[8:9]
	v_add_co_u32_e32 v93, vcc, 1, v93
	v_add_u32_e32 v59, 8, v59
	v_addc_co_u32_e32 v60, vcc, 0, v60, vcc
	s_andn2_b64 exec, exec, s[8:9]
	s_cbranch_execnz .LBB13_29
; %bb.30:
	s_or_b64 exec, exec, s[8:9]
.LBB13_31:
	s_or_b64 exec, exec, s[6:7]
.LBB13_32:
	s_or_b64 exec, exec, s[4:5]
	v_mov_b32_e32 v50, 0
	ds_read_b64 v[50:51], v50 offset:80
	s_waitcnt lgkmcnt(0)
	v_mul_f64 v[50:51], v[90:91], v[50:51]
.LBB13_33:
	s_or_b64 exec, exec, s[30:31]
	v_cmp_lt_u32_e64 s[2:3], 9, v0
	ds_write_b64 v92, v[48:49]
	s_waitcnt lgkmcnt(0)
	; wave barrier
	s_and_saveexec_b64 s[30:31], s[2:3]
	s_cbranch_execz .LBB13_49
; %bb.34:
	s_andn2_b64 vcc, exec, s[28:29]
	s_cbranch_vccnz .LBB13_36
; %bb.35:
	v_cmp_eq_u32_e32 vcc, 1, v0
	v_cndmask_b32_e32 v90, v31, v33, vcc
	v_cmp_eq_u32_e64 s[4:5], 2, v0
	v_cndmask_b32_e64 v90, v90, v35, s[4:5]
	v_cmp_eq_u32_e64 s[6:7], 3, v0
	v_cndmask_b32_e64 v90, v90, v37, s[6:7]
	;; [unrolled: 2-line block ×12, first 2 shown]
	v_cndmask_b32_e32 v90, v30, v32, vcc
	v_cndmask_b32_e64 v90, v90, v34, s[4:5]
	v_cndmask_b32_e64 v90, v90, v36, s[6:7]
	v_cndmask_b32_e64 v90, v90, v38, s[8:9]
	v_cndmask_b32_e64 v90, v90, v40, s[10:11]
	v_cndmask_b32_e64 v90, v90, v42, s[12:13]
	v_cndmask_b32_e64 v90, v90, v44, s[14:15]
	v_cndmask_b32_e64 v90, v90, v46, s[16:17]
	v_cndmask_b32_e64 v90, v90, v48, s[18:19]
	ds_read_b64 v[93:94], v92
	v_cndmask_b32_e64 v90, v90, v50, s[20:21]
	v_cndmask_b32_e64 v90, v90, v52, s[22:23]
	;; [unrolled: 1-line block ×4, first 2 shown]
	s_waitcnt lgkmcnt(0)
	v_mul_f64 v[90:91], v[90:91], v[93:94]
	s_cbranch_execz .LBB13_37
	s_branch .LBB13_38
.LBB13_36:
                                        ; implicit-def: $vgpr90_vgpr91
.LBB13_37:
	ds_read_b64 v[90:91], v92
.LBB13_38:
	s_and_saveexec_b64 s[4:5], s[0:1]
	s_cbranch_execz .LBB13_48
; %bb.39:
	v_add_u32_e32 v93, -11, v0
	v_add_u32_e32 v94, -10, v0
	v_cmp_lt_u32_e32 vcc, 6, v93
	v_mov_b32_e32 v93, 10
	s_and_saveexec_b64 s[0:1], vcc
	s_cbranch_execz .LBB13_43
; %bb.40:
	v_and_b32_e32 v93, -8, v94
	v_sub_u32_e32 v95, 0, v93
	s_mov_b64 s[6:7], 17
	s_movk_i32 s10, 0xc0
	s_mov_b64 s[8:9], 0
.LBB13_41:                              ; =>This Inner Loop Header: Depth=1
	s_lshl_b32 s11, s6, 1
	s_add_i32 s12, s11, -13
	v_mov_b32_e32 v93, s10
	s_add_i32 s13, s11, -14
	s_set_gpr_idx_on s12, gpr_idx(SRC0)
	v_mov_b32_e32 v105, v30
	s_set_gpr_idx_off
	s_set_gpr_idx_on s13, gpr_idx(SRC0)
	v_mov_b32_e32 v104, v30
	s_set_gpr_idx_off
	ds_read_b128 v[96:99], v93
	ds_read_b128 v[100:103], v93 offset:16
	s_add_i32 s12, s11, -11
	s_add_i32 s13, s11, -12
	s_waitcnt lgkmcnt(1)
	v_fma_f64 v[90:91], v[104:105], v[96:97], v[90:91]
	ds_read_b128 v[104:107], v93 offset:32
	ds_read_b128 v[108:111], v93 offset:48
	s_set_gpr_idx_on s12, gpr_idx(SRC0)
	v_mov_b32_e32 v97, v30
	s_set_gpr_idx_off
	s_set_gpr_idx_on s13, gpr_idx(SRC0)
	v_mov_b32_e32 v96, v30
	s_set_gpr_idx_off
	s_add_i32 s12, s11, -9
	s_add_i32 s13, s11, -10
	v_fma_f64 v[90:91], v[96:97], v[98:99], v[90:91]
	s_set_gpr_idx_on s12, gpr_idx(SRC0)
	v_mov_b32_e32 v97, v30
	s_set_gpr_idx_off
	s_set_gpr_idx_on s13, gpr_idx(SRC0)
	v_mov_b32_e32 v96, v30
	s_set_gpr_idx_off
	s_add_i32 s12, s11, -7
	s_add_i32 s13, s11, -8
	s_waitcnt lgkmcnt(2)
	v_fma_f64 v[90:91], v[96:97], v[100:101], v[90:91]
	s_set_gpr_idx_on s12, gpr_idx(SRC0)
	v_mov_b32_e32 v97, v30
	s_set_gpr_idx_off
	s_set_gpr_idx_on s13, gpr_idx(SRC0)
	v_mov_b32_e32 v96, v30
	s_set_gpr_idx_off
	s_add_i32 s12, s11, -5
	s_add_i32 s13, s11, -6
	v_fma_f64 v[90:91], v[96:97], v[102:103], v[90:91]
	s_set_gpr_idx_on s12, gpr_idx(SRC0)
	v_mov_b32_e32 v97, v30
	s_set_gpr_idx_off
	s_set_gpr_idx_on s13, gpr_idx(SRC0)
	v_mov_b32_e32 v96, v30
	s_set_gpr_idx_off
	s_add_i32 s12, s11, -3
	s_add_i32 s13, s11, -4
	s_waitcnt lgkmcnt(1)
	v_fma_f64 v[90:91], v[96:97], v[104:105], v[90:91]
	s_set_gpr_idx_on s12, gpr_idx(SRC0)
	v_mov_b32_e32 v97, v30
	s_set_gpr_idx_off
	s_set_gpr_idx_on s13, gpr_idx(SRC0)
	v_mov_b32_e32 v96, v30
	s_set_gpr_idx_off
	s_add_i32 s12, s11, -1
	s_add_i32 s13, s11, -2
	s_add_u32 s6, s6, 8
	v_add_u32_e32 v93, s6, v95
	s_addc_u32 s7, s7, 0
	v_fma_f64 v[90:91], v[96:97], v[106:107], v[90:91]
	s_set_gpr_idx_on s12, gpr_idx(SRC0)
	v_mov_b32_e32 v97, v30
	s_set_gpr_idx_off
	s_set_gpr_idx_on s13, gpr_idx(SRC0)
	v_mov_b32_e32 v96, v30
	s_set_gpr_idx_off
	s_add_i32 s10, s10, 64
	v_cmp_eq_u32_e32 vcc, 17, v93
	s_waitcnt lgkmcnt(0)
	v_fma_f64 v[90:91], v[96:97], v[108:109], v[90:91]
	s_set_gpr_idx_on s11, gpr_idx(SRC0)
	v_mov_b32_e32 v97, v31
	v_mov_b32_e32 v96, v30
	s_set_gpr_idx_off
	s_add_i32 s11, s6, -7
	s_or_b64 s[8:9], vcc, s[8:9]
	v_mov_b32_e32 v93, s11
	v_fma_f64 v[90:91], v[96:97], v[110:111], v[90:91]
	s_andn2_b64 exec, exec, s[8:9]
	s_cbranch_execnz .LBB13_41
; %bb.42:
	s_or_b64 exec, exec, s[8:9]
.LBB13_43:
	s_or_b64 exec, exec, s[0:1]
	v_and_b32_e32 v58, 7, v94
	v_cmp_ne_u32_e32 vcc, 0, v58
	s_and_saveexec_b64 s[6:7], vcc
	s_cbranch_execz .LBB13_47
; %bb.44:
	v_mov_b32_e32 v59, 0x70
	v_lshl_add_u32 v59, v93, 3, v59
	v_mov_b32_e32 v60, 0
	s_mov_b64 s[8:9], 0
.LBB13_45:                              ; =>This Inner Loop Header: Depth=1
	v_cmp_eq_u32_e32 vcc, 1, v93
	v_cndmask_b32_e32 v61, v31, v33, vcc
	v_cmp_eq_u32_e64 s[0:1], 2, v93
	v_cndmask_b32_e64 v61, v61, v35, s[0:1]
	v_cndmask_b32_e32 v96, v30, v32, vcc
	v_cmp_eq_u32_e32 vcc, 3, v93
	v_cndmask_b32_e32 v61, v61, v37, vcc
	v_cndmask_b32_e64 v96, v96, v34, s[0:1]
	v_cmp_eq_u32_e64 s[0:1], 4, v93
	v_cndmask_b32_e64 v61, v61, v39, s[0:1]
	v_cndmask_b32_e32 v96, v96, v36, vcc
	v_cmp_eq_u32_e32 vcc, 5, v93
	v_cndmask_b32_e32 v61, v61, v41, vcc
	v_cndmask_b32_e64 v96, v96, v38, s[0:1]
	;; [unrolled: 6-line block ×4, first 2 shown]
	v_cmp_eq_u32_e64 s[0:1], 10, v93
	ds_read_b64 v[94:95], v59
	v_cndmask_b32_e64 v61, v61, v51, s[0:1]
	v_cndmask_b32_e32 v96, v96, v48, vcc
	v_cmp_eq_u32_e32 vcc, 11, v93
	v_cndmask_b32_e32 v61, v61, v53, vcc
	v_cndmask_b32_e64 v96, v96, v50, s[0:1]
	v_cmp_eq_u32_e64 s[0:1], 12, v93
	v_cndmask_b32_e64 v61, v61, v55, s[0:1]
	v_cndmask_b32_e32 v96, v96, v52, vcc
	v_cmp_eq_u32_e32 vcc, 13, v93
	v_cndmask_b32_e32 v97, v61, v57, vcc
	v_cndmask_b32_e64 v61, v96, v54, s[0:1]
	v_cndmask_b32_e32 v96, v61, v56, vcc
	s_waitcnt lgkmcnt(0)
	v_fma_f64 v[90:91], v[96:97], v[94:95], v[90:91]
	v_add_u32_e32 v58, -1, v58
	v_cmp_eq_u32_e32 vcc, 0, v58
	s_or_b64 s[8:9], vcc, s[8:9]
	v_add_co_u32_e32 v93, vcc, 1, v93
	v_add_u32_e32 v59, 8, v59
	v_addc_co_u32_e32 v60, vcc, 0, v60, vcc
	s_andn2_b64 exec, exec, s[8:9]
	s_cbranch_execnz .LBB13_45
; %bb.46:
	s_or_b64 exec, exec, s[8:9]
.LBB13_47:
	s_or_b64 exec, exec, s[6:7]
.LBB13_48:
	s_or_b64 exec, exec, s[4:5]
	v_mov_b32_e32 v48, 0
	ds_read_b64 v[48:49], v48 offset:72
	s_waitcnt lgkmcnt(0)
	v_mul_f64 v[48:49], v[90:91], v[48:49]
.LBB13_49:
	s_or_b64 exec, exec, s[30:31]
	v_cmp_lt_u32_e64 s[0:1], 8, v0
	ds_write_b64 v92, v[46:47]
	s_waitcnt lgkmcnt(0)
	; wave barrier
	s_and_saveexec_b64 s[30:31], s[0:1]
	s_cbranch_execz .LBB13_65
; %bb.50:
	s_andn2_b64 vcc, exec, s[28:29]
	s_cbranch_vccnz .LBB13_52
; %bb.51:
	v_cmp_eq_u32_e32 vcc, 1, v0
	v_cndmask_b32_e32 v90, v31, v33, vcc
	v_cmp_eq_u32_e64 s[4:5], 2, v0
	v_cndmask_b32_e64 v90, v90, v35, s[4:5]
	v_cmp_eq_u32_e64 s[6:7], 3, v0
	v_cndmask_b32_e64 v90, v90, v37, s[6:7]
	v_cmp_eq_u32_e64 s[8:9], 4, v0
	v_cndmask_b32_e64 v90, v90, v39, s[8:9]
	v_cmp_eq_u32_e64 s[10:11], 5, v0
	v_cndmask_b32_e64 v90, v90, v41, s[10:11]
	v_cmp_eq_u32_e64 s[12:13], 6, v0
	v_cndmask_b32_e64 v90, v90, v43, s[12:13]
	v_cmp_eq_u32_e64 s[14:15], 7, v0
	v_cndmask_b32_e64 v90, v90, v45, s[14:15]
	v_cmp_eq_u32_e64 s[16:17], 8, v0
	v_cndmask_b32_e64 v90, v90, v47, s[16:17]
	v_cmp_eq_u32_e64 s[18:19], 9, v0
	v_cndmask_b32_e64 v90, v90, v49, s[18:19]
	v_cmp_eq_u32_e64 s[20:21], 10, v0
	v_cndmask_b32_e64 v90, v90, v51, s[20:21]
	v_cmp_eq_u32_e64 s[22:23], 11, v0
	v_cndmask_b32_e64 v90, v90, v53, s[22:23]
	v_cmp_eq_u32_e64 s[24:25], 12, v0
	v_cndmask_b32_e64 v90, v90, v55, s[24:25]
	v_cmp_eq_u32_e64 s[26:27], 13, v0
	v_cndmask_b32_e64 v91, v90, v57, s[26:27]
	v_cndmask_b32_e32 v90, v30, v32, vcc
	v_cndmask_b32_e64 v90, v90, v34, s[4:5]
	v_cndmask_b32_e64 v90, v90, v36, s[6:7]
	v_cndmask_b32_e64 v90, v90, v38, s[8:9]
	v_cndmask_b32_e64 v90, v90, v40, s[10:11]
	v_cndmask_b32_e64 v90, v90, v42, s[12:13]
	v_cndmask_b32_e64 v90, v90, v44, s[14:15]
	v_cndmask_b32_e64 v90, v90, v46, s[16:17]
	v_cndmask_b32_e64 v90, v90, v48, s[18:19]
	ds_read_b64 v[93:94], v92
	v_cndmask_b32_e64 v90, v90, v50, s[20:21]
	v_cndmask_b32_e64 v90, v90, v52, s[22:23]
	;; [unrolled: 1-line block ×4, first 2 shown]
	s_waitcnt lgkmcnt(0)
	v_mul_f64 v[90:91], v[90:91], v[93:94]
	s_cbranch_execz .LBB13_53
	s_branch .LBB13_54
.LBB13_52:
                                        ; implicit-def: $vgpr90_vgpr91
.LBB13_53:
	ds_read_b64 v[90:91], v92
.LBB13_54:
	s_and_saveexec_b64 s[4:5], s[2:3]
	s_cbranch_execz .LBB13_64
; %bb.55:
	v_add_u32_e32 v93, -10, v0
	v_add_u32_e32 v94, -9, v0
	v_cmp_lt_u32_e32 vcc, 6, v93
	v_mov_b32_e32 v93, 9
	s_and_saveexec_b64 s[2:3], vcc
	s_cbranch_execz .LBB13_59
; %bb.56:
	v_and_b32_e32 v93, -8, v94
	v_sub_u32_e32 v95, 0, v93
	s_mov_b64 s[6:7], 16
	s_movk_i32 s10, 0xb8
	s_mov_b64 s[8:9], 0
.LBB13_57:                              ; =>This Inner Loop Header: Depth=1
	s_lshl_b32 s11, s6, 1
	s_add_i32 s12, s11, -13
	v_mov_b32_e32 v93, s10
	s_add_i32 s13, s11, -14
	s_set_gpr_idx_on s12, gpr_idx(SRC0)
	v_mov_b32_e32 v101, v30
	s_set_gpr_idx_off
	s_set_gpr_idx_on s13, gpr_idx(SRC0)
	v_mov_b32_e32 v100, v30
	s_set_gpr_idx_off
	ds_read2_b64 v[96:99], v93 offset1:1
	s_add_i32 s12, s11, -11
	s_add_i32 s13, s11, -12
	;; [unrolled: 1-line block ×4, first 2 shown]
	s_waitcnt lgkmcnt(0)
	v_fma_f64 v[90:91], v[100:101], v[96:97], v[90:91]
	s_set_gpr_idx_on s12, gpr_idx(SRC0)
	v_mov_b32_e32 v97, v30
	s_set_gpr_idx_off
	s_set_gpr_idx_on s13, gpr_idx(SRC0)
	v_mov_b32_e32 v96, v30
	s_set_gpr_idx_off
	s_add_i32 s12, s11, -7
	s_add_i32 s13, s11, -8
	v_fma_f64 v[90:91], v[96:97], v[98:99], v[90:91]
	s_set_gpr_idx_on s14, gpr_idx(SRC0)
	v_mov_b32_e32 v101, v30
	s_set_gpr_idx_off
	s_set_gpr_idx_on s15, gpr_idx(SRC0)
	v_mov_b32_e32 v100, v30
	s_set_gpr_idx_off
	ds_read2_b64 v[96:99], v93 offset0:2 offset1:3
	s_add_i32 s14, s11, -5
	s_add_i32 s15, s11, -6
	s_waitcnt lgkmcnt(0)
	v_fma_f64 v[90:91], v[100:101], v[96:97], v[90:91]
	s_set_gpr_idx_on s12, gpr_idx(SRC0)
	v_mov_b32_e32 v97, v30
	s_set_gpr_idx_off
	s_set_gpr_idx_on s13, gpr_idx(SRC0)
	v_mov_b32_e32 v96, v30
	s_set_gpr_idx_off
	s_add_i32 s12, s11, -3
	s_add_i32 s13, s11, -4
	v_fma_f64 v[90:91], v[96:97], v[98:99], v[90:91]
	s_set_gpr_idx_on s14, gpr_idx(SRC0)
	v_mov_b32_e32 v101, v30
	s_set_gpr_idx_off
	s_set_gpr_idx_on s15, gpr_idx(SRC0)
	v_mov_b32_e32 v100, v30
	s_set_gpr_idx_off
	ds_read2_b64 v[96:99], v93 offset0:4 offset1:5
	s_add_i32 s14, s11, -1
	s_add_i32 s15, s11, -2
	s_add_u32 s6, s6, 8
	s_addc_u32 s7, s7, 0
	s_waitcnt lgkmcnt(0)
	v_fma_f64 v[90:91], v[100:101], v[96:97], v[90:91]
	s_set_gpr_idx_on s12, gpr_idx(SRC0)
	v_mov_b32_e32 v97, v30
	s_set_gpr_idx_off
	s_set_gpr_idx_on s13, gpr_idx(SRC0)
	v_mov_b32_e32 v96, v30
	s_set_gpr_idx_off
	s_add_i32 s10, s10, 64
	v_fma_f64 v[90:91], v[96:97], v[98:99], v[90:91]
	s_set_gpr_idx_on s14, gpr_idx(SRC0)
	v_mov_b32_e32 v101, v30
	s_set_gpr_idx_off
	s_set_gpr_idx_on s15, gpr_idx(SRC0)
	v_mov_b32_e32 v100, v30
	s_set_gpr_idx_off
	ds_read2_b64 v[96:99], v93 offset0:6 offset1:7
	v_add_u32_e32 v93, s6, v95
	v_cmp_eq_u32_e32 vcc, 16, v93
	s_waitcnt lgkmcnt(0)
	v_fma_f64 v[90:91], v[100:101], v[96:97], v[90:91]
	s_set_gpr_idx_on s11, gpr_idx(SRC0)
	v_mov_b32_e32 v97, v31
	v_mov_b32_e32 v96, v30
	s_set_gpr_idx_off
	s_add_i32 s11, s6, -7
	s_or_b64 s[8:9], vcc, s[8:9]
	v_mov_b32_e32 v93, s11
	v_fma_f64 v[90:91], v[96:97], v[98:99], v[90:91]
	s_andn2_b64 exec, exec, s[8:9]
	s_cbranch_execnz .LBB13_57
; %bb.58:
	s_or_b64 exec, exec, s[8:9]
.LBB13_59:
	s_or_b64 exec, exec, s[2:3]
	v_and_b32_e32 v58, 7, v94
	v_cmp_ne_u32_e32 vcc, 0, v58
	s_and_saveexec_b64 s[6:7], vcc
	s_cbranch_execz .LBB13_63
; %bb.60:
	v_mov_b32_e32 v59, 0x70
	v_lshl_add_u32 v59, v93, 3, v59
	v_mov_b32_e32 v60, 0
	s_mov_b64 s[8:9], 0
.LBB13_61:                              ; =>This Inner Loop Header: Depth=1
	v_cmp_eq_u32_e32 vcc, 1, v93
	v_cndmask_b32_e32 v61, v31, v33, vcc
	v_cmp_eq_u32_e64 s[2:3], 2, v93
	v_cndmask_b32_e64 v61, v61, v35, s[2:3]
	v_cndmask_b32_e32 v96, v30, v32, vcc
	v_cmp_eq_u32_e32 vcc, 3, v93
	v_cndmask_b32_e32 v61, v61, v37, vcc
	v_cndmask_b32_e64 v96, v96, v34, s[2:3]
	v_cmp_eq_u32_e64 s[2:3], 4, v93
	v_cndmask_b32_e64 v61, v61, v39, s[2:3]
	v_cndmask_b32_e32 v96, v96, v36, vcc
	v_cmp_eq_u32_e32 vcc, 5, v93
	v_cndmask_b32_e32 v61, v61, v41, vcc
	v_cndmask_b32_e64 v96, v96, v38, s[2:3]
	;; [unrolled: 6-line block ×4, first 2 shown]
	v_cmp_eq_u32_e64 s[2:3], 10, v93
	ds_read_b64 v[94:95], v59
	v_cndmask_b32_e64 v61, v61, v51, s[2:3]
	v_cndmask_b32_e32 v96, v96, v48, vcc
	v_cmp_eq_u32_e32 vcc, 11, v93
	v_cndmask_b32_e32 v61, v61, v53, vcc
	v_cndmask_b32_e64 v96, v96, v50, s[2:3]
	v_cmp_eq_u32_e64 s[2:3], 12, v93
	v_cndmask_b32_e64 v61, v61, v55, s[2:3]
	v_cndmask_b32_e32 v96, v96, v52, vcc
	v_cmp_eq_u32_e32 vcc, 13, v93
	v_cndmask_b32_e32 v97, v61, v57, vcc
	v_cndmask_b32_e64 v61, v96, v54, s[2:3]
	v_cndmask_b32_e32 v96, v61, v56, vcc
	s_waitcnt lgkmcnt(0)
	v_fma_f64 v[90:91], v[96:97], v[94:95], v[90:91]
	v_add_u32_e32 v58, -1, v58
	v_cmp_eq_u32_e32 vcc, 0, v58
	s_or_b64 s[8:9], vcc, s[8:9]
	v_add_co_u32_e32 v93, vcc, 1, v93
	v_add_u32_e32 v59, 8, v59
	v_addc_co_u32_e32 v60, vcc, 0, v60, vcc
	s_andn2_b64 exec, exec, s[8:9]
	s_cbranch_execnz .LBB13_61
; %bb.62:
	s_or_b64 exec, exec, s[8:9]
.LBB13_63:
	s_or_b64 exec, exec, s[6:7]
.LBB13_64:
	s_or_b64 exec, exec, s[4:5]
	v_mov_b32_e32 v46, 0
	ds_read_b64 v[46:47], v46 offset:64
	s_waitcnt lgkmcnt(0)
	v_mul_f64 v[46:47], v[90:91], v[46:47]
.LBB13_65:
	s_or_b64 exec, exec, s[30:31]
	v_cmp_lt_u32_e64 s[2:3], 7, v0
	ds_write_b64 v92, v[44:45]
	s_waitcnt lgkmcnt(0)
	; wave barrier
	s_and_saveexec_b64 s[30:31], s[2:3]
	s_cbranch_execz .LBB13_81
; %bb.66:
	s_andn2_b64 vcc, exec, s[28:29]
	s_cbranch_vccnz .LBB13_68
; %bb.67:
	v_cmp_eq_u32_e32 vcc, 1, v0
	v_cndmask_b32_e32 v90, v31, v33, vcc
	v_cmp_eq_u32_e64 s[4:5], 2, v0
	v_cndmask_b32_e64 v90, v90, v35, s[4:5]
	v_cmp_eq_u32_e64 s[6:7], 3, v0
	v_cndmask_b32_e64 v90, v90, v37, s[6:7]
	;; [unrolled: 2-line block ×12, first 2 shown]
	v_cndmask_b32_e32 v90, v30, v32, vcc
	v_cndmask_b32_e64 v90, v90, v34, s[4:5]
	v_cndmask_b32_e64 v90, v90, v36, s[6:7]
	;; [unrolled: 1-line block ×8, first 2 shown]
	ds_read_b64 v[93:94], v92
	v_cndmask_b32_e64 v90, v90, v50, s[20:21]
	v_cndmask_b32_e64 v90, v90, v52, s[22:23]
	;; [unrolled: 1-line block ×4, first 2 shown]
	s_waitcnt lgkmcnt(0)
	v_mul_f64 v[90:91], v[90:91], v[93:94]
	s_cbranch_execz .LBB13_69
	s_branch .LBB13_70
.LBB13_68:
                                        ; implicit-def: $vgpr90_vgpr91
.LBB13_69:
	ds_read_b64 v[90:91], v92
.LBB13_70:
	s_and_saveexec_b64 s[4:5], s[0:1]
	s_cbranch_execz .LBB13_80
; %bb.71:
	v_add_u32_e32 v93, -9, v0
	v_cmp_lt_u32_e32 vcc, 6, v93
	v_mov_b32_e32 v93, 8
	s_and_saveexec_b64 s[0:1], vcc
	s_cbranch_execz .LBB13_75
; %bb.72:
	v_and_b32_e32 v93, 8, v0
	v_sub_u32_e32 v94, 0, v93
	s_mov_b64 s[6:7], 15
	s_movk_i32 s10, 0xb0
	s_mov_b64 s[8:9], 0
.LBB13_73:                              ; =>This Inner Loop Header: Depth=1
	s_lshl_b32 s11, s6, 1
	s_add_i32 s12, s11, -13
	v_mov_b32_e32 v93, s10
	s_add_i32 s13, s11, -14
	s_set_gpr_idx_on s12, gpr_idx(SRC0)
	v_mov_b32_e32 v104, v30
	s_set_gpr_idx_off
	s_set_gpr_idx_on s13, gpr_idx(SRC0)
	v_mov_b32_e32 v103, v30
	s_set_gpr_idx_off
	ds_read_b128 v[95:98], v93
	ds_read_b128 v[99:102], v93 offset:16
	s_add_i32 s12, s11, -11
	s_add_i32 s13, s11, -12
	s_waitcnt lgkmcnt(1)
	v_fma_f64 v[90:91], v[103:104], v[95:96], v[90:91]
	ds_read_b128 v[103:106], v93 offset:32
	ds_read_b128 v[107:110], v93 offset:48
	s_set_gpr_idx_on s12, gpr_idx(SRC0)
	v_mov_b32_e32 v96, v30
	s_set_gpr_idx_off
	s_set_gpr_idx_on s13, gpr_idx(SRC0)
	v_mov_b32_e32 v95, v30
	s_set_gpr_idx_off
	s_add_i32 s12, s11, -9
	s_add_i32 s13, s11, -10
	v_fma_f64 v[90:91], v[95:96], v[97:98], v[90:91]
	s_set_gpr_idx_on s12, gpr_idx(SRC0)
	v_mov_b32_e32 v96, v30
	s_set_gpr_idx_off
	s_set_gpr_idx_on s13, gpr_idx(SRC0)
	v_mov_b32_e32 v95, v30
	s_set_gpr_idx_off
	s_add_i32 s12, s11, -7
	s_add_i32 s13, s11, -8
	s_waitcnt lgkmcnt(2)
	v_fma_f64 v[90:91], v[95:96], v[99:100], v[90:91]
	s_set_gpr_idx_on s12, gpr_idx(SRC0)
	v_mov_b32_e32 v96, v30
	s_set_gpr_idx_off
	s_set_gpr_idx_on s13, gpr_idx(SRC0)
	v_mov_b32_e32 v95, v30
	s_set_gpr_idx_off
	s_add_i32 s12, s11, -5
	s_add_i32 s13, s11, -6
	v_fma_f64 v[90:91], v[95:96], v[101:102], v[90:91]
	s_set_gpr_idx_on s12, gpr_idx(SRC0)
	v_mov_b32_e32 v96, v30
	s_set_gpr_idx_off
	s_set_gpr_idx_on s13, gpr_idx(SRC0)
	v_mov_b32_e32 v95, v30
	s_set_gpr_idx_off
	s_add_i32 s12, s11, -3
	s_add_i32 s13, s11, -4
	s_waitcnt lgkmcnt(1)
	v_fma_f64 v[90:91], v[95:96], v[103:104], v[90:91]
	s_set_gpr_idx_on s12, gpr_idx(SRC0)
	v_mov_b32_e32 v96, v30
	s_set_gpr_idx_off
	s_set_gpr_idx_on s13, gpr_idx(SRC0)
	v_mov_b32_e32 v95, v30
	s_set_gpr_idx_off
	s_add_i32 s12, s11, -1
	s_add_i32 s13, s11, -2
	s_add_u32 s6, s6, 8
	v_add_u32_e32 v93, s6, v94
	s_addc_u32 s7, s7, 0
	v_fma_f64 v[90:91], v[95:96], v[105:106], v[90:91]
	s_set_gpr_idx_on s12, gpr_idx(SRC0)
	v_mov_b32_e32 v96, v30
	s_set_gpr_idx_off
	s_set_gpr_idx_on s13, gpr_idx(SRC0)
	v_mov_b32_e32 v95, v30
	s_set_gpr_idx_off
	s_add_i32 s10, s10, 64
	v_cmp_eq_u32_e32 vcc, 7, v93
	s_waitcnt lgkmcnt(0)
	v_fma_f64 v[90:91], v[95:96], v[107:108], v[90:91]
	s_set_gpr_idx_on s11, gpr_idx(SRC0)
	v_mov_b32_e32 v96, v31
	v_mov_b32_e32 v95, v30
	s_set_gpr_idx_off
	s_add_i32 s11, s6, -7
	s_or_b64 s[8:9], vcc, s[8:9]
	v_mov_b32_e32 v93, s11
	v_fma_f64 v[90:91], v[95:96], v[109:110], v[90:91]
	s_andn2_b64 exec, exec, s[8:9]
	s_cbranch_execnz .LBB13_73
; %bb.74:
	s_or_b64 exec, exec, s[8:9]
.LBB13_75:
	s_or_b64 exec, exec, s[0:1]
	v_and_b32_e32 v58, 7, v0
	v_cmp_ne_u32_e32 vcc, 0, v58
	s_and_saveexec_b64 s[6:7], vcc
	s_cbranch_execz .LBB13_79
; %bb.76:
	v_mov_b32_e32 v59, 0x70
	v_lshl_add_u32 v59, v93, 3, v59
	v_mov_b32_e32 v60, 0
	s_mov_b64 s[8:9], 0
.LBB13_77:                              ; =>This Inner Loop Header: Depth=1
	v_cmp_eq_u32_e32 vcc, 1, v93
	v_cndmask_b32_e32 v61, v31, v33, vcc
	v_cmp_eq_u32_e64 s[0:1], 2, v93
	v_cndmask_b32_e64 v61, v61, v35, s[0:1]
	v_cndmask_b32_e32 v96, v30, v32, vcc
	v_cmp_eq_u32_e32 vcc, 3, v93
	v_cndmask_b32_e32 v61, v61, v37, vcc
	v_cndmask_b32_e64 v96, v96, v34, s[0:1]
	v_cmp_eq_u32_e64 s[0:1], 4, v93
	v_cndmask_b32_e64 v61, v61, v39, s[0:1]
	v_cndmask_b32_e32 v96, v96, v36, vcc
	v_cmp_eq_u32_e32 vcc, 5, v93
	v_cndmask_b32_e32 v61, v61, v41, vcc
	v_cndmask_b32_e64 v96, v96, v38, s[0:1]
	;; [unrolled: 6-line block ×4, first 2 shown]
	v_cmp_eq_u32_e64 s[0:1], 10, v93
	ds_read_b64 v[94:95], v59
	v_cndmask_b32_e64 v61, v61, v51, s[0:1]
	v_cndmask_b32_e32 v96, v96, v48, vcc
	v_cmp_eq_u32_e32 vcc, 11, v93
	v_cndmask_b32_e32 v61, v61, v53, vcc
	v_cndmask_b32_e64 v96, v96, v50, s[0:1]
	v_cmp_eq_u32_e64 s[0:1], 12, v93
	v_cndmask_b32_e64 v61, v61, v55, s[0:1]
	v_cndmask_b32_e32 v96, v96, v52, vcc
	v_cmp_eq_u32_e32 vcc, 13, v93
	v_cndmask_b32_e32 v97, v61, v57, vcc
	v_cndmask_b32_e64 v61, v96, v54, s[0:1]
	v_cndmask_b32_e32 v96, v61, v56, vcc
	s_waitcnt lgkmcnt(0)
	v_fma_f64 v[90:91], v[96:97], v[94:95], v[90:91]
	v_add_u32_e32 v58, -1, v58
	v_cmp_eq_u32_e32 vcc, 0, v58
	s_or_b64 s[8:9], vcc, s[8:9]
	v_add_co_u32_e32 v93, vcc, 1, v93
	v_add_u32_e32 v59, 8, v59
	v_addc_co_u32_e32 v60, vcc, 0, v60, vcc
	s_andn2_b64 exec, exec, s[8:9]
	s_cbranch_execnz .LBB13_77
; %bb.78:
	s_or_b64 exec, exec, s[8:9]
.LBB13_79:
	s_or_b64 exec, exec, s[6:7]
.LBB13_80:
	s_or_b64 exec, exec, s[4:5]
	v_mov_b32_e32 v44, 0
	ds_read_b64 v[44:45], v44 offset:56
	s_waitcnt lgkmcnt(0)
	v_mul_f64 v[44:45], v[90:91], v[44:45]
.LBB13_81:
	s_or_b64 exec, exec, s[30:31]
	v_cmp_lt_u32_e64 s[0:1], 6, v0
	ds_write_b64 v92, v[42:43]
	s_waitcnt lgkmcnt(0)
	; wave barrier
	s_and_saveexec_b64 s[30:31], s[0:1]
	s_cbranch_execz .LBB13_97
; %bb.82:
	s_andn2_b64 vcc, exec, s[28:29]
	s_cbranch_vccnz .LBB13_84
; %bb.83:
	v_cmp_eq_u32_e32 vcc, 1, v0
	v_cndmask_b32_e32 v90, v31, v33, vcc
	v_cmp_eq_u32_e64 s[4:5], 2, v0
	v_cndmask_b32_e64 v90, v90, v35, s[4:5]
	v_cmp_eq_u32_e64 s[6:7], 3, v0
	v_cndmask_b32_e64 v90, v90, v37, s[6:7]
	;; [unrolled: 2-line block ×12, first 2 shown]
	v_cndmask_b32_e32 v90, v30, v32, vcc
	v_cndmask_b32_e64 v90, v90, v34, s[4:5]
	v_cndmask_b32_e64 v90, v90, v36, s[6:7]
	;; [unrolled: 1-line block ×8, first 2 shown]
	ds_read_b64 v[93:94], v92
	v_cndmask_b32_e64 v90, v90, v50, s[20:21]
	v_cndmask_b32_e64 v90, v90, v52, s[22:23]
	;; [unrolled: 1-line block ×4, first 2 shown]
	s_waitcnt lgkmcnt(0)
	v_mul_f64 v[90:91], v[90:91], v[93:94]
	s_cbranch_execz .LBB13_85
	s_branch .LBB13_86
.LBB13_84:
                                        ; implicit-def: $vgpr90_vgpr91
.LBB13_85:
	ds_read_b64 v[90:91], v92
.LBB13_86:
	s_and_saveexec_b64 s[4:5], s[2:3]
	s_cbranch_execz .LBB13_96
; %bb.87:
	v_add_u32_e32 v93, -8, v0
	v_add_u32_e32 v94, -7, v0
	v_cmp_lt_u32_e32 vcc, 6, v93
	v_mov_b32_e32 v93, 7
	s_and_saveexec_b64 s[2:3], vcc
	s_cbranch_execz .LBB13_91
; %bb.88:
	v_and_b32_e32 v93, -8, v94
	v_sub_u32_e32 v95, 0, v93
	s_mov_b64 s[6:7], 14
	s_movk_i32 s10, 0xa8
	s_mov_b64 s[8:9], 0
.LBB13_89:                              ; =>This Inner Loop Header: Depth=1
	s_lshl_b32 s11, s6, 1
	s_add_i32 s12, s11, -13
	v_mov_b32_e32 v93, s10
	s_add_i32 s13, s11, -14
	s_set_gpr_idx_on s12, gpr_idx(SRC0)
	v_mov_b32_e32 v101, v30
	s_set_gpr_idx_off
	s_set_gpr_idx_on s13, gpr_idx(SRC0)
	v_mov_b32_e32 v100, v30
	s_set_gpr_idx_off
	ds_read2_b64 v[96:99], v93 offset1:1
	s_add_i32 s12, s11, -11
	s_add_i32 s13, s11, -12
	;; [unrolled: 1-line block ×4, first 2 shown]
	s_waitcnt lgkmcnt(0)
	v_fma_f64 v[90:91], v[100:101], v[96:97], v[90:91]
	s_set_gpr_idx_on s12, gpr_idx(SRC0)
	v_mov_b32_e32 v97, v30
	s_set_gpr_idx_off
	s_set_gpr_idx_on s13, gpr_idx(SRC0)
	v_mov_b32_e32 v96, v30
	s_set_gpr_idx_off
	s_add_i32 s12, s11, -7
	s_add_i32 s13, s11, -8
	v_fma_f64 v[90:91], v[96:97], v[98:99], v[90:91]
	s_set_gpr_idx_on s14, gpr_idx(SRC0)
	v_mov_b32_e32 v101, v30
	s_set_gpr_idx_off
	s_set_gpr_idx_on s15, gpr_idx(SRC0)
	v_mov_b32_e32 v100, v30
	s_set_gpr_idx_off
	ds_read2_b64 v[96:99], v93 offset0:2 offset1:3
	s_add_i32 s14, s11, -5
	s_add_i32 s15, s11, -6
	s_waitcnt lgkmcnt(0)
	v_fma_f64 v[90:91], v[100:101], v[96:97], v[90:91]
	s_set_gpr_idx_on s12, gpr_idx(SRC0)
	v_mov_b32_e32 v97, v30
	s_set_gpr_idx_off
	s_set_gpr_idx_on s13, gpr_idx(SRC0)
	v_mov_b32_e32 v96, v30
	s_set_gpr_idx_off
	s_add_i32 s12, s11, -3
	s_add_i32 s13, s11, -4
	v_fma_f64 v[90:91], v[96:97], v[98:99], v[90:91]
	s_set_gpr_idx_on s14, gpr_idx(SRC0)
	v_mov_b32_e32 v101, v30
	s_set_gpr_idx_off
	s_set_gpr_idx_on s15, gpr_idx(SRC0)
	v_mov_b32_e32 v100, v30
	s_set_gpr_idx_off
	ds_read2_b64 v[96:99], v93 offset0:4 offset1:5
	s_add_i32 s14, s11, -1
	s_add_i32 s15, s11, -2
	s_add_u32 s6, s6, 8
	s_addc_u32 s7, s7, 0
	s_waitcnt lgkmcnt(0)
	v_fma_f64 v[90:91], v[100:101], v[96:97], v[90:91]
	s_set_gpr_idx_on s12, gpr_idx(SRC0)
	v_mov_b32_e32 v97, v30
	s_set_gpr_idx_off
	s_set_gpr_idx_on s13, gpr_idx(SRC0)
	v_mov_b32_e32 v96, v30
	s_set_gpr_idx_off
	s_add_i32 s10, s10, 64
	v_fma_f64 v[90:91], v[96:97], v[98:99], v[90:91]
	s_set_gpr_idx_on s14, gpr_idx(SRC0)
	v_mov_b32_e32 v101, v30
	s_set_gpr_idx_off
	s_set_gpr_idx_on s15, gpr_idx(SRC0)
	v_mov_b32_e32 v100, v30
	s_set_gpr_idx_off
	ds_read2_b64 v[96:99], v93 offset0:6 offset1:7
	v_add_u32_e32 v93, s6, v95
	v_cmp_eq_u32_e32 vcc, 14, v93
	s_waitcnt lgkmcnt(0)
	v_fma_f64 v[90:91], v[100:101], v[96:97], v[90:91]
	s_set_gpr_idx_on s11, gpr_idx(SRC0)
	v_mov_b32_e32 v97, v31
	v_mov_b32_e32 v96, v30
	s_set_gpr_idx_off
	s_add_i32 s11, s6, -7
	s_or_b64 s[8:9], vcc, s[8:9]
	v_mov_b32_e32 v93, s11
	v_fma_f64 v[90:91], v[96:97], v[98:99], v[90:91]
	s_andn2_b64 exec, exec, s[8:9]
	s_cbranch_execnz .LBB13_89
; %bb.90:
	s_or_b64 exec, exec, s[8:9]
.LBB13_91:
	s_or_b64 exec, exec, s[2:3]
	v_and_b32_e32 v58, 7, v94
	v_cmp_ne_u32_e32 vcc, 0, v58
	s_and_saveexec_b64 s[6:7], vcc
	s_cbranch_execz .LBB13_95
; %bb.92:
	v_mov_b32_e32 v59, 0x70
	v_lshl_add_u32 v59, v93, 3, v59
	v_mov_b32_e32 v60, 0
	s_mov_b64 s[8:9], 0
.LBB13_93:                              ; =>This Inner Loop Header: Depth=1
	v_cmp_eq_u32_e32 vcc, 1, v93
	v_cndmask_b32_e32 v61, v31, v33, vcc
	v_cmp_eq_u32_e64 s[2:3], 2, v93
	v_cndmask_b32_e64 v61, v61, v35, s[2:3]
	v_cndmask_b32_e32 v96, v30, v32, vcc
	v_cmp_eq_u32_e32 vcc, 3, v93
	v_cndmask_b32_e32 v61, v61, v37, vcc
	v_cndmask_b32_e64 v96, v96, v34, s[2:3]
	v_cmp_eq_u32_e64 s[2:3], 4, v93
	v_cndmask_b32_e64 v61, v61, v39, s[2:3]
	v_cndmask_b32_e32 v96, v96, v36, vcc
	v_cmp_eq_u32_e32 vcc, 5, v93
	v_cndmask_b32_e32 v61, v61, v41, vcc
	v_cndmask_b32_e64 v96, v96, v38, s[2:3]
	;; [unrolled: 6-line block ×4, first 2 shown]
	v_cmp_eq_u32_e64 s[2:3], 10, v93
	ds_read_b64 v[94:95], v59
	v_cndmask_b32_e64 v61, v61, v51, s[2:3]
	v_cndmask_b32_e32 v96, v96, v48, vcc
	v_cmp_eq_u32_e32 vcc, 11, v93
	v_cndmask_b32_e32 v61, v61, v53, vcc
	v_cndmask_b32_e64 v96, v96, v50, s[2:3]
	v_cmp_eq_u32_e64 s[2:3], 12, v93
	v_cndmask_b32_e64 v61, v61, v55, s[2:3]
	v_cndmask_b32_e32 v96, v96, v52, vcc
	v_cmp_eq_u32_e32 vcc, 13, v93
	v_cndmask_b32_e32 v97, v61, v57, vcc
	v_cndmask_b32_e64 v61, v96, v54, s[2:3]
	v_cndmask_b32_e32 v96, v61, v56, vcc
	s_waitcnt lgkmcnt(0)
	v_fma_f64 v[90:91], v[96:97], v[94:95], v[90:91]
	v_add_u32_e32 v58, -1, v58
	v_cmp_eq_u32_e32 vcc, 0, v58
	s_or_b64 s[8:9], vcc, s[8:9]
	v_add_co_u32_e32 v93, vcc, 1, v93
	v_add_u32_e32 v59, 8, v59
	v_addc_co_u32_e32 v60, vcc, 0, v60, vcc
	s_andn2_b64 exec, exec, s[8:9]
	s_cbranch_execnz .LBB13_93
; %bb.94:
	s_or_b64 exec, exec, s[8:9]
.LBB13_95:
	s_or_b64 exec, exec, s[6:7]
.LBB13_96:
	s_or_b64 exec, exec, s[4:5]
	v_mov_b32_e32 v42, 0
	ds_read_b64 v[42:43], v42 offset:48
	s_waitcnt lgkmcnt(0)
	v_mul_f64 v[42:43], v[90:91], v[42:43]
.LBB13_97:
	s_or_b64 exec, exec, s[30:31]
	v_cmp_lt_u32_e64 s[2:3], 5, v0
	ds_write_b64 v92, v[40:41]
	s_waitcnt lgkmcnt(0)
	; wave barrier
	s_and_saveexec_b64 s[30:31], s[2:3]
	s_cbranch_execz .LBB13_113
; %bb.98:
	s_andn2_b64 vcc, exec, s[28:29]
	s_cbranch_vccnz .LBB13_100
; %bb.99:
	v_cmp_eq_u32_e32 vcc, 1, v0
	v_cndmask_b32_e32 v90, v31, v33, vcc
	v_cmp_eq_u32_e64 s[4:5], 2, v0
	v_cndmask_b32_e64 v90, v90, v35, s[4:5]
	v_cmp_eq_u32_e64 s[6:7], 3, v0
	v_cndmask_b32_e64 v90, v90, v37, s[6:7]
	;; [unrolled: 2-line block ×12, first 2 shown]
	v_cndmask_b32_e32 v90, v30, v32, vcc
	v_cndmask_b32_e64 v90, v90, v34, s[4:5]
	v_cndmask_b32_e64 v90, v90, v36, s[6:7]
	;; [unrolled: 1-line block ×8, first 2 shown]
	ds_read_b64 v[93:94], v92
	v_cndmask_b32_e64 v90, v90, v50, s[20:21]
	v_cndmask_b32_e64 v90, v90, v52, s[22:23]
	;; [unrolled: 1-line block ×4, first 2 shown]
	s_waitcnt lgkmcnt(0)
	v_mul_f64 v[90:91], v[90:91], v[93:94]
	s_cbranch_execz .LBB13_101
	s_branch .LBB13_102
.LBB13_100:
                                        ; implicit-def: $vgpr90_vgpr91
.LBB13_101:
	ds_read_b64 v[90:91], v92
.LBB13_102:
	s_and_saveexec_b64 s[4:5], s[0:1]
	s_cbranch_execz .LBB13_112
; %bb.103:
	v_add_u32_e32 v95, -7, v0
	v_add_u32_e32 v94, -6, v0
	v_mov_b32_e32 v93, 6
	v_cmp_lt_u32_e32 vcc, 6, v95
	s_and_saveexec_b64 s[0:1], vcc
	s_cbranch_execz .LBB13_107
; %bb.104:
	v_and_b32_e32 v93, -8, v94
	v_sub_u32_e32 v95, 0, v93
	s_mov_b64 s[6:7], 13
	s_movk_i32 s10, 0xa0
	s_mov_b64 s[8:9], 0
.LBB13_105:                             ; =>This Inner Loop Header: Depth=1
	s_lshl_b32 s11, s6, 1
	s_add_i32 s12, s11, -13
	v_mov_b32_e32 v93, s10
	s_add_i32 s13, s11, -14
	s_set_gpr_idx_on s12, gpr_idx(SRC0)
	v_mov_b32_e32 v105, v30
	s_set_gpr_idx_off
	s_set_gpr_idx_on s13, gpr_idx(SRC0)
	v_mov_b32_e32 v104, v30
	s_set_gpr_idx_off
	ds_read_b128 v[96:99], v93
	ds_read_b128 v[100:103], v93 offset:16
	s_add_i32 s12, s11, -11
	s_add_i32 s13, s11, -12
	s_waitcnt lgkmcnt(1)
	v_fma_f64 v[90:91], v[104:105], v[96:97], v[90:91]
	ds_read_b128 v[104:107], v93 offset:32
	ds_read_b128 v[108:111], v93 offset:48
	s_set_gpr_idx_on s12, gpr_idx(SRC0)
	v_mov_b32_e32 v97, v30
	s_set_gpr_idx_off
	s_set_gpr_idx_on s13, gpr_idx(SRC0)
	v_mov_b32_e32 v96, v30
	s_set_gpr_idx_off
	s_add_i32 s12, s11, -9
	s_add_i32 s13, s11, -10
	v_fma_f64 v[90:91], v[96:97], v[98:99], v[90:91]
	s_set_gpr_idx_on s12, gpr_idx(SRC0)
	v_mov_b32_e32 v97, v30
	s_set_gpr_idx_off
	s_set_gpr_idx_on s13, gpr_idx(SRC0)
	v_mov_b32_e32 v96, v30
	s_set_gpr_idx_off
	s_add_i32 s12, s11, -7
	s_add_i32 s13, s11, -8
	s_waitcnt lgkmcnt(2)
	v_fma_f64 v[90:91], v[96:97], v[100:101], v[90:91]
	s_set_gpr_idx_on s12, gpr_idx(SRC0)
	v_mov_b32_e32 v97, v30
	s_set_gpr_idx_off
	s_set_gpr_idx_on s13, gpr_idx(SRC0)
	v_mov_b32_e32 v96, v30
	s_set_gpr_idx_off
	s_add_i32 s12, s11, -5
	s_add_i32 s13, s11, -6
	v_fma_f64 v[90:91], v[96:97], v[102:103], v[90:91]
	s_set_gpr_idx_on s12, gpr_idx(SRC0)
	v_mov_b32_e32 v97, v30
	s_set_gpr_idx_off
	s_set_gpr_idx_on s13, gpr_idx(SRC0)
	v_mov_b32_e32 v96, v30
	s_set_gpr_idx_off
	s_add_i32 s12, s11, -3
	s_add_i32 s13, s11, -4
	s_waitcnt lgkmcnt(1)
	v_fma_f64 v[90:91], v[96:97], v[104:105], v[90:91]
	s_set_gpr_idx_on s12, gpr_idx(SRC0)
	v_mov_b32_e32 v97, v30
	s_set_gpr_idx_off
	s_set_gpr_idx_on s13, gpr_idx(SRC0)
	v_mov_b32_e32 v96, v30
	s_set_gpr_idx_off
	s_add_i32 s12, s11, -1
	s_add_i32 s13, s11, -2
	s_add_u32 s6, s6, 8
	v_add_u32_e32 v93, s6, v95
	s_addc_u32 s7, s7, 0
	v_fma_f64 v[90:91], v[96:97], v[106:107], v[90:91]
	s_set_gpr_idx_on s12, gpr_idx(SRC0)
	v_mov_b32_e32 v97, v30
	s_set_gpr_idx_off
	s_set_gpr_idx_on s13, gpr_idx(SRC0)
	v_mov_b32_e32 v96, v30
	s_set_gpr_idx_off
	s_add_i32 s10, s10, 64
	v_cmp_eq_u32_e32 vcc, 13, v93
	s_waitcnt lgkmcnt(0)
	v_fma_f64 v[90:91], v[96:97], v[108:109], v[90:91]
	s_set_gpr_idx_on s11, gpr_idx(SRC0)
	v_mov_b32_e32 v97, v31
	v_mov_b32_e32 v96, v30
	s_set_gpr_idx_off
	s_add_i32 s11, s6, -7
	s_or_b64 s[8:9], vcc, s[8:9]
	v_mov_b32_e32 v93, s11
	v_fma_f64 v[90:91], v[96:97], v[110:111], v[90:91]
	s_andn2_b64 exec, exec, s[8:9]
	s_cbranch_execnz .LBB13_105
; %bb.106:
	s_or_b64 exec, exec, s[8:9]
.LBB13_107:
	s_or_b64 exec, exec, s[0:1]
	v_and_b32_e32 v58, 7, v94
	v_cmp_ne_u32_e32 vcc, 0, v58
	s_and_saveexec_b64 s[6:7], vcc
	s_cbranch_execz .LBB13_111
; %bb.108:
	v_mov_b32_e32 v59, 0x70
	v_lshl_add_u32 v59, v93, 3, v59
	v_mov_b32_e32 v60, 0
	s_mov_b64 s[8:9], 0
.LBB13_109:                             ; =>This Inner Loop Header: Depth=1
	v_cmp_eq_u32_e32 vcc, 1, v93
	v_cndmask_b32_e32 v61, v31, v33, vcc
	v_cmp_eq_u32_e64 s[0:1], 2, v93
	v_cndmask_b32_e64 v61, v61, v35, s[0:1]
	v_cndmask_b32_e32 v96, v30, v32, vcc
	v_cmp_eq_u32_e32 vcc, 3, v93
	v_cndmask_b32_e32 v61, v61, v37, vcc
	v_cndmask_b32_e64 v96, v96, v34, s[0:1]
	v_cmp_eq_u32_e64 s[0:1], 4, v93
	v_cndmask_b32_e64 v61, v61, v39, s[0:1]
	v_cndmask_b32_e32 v96, v96, v36, vcc
	v_cmp_eq_u32_e32 vcc, 5, v93
	v_cndmask_b32_e32 v61, v61, v41, vcc
	v_cndmask_b32_e64 v96, v96, v38, s[0:1]
	;; [unrolled: 6-line block ×4, first 2 shown]
	v_cmp_eq_u32_e64 s[0:1], 10, v93
	ds_read_b64 v[94:95], v59
	v_cndmask_b32_e64 v61, v61, v51, s[0:1]
	v_cndmask_b32_e32 v96, v96, v48, vcc
	v_cmp_eq_u32_e32 vcc, 11, v93
	v_cndmask_b32_e32 v61, v61, v53, vcc
	v_cndmask_b32_e64 v96, v96, v50, s[0:1]
	v_cmp_eq_u32_e64 s[0:1], 12, v93
	v_cndmask_b32_e64 v61, v61, v55, s[0:1]
	v_cndmask_b32_e32 v96, v96, v52, vcc
	v_cmp_eq_u32_e32 vcc, 13, v93
	v_cndmask_b32_e32 v97, v61, v57, vcc
	v_cndmask_b32_e64 v61, v96, v54, s[0:1]
	v_cndmask_b32_e32 v96, v61, v56, vcc
	s_waitcnt lgkmcnt(0)
	v_fma_f64 v[90:91], v[96:97], v[94:95], v[90:91]
	v_add_u32_e32 v58, -1, v58
	v_cmp_eq_u32_e32 vcc, 0, v58
	s_or_b64 s[8:9], vcc, s[8:9]
	v_add_co_u32_e32 v93, vcc, 1, v93
	v_add_u32_e32 v59, 8, v59
	v_addc_co_u32_e32 v60, vcc, 0, v60, vcc
	s_andn2_b64 exec, exec, s[8:9]
	s_cbranch_execnz .LBB13_109
; %bb.110:
	s_or_b64 exec, exec, s[8:9]
.LBB13_111:
	s_or_b64 exec, exec, s[6:7]
.LBB13_112:
	s_or_b64 exec, exec, s[4:5]
	v_mov_b32_e32 v40, 0
	ds_read_b64 v[40:41], v40 offset:40
	s_waitcnt lgkmcnt(0)
	v_mul_f64 v[40:41], v[90:91], v[40:41]
.LBB13_113:
	s_or_b64 exec, exec, s[30:31]
	v_cmp_lt_u32_e64 s[0:1], 4, v0
	ds_write_b64 v92, v[38:39]
	s_waitcnt lgkmcnt(0)
	; wave barrier
	s_and_saveexec_b64 s[30:31], s[0:1]
	s_cbranch_execz .LBB13_129
; %bb.114:
	s_andn2_b64 vcc, exec, s[28:29]
	s_cbranch_vccnz .LBB13_116
; %bb.115:
	v_cmp_eq_u32_e32 vcc, 1, v0
	v_cndmask_b32_e32 v90, v31, v33, vcc
	v_cmp_eq_u32_e64 s[4:5], 2, v0
	v_cndmask_b32_e64 v90, v90, v35, s[4:5]
	v_cmp_eq_u32_e64 s[6:7], 3, v0
	v_cndmask_b32_e64 v90, v90, v37, s[6:7]
	;; [unrolled: 2-line block ×12, first 2 shown]
	v_cndmask_b32_e32 v90, v30, v32, vcc
	v_cndmask_b32_e64 v90, v90, v34, s[4:5]
	v_cndmask_b32_e64 v90, v90, v36, s[6:7]
	;; [unrolled: 1-line block ×8, first 2 shown]
	ds_read_b64 v[93:94], v92
	v_cndmask_b32_e64 v90, v90, v50, s[20:21]
	v_cndmask_b32_e64 v90, v90, v52, s[22:23]
	;; [unrolled: 1-line block ×4, first 2 shown]
	s_waitcnt lgkmcnt(0)
	v_mul_f64 v[90:91], v[90:91], v[93:94]
	s_cbranch_execz .LBB13_117
	s_branch .LBB13_118
.LBB13_116:
                                        ; implicit-def: $vgpr90_vgpr91
.LBB13_117:
	ds_read_b64 v[90:91], v92
.LBB13_118:
	s_and_saveexec_b64 s[4:5], s[2:3]
	s_cbranch_execz .LBB13_128
; %bb.119:
	v_add_u32_e32 v93, -6, v0
	v_add_u32_e32 v94, -5, v0
	v_cmp_lt_u32_e32 vcc, 6, v93
	v_mov_b32_e32 v93, 5
	s_and_saveexec_b64 s[2:3], vcc
	s_cbranch_execz .LBB13_123
; %bb.120:
	v_and_b32_e32 v93, -8, v94
	v_sub_u32_e32 v95, 0, v93
	s_mov_b64 s[6:7], 12
	s_movk_i32 s10, 0x98
	s_mov_b64 s[8:9], 0
.LBB13_121:                             ; =>This Inner Loop Header: Depth=1
	s_lshl_b32 s11, s6, 1
	s_add_i32 s12, s11, -13
	v_mov_b32_e32 v93, s10
	s_add_i32 s13, s11, -14
	s_set_gpr_idx_on s12, gpr_idx(SRC0)
	v_mov_b32_e32 v101, v30
	s_set_gpr_idx_off
	s_set_gpr_idx_on s13, gpr_idx(SRC0)
	v_mov_b32_e32 v100, v30
	s_set_gpr_idx_off
	ds_read2_b64 v[96:99], v93 offset1:1
	s_add_i32 s12, s11, -11
	s_add_i32 s13, s11, -12
	;; [unrolled: 1-line block ×4, first 2 shown]
	s_waitcnt lgkmcnt(0)
	v_fma_f64 v[90:91], v[100:101], v[96:97], v[90:91]
	s_set_gpr_idx_on s12, gpr_idx(SRC0)
	v_mov_b32_e32 v97, v30
	s_set_gpr_idx_off
	s_set_gpr_idx_on s13, gpr_idx(SRC0)
	v_mov_b32_e32 v96, v30
	s_set_gpr_idx_off
	s_add_i32 s12, s11, -7
	s_add_i32 s13, s11, -8
	v_fma_f64 v[90:91], v[96:97], v[98:99], v[90:91]
	s_set_gpr_idx_on s14, gpr_idx(SRC0)
	v_mov_b32_e32 v101, v30
	s_set_gpr_idx_off
	s_set_gpr_idx_on s15, gpr_idx(SRC0)
	v_mov_b32_e32 v100, v30
	s_set_gpr_idx_off
	ds_read2_b64 v[96:99], v93 offset0:2 offset1:3
	s_add_i32 s14, s11, -5
	s_add_i32 s15, s11, -6
	s_waitcnt lgkmcnt(0)
	v_fma_f64 v[90:91], v[100:101], v[96:97], v[90:91]
	s_set_gpr_idx_on s12, gpr_idx(SRC0)
	v_mov_b32_e32 v97, v30
	s_set_gpr_idx_off
	s_set_gpr_idx_on s13, gpr_idx(SRC0)
	v_mov_b32_e32 v96, v30
	s_set_gpr_idx_off
	s_add_i32 s12, s11, -3
	s_add_i32 s13, s11, -4
	v_fma_f64 v[90:91], v[96:97], v[98:99], v[90:91]
	s_set_gpr_idx_on s14, gpr_idx(SRC0)
	v_mov_b32_e32 v101, v30
	s_set_gpr_idx_off
	s_set_gpr_idx_on s15, gpr_idx(SRC0)
	v_mov_b32_e32 v100, v30
	s_set_gpr_idx_off
	ds_read2_b64 v[96:99], v93 offset0:4 offset1:5
	s_add_i32 s14, s11, -1
	s_add_i32 s15, s11, -2
	s_add_u32 s6, s6, 8
	s_addc_u32 s7, s7, 0
	s_waitcnt lgkmcnt(0)
	v_fma_f64 v[90:91], v[100:101], v[96:97], v[90:91]
	s_set_gpr_idx_on s12, gpr_idx(SRC0)
	v_mov_b32_e32 v97, v30
	s_set_gpr_idx_off
	s_set_gpr_idx_on s13, gpr_idx(SRC0)
	v_mov_b32_e32 v96, v30
	s_set_gpr_idx_off
	s_add_i32 s10, s10, 64
	v_fma_f64 v[90:91], v[96:97], v[98:99], v[90:91]
	s_set_gpr_idx_on s14, gpr_idx(SRC0)
	v_mov_b32_e32 v101, v30
	s_set_gpr_idx_off
	s_set_gpr_idx_on s15, gpr_idx(SRC0)
	v_mov_b32_e32 v100, v30
	s_set_gpr_idx_off
	ds_read2_b64 v[96:99], v93 offset0:6 offset1:7
	v_add_u32_e32 v93, s6, v95
	v_cmp_eq_u32_e32 vcc, 12, v93
	s_waitcnt lgkmcnt(0)
	v_fma_f64 v[90:91], v[100:101], v[96:97], v[90:91]
	s_set_gpr_idx_on s11, gpr_idx(SRC0)
	v_mov_b32_e32 v97, v31
	v_mov_b32_e32 v96, v30
	s_set_gpr_idx_off
	s_add_i32 s11, s6, -7
	s_or_b64 s[8:9], vcc, s[8:9]
	v_mov_b32_e32 v93, s11
	v_fma_f64 v[90:91], v[96:97], v[98:99], v[90:91]
	s_andn2_b64 exec, exec, s[8:9]
	s_cbranch_execnz .LBB13_121
; %bb.122:
	s_or_b64 exec, exec, s[8:9]
.LBB13_123:
	s_or_b64 exec, exec, s[2:3]
	v_and_b32_e32 v58, 7, v94
	v_cmp_ne_u32_e32 vcc, 0, v58
	s_and_saveexec_b64 s[6:7], vcc
	s_cbranch_execz .LBB13_127
; %bb.124:
	v_mov_b32_e32 v59, 0x70
	v_lshl_add_u32 v59, v93, 3, v59
	v_mov_b32_e32 v60, 0
	s_mov_b64 s[8:9], 0
.LBB13_125:                             ; =>This Inner Loop Header: Depth=1
	v_cmp_eq_u32_e32 vcc, 1, v93
	v_cndmask_b32_e32 v61, v31, v33, vcc
	v_cmp_eq_u32_e64 s[2:3], 2, v93
	v_cndmask_b32_e64 v61, v61, v35, s[2:3]
	v_cndmask_b32_e32 v96, v30, v32, vcc
	v_cmp_eq_u32_e32 vcc, 3, v93
	v_cndmask_b32_e32 v61, v61, v37, vcc
	v_cndmask_b32_e64 v96, v96, v34, s[2:3]
	v_cmp_eq_u32_e64 s[2:3], 4, v93
	v_cndmask_b32_e64 v61, v61, v39, s[2:3]
	v_cndmask_b32_e32 v96, v96, v36, vcc
	v_cmp_eq_u32_e32 vcc, 5, v93
	v_cndmask_b32_e32 v61, v61, v41, vcc
	v_cndmask_b32_e64 v96, v96, v38, s[2:3]
	;; [unrolled: 6-line block ×4, first 2 shown]
	v_cmp_eq_u32_e64 s[2:3], 10, v93
	ds_read_b64 v[94:95], v59
	v_cndmask_b32_e64 v61, v61, v51, s[2:3]
	v_cndmask_b32_e32 v96, v96, v48, vcc
	v_cmp_eq_u32_e32 vcc, 11, v93
	v_cndmask_b32_e32 v61, v61, v53, vcc
	v_cndmask_b32_e64 v96, v96, v50, s[2:3]
	v_cmp_eq_u32_e64 s[2:3], 12, v93
	v_cndmask_b32_e64 v61, v61, v55, s[2:3]
	v_cndmask_b32_e32 v96, v96, v52, vcc
	v_cmp_eq_u32_e32 vcc, 13, v93
	v_cndmask_b32_e32 v97, v61, v57, vcc
	v_cndmask_b32_e64 v61, v96, v54, s[2:3]
	v_cndmask_b32_e32 v96, v61, v56, vcc
	s_waitcnt lgkmcnt(0)
	v_fma_f64 v[90:91], v[96:97], v[94:95], v[90:91]
	v_add_u32_e32 v58, -1, v58
	v_cmp_eq_u32_e32 vcc, 0, v58
	s_or_b64 s[8:9], vcc, s[8:9]
	v_add_co_u32_e32 v93, vcc, 1, v93
	v_add_u32_e32 v59, 8, v59
	v_addc_co_u32_e32 v60, vcc, 0, v60, vcc
	s_andn2_b64 exec, exec, s[8:9]
	s_cbranch_execnz .LBB13_125
; %bb.126:
	s_or_b64 exec, exec, s[8:9]
.LBB13_127:
	s_or_b64 exec, exec, s[6:7]
.LBB13_128:
	s_or_b64 exec, exec, s[4:5]
	v_mov_b32_e32 v38, 0
	ds_read_b64 v[38:39], v38 offset:32
	s_waitcnt lgkmcnt(0)
	v_mul_f64 v[38:39], v[90:91], v[38:39]
.LBB13_129:
	s_or_b64 exec, exec, s[30:31]
	v_cmp_lt_u32_e64 s[2:3], 3, v0
	ds_write_b64 v92, v[36:37]
	s_waitcnt lgkmcnt(0)
	; wave barrier
	s_and_saveexec_b64 s[30:31], s[2:3]
	s_cbranch_execz .LBB13_145
; %bb.130:
	s_andn2_b64 vcc, exec, s[28:29]
	s_cbranch_vccnz .LBB13_132
; %bb.131:
	v_cmp_eq_u32_e32 vcc, 1, v0
	v_cndmask_b32_e32 v90, v31, v33, vcc
	v_cmp_eq_u32_e64 s[4:5], 2, v0
	v_cndmask_b32_e64 v90, v90, v35, s[4:5]
	v_cmp_eq_u32_e64 s[6:7], 3, v0
	v_cndmask_b32_e64 v90, v90, v37, s[6:7]
	;; [unrolled: 2-line block ×12, first 2 shown]
	v_cndmask_b32_e32 v90, v30, v32, vcc
	v_cndmask_b32_e64 v90, v90, v34, s[4:5]
	v_cndmask_b32_e64 v90, v90, v36, s[6:7]
	v_cndmask_b32_e64 v90, v90, v38, s[8:9]
	v_cndmask_b32_e64 v90, v90, v40, s[10:11]
	v_cndmask_b32_e64 v90, v90, v42, s[12:13]
	v_cndmask_b32_e64 v90, v90, v44, s[14:15]
	v_cndmask_b32_e64 v90, v90, v46, s[16:17]
	v_cndmask_b32_e64 v90, v90, v48, s[18:19]
	ds_read_b64 v[93:94], v92
	v_cndmask_b32_e64 v90, v90, v50, s[20:21]
	v_cndmask_b32_e64 v90, v90, v52, s[22:23]
	;; [unrolled: 1-line block ×4, first 2 shown]
	s_waitcnt lgkmcnt(0)
	v_mul_f64 v[90:91], v[90:91], v[93:94]
	s_cbranch_execz .LBB13_133
	s_branch .LBB13_134
.LBB13_132:
                                        ; implicit-def: $vgpr90_vgpr91
.LBB13_133:
	ds_read_b64 v[90:91], v92
.LBB13_134:
	s_and_saveexec_b64 s[4:5], s[0:1]
	s_cbranch_execz .LBB13_144
; %bb.135:
	v_add_u32_e32 v93, -5, v0
	v_add_u32_e32 v94, -4, v0
	v_cmp_lt_u32_e32 vcc, 6, v93
	v_mov_b32_e32 v93, 4
	s_and_saveexec_b64 s[0:1], vcc
	s_cbranch_execz .LBB13_139
; %bb.136:
	v_and_b32_e32 v93, -8, v94
	v_sub_u32_e32 v95, 0, v93
	s_mov_b64 s[6:7], 5
	s_movk_i32 s10, 0x90
	s_mov_b64 s[8:9], 0
.LBB13_137:                             ; =>This Inner Loop Header: Depth=1
	s_lshl_b32 s11, s6, 1
	s_add_i32 s12, s11, -1
	v_mov_b32_e32 v93, s10
	s_add_i32 s13, s11, -2
	s_set_gpr_idx_on s12, gpr_idx(SRC0)
	v_mov_b32_e32 v105, v30
	s_set_gpr_idx_off
	s_set_gpr_idx_on s13, gpr_idx(SRC0)
	v_mov_b32_e32 v104, v30
	s_set_gpr_idx_off
	ds_read_b128 v[96:99], v93
	ds_read_b128 v[100:103], v93 offset:16
	s_add_i32 s12, s11, 3
	s_add_i32 s13, s11, 2
	s_waitcnt lgkmcnt(1)
	v_fma_f64 v[90:91], v[104:105], v[96:97], v[90:91]
	ds_read_b128 v[104:107], v93 offset:32
	ds_read_b128 v[108:111], v93 offset:48
	s_set_gpr_idx_on s11, gpr_idx(SRC0)
	v_mov_b32_e32 v97, v31
	v_mov_b32_e32 v96, v30
	s_set_gpr_idx_off
	v_fma_f64 v[90:91], v[96:97], v[98:99], v[90:91]
	s_set_gpr_idx_on s12, gpr_idx(SRC0)
	v_mov_b32_e32 v97, v30
	s_set_gpr_idx_off
	s_set_gpr_idx_on s13, gpr_idx(SRC0)
	v_mov_b32_e32 v96, v30
	s_set_gpr_idx_off
	s_add_i32 s12, s11, 5
	s_add_i32 s13, s11, 4
	s_waitcnt lgkmcnt(2)
	v_fma_f64 v[90:91], v[96:97], v[100:101], v[90:91]
	s_set_gpr_idx_on s12, gpr_idx(SRC0)
	v_mov_b32_e32 v97, v30
	s_set_gpr_idx_off
	s_set_gpr_idx_on s13, gpr_idx(SRC0)
	v_mov_b32_e32 v96, v30
	s_set_gpr_idx_off
	s_add_i32 s12, s11, 7
	s_add_i32 s13, s11, 6
	v_fma_f64 v[90:91], v[96:97], v[102:103], v[90:91]
	s_set_gpr_idx_on s12, gpr_idx(SRC0)
	v_mov_b32_e32 v97, v30
	s_set_gpr_idx_off
	s_set_gpr_idx_on s13, gpr_idx(SRC0)
	v_mov_b32_e32 v96, v30
	s_set_gpr_idx_off
	s_add_i32 s12, s11, 9
	s_add_i32 s13, s11, 8
	s_waitcnt lgkmcnt(1)
	v_fma_f64 v[90:91], v[96:97], v[104:105], v[90:91]
	s_set_gpr_idx_on s12, gpr_idx(SRC0)
	v_mov_b32_e32 v97, v30
	s_set_gpr_idx_off
	s_set_gpr_idx_on s13, gpr_idx(SRC0)
	v_mov_b32_e32 v96, v30
	s_set_gpr_idx_off
	s_add_i32 s12, s11, 11
	s_add_i32 s13, s11, 10
	v_fma_f64 v[90:91], v[96:97], v[106:107], v[90:91]
	s_set_gpr_idx_on s12, gpr_idx(SRC0)
	v_mov_b32_e32 v97, v30
	s_set_gpr_idx_off
	s_set_gpr_idx_on s13, gpr_idx(SRC0)
	v_mov_b32_e32 v96, v30
	s_set_gpr_idx_off
	s_add_i32 s12, s11, 13
	s_add_i32 s11, s11, 12
	s_add_u32 s6, s6, 8
	v_add_u32_e32 v93, s6, v95
	s_addc_u32 s7, s7, 0
	s_waitcnt lgkmcnt(0)
	v_fma_f64 v[90:91], v[96:97], v[108:109], v[90:91]
	s_set_gpr_idx_on s12, gpr_idx(SRC0)
	v_mov_b32_e32 v97, v30
	s_set_gpr_idx_off
	s_set_gpr_idx_on s11, gpr_idx(SRC0)
	v_mov_b32_e32 v96, v30
	s_set_gpr_idx_off
	s_add_i32 s10, s10, 64
	s_add_i32 s11, s6, -1
	v_cmp_eq_u32_e32 vcc, 5, v93
	s_or_b64 s[8:9], vcc, s[8:9]
	v_mov_b32_e32 v93, s11
	v_fma_f64 v[90:91], v[96:97], v[110:111], v[90:91]
	s_andn2_b64 exec, exec, s[8:9]
	s_cbranch_execnz .LBB13_137
; %bb.138:
	s_or_b64 exec, exec, s[8:9]
.LBB13_139:
	s_or_b64 exec, exec, s[0:1]
	v_and_b32_e32 v58, 7, v94
	v_cmp_ne_u32_e32 vcc, 0, v58
	s_and_saveexec_b64 s[6:7], vcc
	s_cbranch_execz .LBB13_143
; %bb.140:
	v_mov_b32_e32 v59, 0x70
	v_lshl_add_u32 v59, v93, 3, v59
	v_mov_b32_e32 v60, 0
	s_mov_b64 s[8:9], 0
.LBB13_141:                             ; =>This Inner Loop Header: Depth=1
	v_cmp_eq_u32_e32 vcc, 1, v93
	v_cndmask_b32_e32 v61, v31, v33, vcc
	v_cmp_eq_u32_e64 s[0:1], 2, v93
	v_cndmask_b32_e64 v61, v61, v35, s[0:1]
	v_cndmask_b32_e32 v96, v30, v32, vcc
	v_cmp_eq_u32_e32 vcc, 3, v93
	v_cndmask_b32_e32 v61, v61, v37, vcc
	v_cndmask_b32_e64 v96, v96, v34, s[0:1]
	v_cmp_eq_u32_e64 s[0:1], 4, v93
	v_cndmask_b32_e64 v61, v61, v39, s[0:1]
	v_cndmask_b32_e32 v96, v96, v36, vcc
	v_cmp_eq_u32_e32 vcc, 5, v93
	v_cndmask_b32_e32 v61, v61, v41, vcc
	v_cndmask_b32_e64 v96, v96, v38, s[0:1]
	;; [unrolled: 6-line block ×4, first 2 shown]
	v_cmp_eq_u32_e64 s[0:1], 10, v93
	ds_read_b64 v[94:95], v59
	v_cndmask_b32_e64 v61, v61, v51, s[0:1]
	v_cndmask_b32_e32 v96, v96, v48, vcc
	v_cmp_eq_u32_e32 vcc, 11, v93
	v_cndmask_b32_e32 v61, v61, v53, vcc
	v_cndmask_b32_e64 v96, v96, v50, s[0:1]
	v_cmp_eq_u32_e64 s[0:1], 12, v93
	v_cndmask_b32_e64 v61, v61, v55, s[0:1]
	v_cndmask_b32_e32 v96, v96, v52, vcc
	v_cmp_eq_u32_e32 vcc, 13, v93
	v_cndmask_b32_e32 v97, v61, v57, vcc
	v_cndmask_b32_e64 v61, v96, v54, s[0:1]
	v_cndmask_b32_e32 v96, v61, v56, vcc
	s_waitcnt lgkmcnt(0)
	v_fma_f64 v[90:91], v[96:97], v[94:95], v[90:91]
	v_add_u32_e32 v58, -1, v58
	v_cmp_eq_u32_e32 vcc, 0, v58
	s_or_b64 s[8:9], vcc, s[8:9]
	v_add_co_u32_e32 v93, vcc, 1, v93
	v_add_u32_e32 v59, 8, v59
	v_addc_co_u32_e32 v60, vcc, 0, v60, vcc
	s_andn2_b64 exec, exec, s[8:9]
	s_cbranch_execnz .LBB13_141
; %bb.142:
	s_or_b64 exec, exec, s[8:9]
.LBB13_143:
	s_or_b64 exec, exec, s[6:7]
.LBB13_144:
	s_or_b64 exec, exec, s[4:5]
	v_mov_b32_e32 v36, 0
	ds_read_b64 v[36:37], v36 offset:24
	s_waitcnt lgkmcnt(0)
	v_mul_f64 v[36:37], v[90:91], v[36:37]
.LBB13_145:
	s_or_b64 exec, exec, s[30:31]
	v_cmp_lt_u32_e64 s[0:1], 2, v0
	ds_write_b64 v92, v[34:35]
	s_waitcnt lgkmcnt(0)
	; wave barrier
	s_and_saveexec_b64 s[30:31], s[0:1]
	s_cbranch_execz .LBB13_161
; %bb.146:
	s_andn2_b64 vcc, exec, s[28:29]
	s_cbranch_vccnz .LBB13_148
; %bb.147:
	v_cmp_eq_u32_e32 vcc, 1, v0
	v_cndmask_b32_e32 v90, v31, v33, vcc
	v_cmp_eq_u32_e64 s[4:5], 2, v0
	v_cndmask_b32_e64 v90, v90, v35, s[4:5]
	v_cmp_eq_u32_e64 s[6:7], 3, v0
	v_cndmask_b32_e64 v90, v90, v37, s[6:7]
	;; [unrolled: 2-line block ×12, first 2 shown]
	v_cndmask_b32_e32 v90, v30, v32, vcc
	v_cndmask_b32_e64 v90, v90, v34, s[4:5]
	v_cndmask_b32_e64 v90, v90, v36, s[6:7]
	;; [unrolled: 1-line block ×8, first 2 shown]
	ds_read_b64 v[93:94], v92
	v_cndmask_b32_e64 v90, v90, v50, s[20:21]
	v_cndmask_b32_e64 v90, v90, v52, s[22:23]
	;; [unrolled: 1-line block ×4, first 2 shown]
	s_waitcnt lgkmcnt(0)
	v_mul_f64 v[90:91], v[90:91], v[93:94]
	s_cbranch_execz .LBB13_149
	s_branch .LBB13_150
.LBB13_148:
                                        ; implicit-def: $vgpr90_vgpr91
.LBB13_149:
	ds_read_b64 v[90:91], v92
.LBB13_150:
	s_and_saveexec_b64 s[4:5], s[2:3]
	s_cbranch_execz .LBB13_160
; %bb.151:
	v_add_u32_e32 v93, -4, v0
	v_add_u32_e32 v94, -3, v0
	v_cmp_lt_u32_e32 vcc, 6, v93
	v_mov_b32_e32 v93, 3
	s_and_saveexec_b64 s[2:3], vcc
	s_cbranch_execz .LBB13_155
; %bb.152:
	v_and_b32_e32 v93, -8, v94
	v_sub_u32_e32 v95, 0, v93
	s_mov_b64 s[6:7], 10
	s_movk_i32 s10, 0x88
	s_mov_b64 s[8:9], 0
.LBB13_153:                             ; =>This Inner Loop Header: Depth=1
	s_lshl_b32 s11, s6, 1
	s_add_i32 s12, s11, -13
	v_mov_b32_e32 v93, s10
	s_add_i32 s13, s11, -14
	s_set_gpr_idx_on s12, gpr_idx(SRC0)
	v_mov_b32_e32 v101, v30
	s_set_gpr_idx_off
	s_set_gpr_idx_on s13, gpr_idx(SRC0)
	v_mov_b32_e32 v100, v30
	s_set_gpr_idx_off
	ds_read2_b64 v[96:99], v93 offset1:1
	s_add_i32 s12, s11, -11
	s_add_i32 s13, s11, -12
	;; [unrolled: 1-line block ×4, first 2 shown]
	s_waitcnt lgkmcnt(0)
	v_fma_f64 v[90:91], v[100:101], v[96:97], v[90:91]
	s_set_gpr_idx_on s12, gpr_idx(SRC0)
	v_mov_b32_e32 v97, v30
	s_set_gpr_idx_off
	s_set_gpr_idx_on s13, gpr_idx(SRC0)
	v_mov_b32_e32 v96, v30
	s_set_gpr_idx_off
	s_add_i32 s12, s11, -7
	s_add_i32 s13, s11, -8
	v_fma_f64 v[90:91], v[96:97], v[98:99], v[90:91]
	s_set_gpr_idx_on s14, gpr_idx(SRC0)
	v_mov_b32_e32 v101, v30
	s_set_gpr_idx_off
	s_set_gpr_idx_on s15, gpr_idx(SRC0)
	v_mov_b32_e32 v100, v30
	s_set_gpr_idx_off
	ds_read2_b64 v[96:99], v93 offset0:2 offset1:3
	s_add_i32 s14, s11, -5
	s_add_i32 s15, s11, -6
	s_waitcnt lgkmcnt(0)
	v_fma_f64 v[90:91], v[100:101], v[96:97], v[90:91]
	s_set_gpr_idx_on s12, gpr_idx(SRC0)
	v_mov_b32_e32 v97, v30
	s_set_gpr_idx_off
	s_set_gpr_idx_on s13, gpr_idx(SRC0)
	v_mov_b32_e32 v96, v30
	s_set_gpr_idx_off
	s_add_i32 s12, s11, -3
	s_add_i32 s13, s11, -4
	v_fma_f64 v[90:91], v[96:97], v[98:99], v[90:91]
	s_set_gpr_idx_on s14, gpr_idx(SRC0)
	v_mov_b32_e32 v101, v30
	s_set_gpr_idx_off
	s_set_gpr_idx_on s15, gpr_idx(SRC0)
	v_mov_b32_e32 v100, v30
	s_set_gpr_idx_off
	ds_read2_b64 v[96:99], v93 offset0:4 offset1:5
	s_add_i32 s14, s11, -1
	s_add_i32 s15, s11, -2
	s_add_u32 s6, s6, 8
	s_addc_u32 s7, s7, 0
	s_waitcnt lgkmcnt(0)
	v_fma_f64 v[90:91], v[100:101], v[96:97], v[90:91]
	s_set_gpr_idx_on s12, gpr_idx(SRC0)
	v_mov_b32_e32 v97, v30
	s_set_gpr_idx_off
	s_set_gpr_idx_on s13, gpr_idx(SRC0)
	v_mov_b32_e32 v96, v30
	s_set_gpr_idx_off
	s_add_i32 s10, s10, 64
	v_fma_f64 v[90:91], v[96:97], v[98:99], v[90:91]
	s_set_gpr_idx_on s14, gpr_idx(SRC0)
	v_mov_b32_e32 v101, v30
	s_set_gpr_idx_off
	s_set_gpr_idx_on s15, gpr_idx(SRC0)
	v_mov_b32_e32 v100, v30
	s_set_gpr_idx_off
	ds_read2_b64 v[96:99], v93 offset0:6 offset1:7
	v_add_u32_e32 v93, s6, v95
	v_cmp_eq_u32_e32 vcc, 10, v93
	s_waitcnt lgkmcnt(0)
	v_fma_f64 v[90:91], v[100:101], v[96:97], v[90:91]
	s_set_gpr_idx_on s11, gpr_idx(SRC0)
	v_mov_b32_e32 v97, v31
	v_mov_b32_e32 v96, v30
	s_set_gpr_idx_off
	s_add_i32 s11, s6, -7
	s_or_b64 s[8:9], vcc, s[8:9]
	v_mov_b32_e32 v93, s11
	v_fma_f64 v[90:91], v[96:97], v[98:99], v[90:91]
	s_andn2_b64 exec, exec, s[8:9]
	s_cbranch_execnz .LBB13_153
; %bb.154:
	s_or_b64 exec, exec, s[8:9]
.LBB13_155:
	s_or_b64 exec, exec, s[2:3]
	v_and_b32_e32 v58, 7, v94
	v_cmp_ne_u32_e32 vcc, 0, v58
	s_and_saveexec_b64 s[6:7], vcc
	s_cbranch_execz .LBB13_159
; %bb.156:
	v_mov_b32_e32 v59, 0x70
	v_lshl_add_u32 v59, v93, 3, v59
	v_mov_b32_e32 v60, 0
	s_mov_b64 s[8:9], 0
.LBB13_157:                             ; =>This Inner Loop Header: Depth=1
	v_cmp_eq_u32_e32 vcc, 1, v93
	v_cndmask_b32_e32 v61, v31, v33, vcc
	v_cmp_eq_u32_e64 s[2:3], 2, v93
	v_cndmask_b32_e64 v61, v61, v35, s[2:3]
	v_cndmask_b32_e32 v96, v30, v32, vcc
	v_cmp_eq_u32_e32 vcc, 3, v93
	v_cndmask_b32_e32 v61, v61, v37, vcc
	v_cndmask_b32_e64 v96, v96, v34, s[2:3]
	v_cmp_eq_u32_e64 s[2:3], 4, v93
	v_cndmask_b32_e64 v61, v61, v39, s[2:3]
	v_cndmask_b32_e32 v96, v96, v36, vcc
	v_cmp_eq_u32_e32 vcc, 5, v93
	v_cndmask_b32_e32 v61, v61, v41, vcc
	v_cndmask_b32_e64 v96, v96, v38, s[2:3]
	;; [unrolled: 6-line block ×4, first 2 shown]
	v_cmp_eq_u32_e64 s[2:3], 10, v93
	ds_read_b64 v[94:95], v59
	v_cndmask_b32_e64 v61, v61, v51, s[2:3]
	v_cndmask_b32_e32 v96, v96, v48, vcc
	v_cmp_eq_u32_e32 vcc, 11, v93
	v_cndmask_b32_e32 v61, v61, v53, vcc
	v_cndmask_b32_e64 v96, v96, v50, s[2:3]
	v_cmp_eq_u32_e64 s[2:3], 12, v93
	v_cndmask_b32_e64 v61, v61, v55, s[2:3]
	v_cndmask_b32_e32 v96, v96, v52, vcc
	v_cmp_eq_u32_e32 vcc, 13, v93
	v_cndmask_b32_e32 v97, v61, v57, vcc
	v_cndmask_b32_e64 v61, v96, v54, s[2:3]
	v_cndmask_b32_e32 v96, v61, v56, vcc
	s_waitcnt lgkmcnt(0)
	v_fma_f64 v[90:91], v[96:97], v[94:95], v[90:91]
	v_add_u32_e32 v58, -1, v58
	v_cmp_eq_u32_e32 vcc, 0, v58
	s_or_b64 s[8:9], vcc, s[8:9]
	v_add_co_u32_e32 v93, vcc, 1, v93
	v_add_u32_e32 v59, 8, v59
	v_addc_co_u32_e32 v60, vcc, 0, v60, vcc
	s_andn2_b64 exec, exec, s[8:9]
	s_cbranch_execnz .LBB13_157
; %bb.158:
	s_or_b64 exec, exec, s[8:9]
.LBB13_159:
	s_or_b64 exec, exec, s[6:7]
.LBB13_160:
	s_or_b64 exec, exec, s[4:5]
	v_mov_b32_e32 v34, 0
	ds_read_b64 v[34:35], v34 offset:16
	s_waitcnt lgkmcnt(0)
	v_mul_f64 v[34:35], v[90:91], v[34:35]
.LBB13_161:
	s_or_b64 exec, exec, s[30:31]
	v_cmp_lt_u32_e64 s[2:3], 1, v0
	ds_write_b64 v92, v[32:33]
	s_waitcnt lgkmcnt(0)
	; wave barrier
	s_and_saveexec_b64 s[30:31], s[2:3]
	s_cbranch_execz .LBB13_177
; %bb.162:
	s_andn2_b64 vcc, exec, s[28:29]
	s_cbranch_vccnz .LBB13_164
; %bb.163:
	v_cmp_eq_u32_e32 vcc, 1, v0
	v_cndmask_b32_e32 v90, v31, v33, vcc
	v_cmp_eq_u32_e64 s[4:5], 2, v0
	v_cndmask_b32_e64 v90, v90, v35, s[4:5]
	v_cmp_eq_u32_e64 s[6:7], 3, v0
	v_cndmask_b32_e64 v90, v90, v37, s[6:7]
	;; [unrolled: 2-line block ×12, first 2 shown]
	v_cndmask_b32_e32 v90, v30, v32, vcc
	v_cndmask_b32_e64 v90, v90, v34, s[4:5]
	v_cndmask_b32_e64 v90, v90, v36, s[6:7]
	;; [unrolled: 1-line block ×8, first 2 shown]
	ds_read_b64 v[93:94], v92
	v_cndmask_b32_e64 v90, v90, v50, s[20:21]
	v_cndmask_b32_e64 v90, v90, v52, s[22:23]
	;; [unrolled: 1-line block ×4, first 2 shown]
	s_waitcnt lgkmcnt(0)
	v_mul_f64 v[90:91], v[90:91], v[93:94]
	s_cbranch_execz .LBB13_165
	s_branch .LBB13_166
.LBB13_164:
                                        ; implicit-def: $vgpr90_vgpr91
.LBB13_165:
	ds_read_b64 v[90:91], v92
.LBB13_166:
	s_and_saveexec_b64 s[4:5], s[0:1]
	s_cbranch_execz .LBB13_176
; %bb.167:
	v_add_u32_e32 v93, -3, v0
	v_add_u32_e32 v94, -2, v0
	v_cmp_lt_u32_e32 vcc, 6, v93
	v_mov_b32_e32 v93, 2
	s_and_saveexec_b64 s[0:1], vcc
	s_cbranch_execz .LBB13_171
; %bb.168:
	v_and_b32_e32 v93, -8, v94
	v_sub_u32_e32 v95, 0, v93
	s_mov_b64 s[6:7], 9
	s_movk_i32 s10, 0x80
	s_mov_b64 s[8:9], 0
.LBB13_169:                             ; =>This Inner Loop Header: Depth=1
	s_lshl_b32 s11, s6, 1
	s_add_i32 s12, s11, -13
	v_mov_b32_e32 v93, s10
	s_add_i32 s13, s11, -14
	s_set_gpr_idx_on s12, gpr_idx(SRC0)
	v_mov_b32_e32 v105, v30
	s_set_gpr_idx_off
	s_set_gpr_idx_on s13, gpr_idx(SRC0)
	v_mov_b32_e32 v104, v30
	s_set_gpr_idx_off
	ds_read_b128 v[96:99], v93
	ds_read_b128 v[100:103], v93 offset:16
	s_add_i32 s12, s11, -11
	s_add_i32 s13, s11, -12
	s_waitcnt lgkmcnt(1)
	v_fma_f64 v[90:91], v[104:105], v[96:97], v[90:91]
	ds_read_b128 v[104:107], v93 offset:32
	ds_read_b128 v[108:111], v93 offset:48
	s_set_gpr_idx_on s12, gpr_idx(SRC0)
	v_mov_b32_e32 v97, v30
	s_set_gpr_idx_off
	s_set_gpr_idx_on s13, gpr_idx(SRC0)
	v_mov_b32_e32 v96, v30
	s_set_gpr_idx_off
	s_add_i32 s12, s11, -9
	s_add_i32 s13, s11, -10
	v_fma_f64 v[90:91], v[96:97], v[98:99], v[90:91]
	s_set_gpr_idx_on s12, gpr_idx(SRC0)
	v_mov_b32_e32 v97, v30
	s_set_gpr_idx_off
	s_set_gpr_idx_on s13, gpr_idx(SRC0)
	v_mov_b32_e32 v96, v30
	s_set_gpr_idx_off
	s_add_i32 s12, s11, -7
	s_add_i32 s13, s11, -8
	s_waitcnt lgkmcnt(2)
	v_fma_f64 v[90:91], v[96:97], v[100:101], v[90:91]
	s_set_gpr_idx_on s12, gpr_idx(SRC0)
	v_mov_b32_e32 v97, v30
	s_set_gpr_idx_off
	s_set_gpr_idx_on s13, gpr_idx(SRC0)
	v_mov_b32_e32 v96, v30
	s_set_gpr_idx_off
	s_add_i32 s12, s11, -5
	s_add_i32 s13, s11, -6
	v_fma_f64 v[90:91], v[96:97], v[102:103], v[90:91]
	s_set_gpr_idx_on s12, gpr_idx(SRC0)
	v_mov_b32_e32 v97, v30
	s_set_gpr_idx_off
	s_set_gpr_idx_on s13, gpr_idx(SRC0)
	v_mov_b32_e32 v96, v30
	s_set_gpr_idx_off
	s_add_i32 s12, s11, -3
	s_add_i32 s13, s11, -4
	s_waitcnt lgkmcnt(1)
	v_fma_f64 v[90:91], v[96:97], v[104:105], v[90:91]
	s_set_gpr_idx_on s12, gpr_idx(SRC0)
	v_mov_b32_e32 v97, v30
	s_set_gpr_idx_off
	s_set_gpr_idx_on s13, gpr_idx(SRC0)
	v_mov_b32_e32 v96, v30
	s_set_gpr_idx_off
	s_add_i32 s12, s11, -1
	s_add_i32 s13, s11, -2
	s_add_u32 s6, s6, 8
	v_add_u32_e32 v93, s6, v95
	s_addc_u32 s7, s7, 0
	v_fma_f64 v[90:91], v[96:97], v[106:107], v[90:91]
	s_set_gpr_idx_on s12, gpr_idx(SRC0)
	v_mov_b32_e32 v97, v30
	s_set_gpr_idx_off
	s_set_gpr_idx_on s13, gpr_idx(SRC0)
	v_mov_b32_e32 v96, v30
	s_set_gpr_idx_off
	s_add_i32 s10, s10, 64
	v_cmp_eq_u32_e32 vcc, 9, v93
	s_waitcnt lgkmcnt(0)
	v_fma_f64 v[90:91], v[96:97], v[108:109], v[90:91]
	s_set_gpr_idx_on s11, gpr_idx(SRC0)
	v_mov_b32_e32 v97, v31
	v_mov_b32_e32 v96, v30
	s_set_gpr_idx_off
	s_add_i32 s11, s6, -7
	s_or_b64 s[8:9], vcc, s[8:9]
	v_mov_b32_e32 v93, s11
	v_fma_f64 v[90:91], v[96:97], v[110:111], v[90:91]
	s_andn2_b64 exec, exec, s[8:9]
	s_cbranch_execnz .LBB13_169
; %bb.170:
	s_or_b64 exec, exec, s[8:9]
.LBB13_171:
	s_or_b64 exec, exec, s[0:1]
	v_and_b32_e32 v58, 7, v94
	v_cmp_ne_u32_e32 vcc, 0, v58
	s_and_saveexec_b64 s[6:7], vcc
	s_cbranch_execz .LBB13_175
; %bb.172:
	v_mov_b32_e32 v59, 0x70
	v_lshl_add_u32 v59, v93, 3, v59
	v_mov_b32_e32 v60, 0
	s_mov_b64 s[8:9], 0
.LBB13_173:                             ; =>This Inner Loop Header: Depth=1
	v_cmp_eq_u32_e32 vcc, 1, v93
	v_cndmask_b32_e32 v61, v31, v33, vcc
	v_cmp_eq_u32_e64 s[0:1], 2, v93
	v_cndmask_b32_e64 v61, v61, v35, s[0:1]
	v_cndmask_b32_e32 v96, v30, v32, vcc
	v_cmp_eq_u32_e32 vcc, 3, v93
	v_cndmask_b32_e32 v61, v61, v37, vcc
	v_cndmask_b32_e64 v96, v96, v34, s[0:1]
	v_cmp_eq_u32_e64 s[0:1], 4, v93
	v_cndmask_b32_e64 v61, v61, v39, s[0:1]
	v_cndmask_b32_e32 v96, v96, v36, vcc
	v_cmp_eq_u32_e32 vcc, 5, v93
	v_cndmask_b32_e32 v61, v61, v41, vcc
	v_cndmask_b32_e64 v96, v96, v38, s[0:1]
	;; [unrolled: 6-line block ×4, first 2 shown]
	v_cmp_eq_u32_e64 s[0:1], 10, v93
	ds_read_b64 v[94:95], v59
	v_cndmask_b32_e64 v61, v61, v51, s[0:1]
	v_cndmask_b32_e32 v96, v96, v48, vcc
	v_cmp_eq_u32_e32 vcc, 11, v93
	v_cndmask_b32_e32 v61, v61, v53, vcc
	v_cndmask_b32_e64 v96, v96, v50, s[0:1]
	v_cmp_eq_u32_e64 s[0:1], 12, v93
	v_cndmask_b32_e64 v61, v61, v55, s[0:1]
	v_cndmask_b32_e32 v96, v96, v52, vcc
	v_cmp_eq_u32_e32 vcc, 13, v93
	v_cndmask_b32_e32 v97, v61, v57, vcc
	v_cndmask_b32_e64 v61, v96, v54, s[0:1]
	v_cndmask_b32_e32 v96, v61, v56, vcc
	s_waitcnt lgkmcnt(0)
	v_fma_f64 v[90:91], v[96:97], v[94:95], v[90:91]
	v_add_u32_e32 v58, -1, v58
	v_cmp_eq_u32_e32 vcc, 0, v58
	s_or_b64 s[8:9], vcc, s[8:9]
	v_add_co_u32_e32 v93, vcc, 1, v93
	v_add_u32_e32 v59, 8, v59
	v_addc_co_u32_e32 v60, vcc, 0, v60, vcc
	s_andn2_b64 exec, exec, s[8:9]
	s_cbranch_execnz .LBB13_173
; %bb.174:
	s_or_b64 exec, exec, s[8:9]
.LBB13_175:
	s_or_b64 exec, exec, s[6:7]
.LBB13_176:
	s_or_b64 exec, exec, s[4:5]
	v_mov_b32_e32 v32, 0
	ds_read_b64 v[32:33], v32 offset:8
	s_waitcnt lgkmcnt(0)
	v_mul_f64 v[32:33], v[90:91], v[32:33]
.LBB13_177:
	s_or_b64 exec, exec, s[30:31]
	v_cmp_ne_u32_e32 vcc, 0, v0
	ds_write_b64 v92, v[30:31]
	s_waitcnt lgkmcnt(0)
	; wave barrier
	s_and_saveexec_b64 s[26:27], vcc
	s_cbranch_execz .LBB13_193
; %bb.178:
	s_andn2_b64 vcc, exec, s[28:29]
	s_cbranch_vccnz .LBB13_180
; %bb.179:
	v_cmp_eq_u32_e32 vcc, 1, v0
	v_cndmask_b32_e32 v90, v31, v33, vcc
	v_cmp_eq_u32_e64 s[0:1], 2, v0
	v_cndmask_b32_e64 v90, v90, v35, s[0:1]
	v_cmp_eq_u32_e64 s[4:5], 3, v0
	v_cndmask_b32_e64 v90, v90, v37, s[4:5]
	;; [unrolled: 2-line block ×12, first 2 shown]
	v_cndmask_b32_e32 v90, v30, v32, vcc
	v_cndmask_b32_e64 v90, v90, v34, s[0:1]
	v_cndmask_b32_e64 v90, v90, v36, s[4:5]
	;; [unrolled: 1-line block ×8, first 2 shown]
	ds_read_b64 v[93:94], v92
	v_cndmask_b32_e64 v90, v90, v50, s[18:19]
	v_cndmask_b32_e64 v90, v90, v52, s[20:21]
	;; [unrolled: 1-line block ×4, first 2 shown]
	s_waitcnt lgkmcnt(0)
	v_mul_f64 v[90:91], v[90:91], v[93:94]
	s_cbranch_execz .LBB13_181
	s_branch .LBB13_182
.LBB13_180:
                                        ; implicit-def: $vgpr90_vgpr91
.LBB13_181:
	ds_read_b64 v[90:91], v92
.LBB13_182:
	s_and_saveexec_b64 s[4:5], s[2:3]
	s_cbranch_execz .LBB13_192
; %bb.183:
	v_add_u32_e32 v93, -2, v0
	v_add_u32_e32 v94, -1, v0
	v_cmp_lt_u32_e32 vcc, 6, v93
	v_mov_b32_e32 v93, 1
	s_and_saveexec_b64 s[0:1], vcc
	s_cbranch_execz .LBB13_187
; %bb.184:
	v_and_b32_e32 v93, -8, v94
	v_sub_u32_e32 v95, 0, v93
	s_mov_b64 s[2:3], 8
	s_movk_i32 s8, 0x78
	s_mov_b64 s[6:7], 0
.LBB13_185:                             ; =>This Inner Loop Header: Depth=1
	s_lshl_b32 s9, s2, 1
	s_add_i32 s10, s9, -13
	v_mov_b32_e32 v93, s8
	s_add_i32 s11, s9, -14
	s_set_gpr_idx_on s10, gpr_idx(SRC0)
	v_mov_b32_e32 v101, v30
	s_set_gpr_idx_off
	s_set_gpr_idx_on s11, gpr_idx(SRC0)
	v_mov_b32_e32 v100, v30
	s_set_gpr_idx_off
	ds_read2_b64 v[96:99], v93 offset1:1
	s_add_i32 s10, s9, -11
	s_add_i32 s11, s9, -12
	;; [unrolled: 1-line block ×4, first 2 shown]
	s_waitcnt lgkmcnt(0)
	v_fma_f64 v[90:91], v[100:101], v[96:97], v[90:91]
	s_set_gpr_idx_on s10, gpr_idx(SRC0)
	v_mov_b32_e32 v97, v30
	s_set_gpr_idx_off
	s_set_gpr_idx_on s11, gpr_idx(SRC0)
	v_mov_b32_e32 v96, v30
	s_set_gpr_idx_off
	s_add_i32 s10, s9, -7
	s_add_i32 s11, s9, -8
	v_fma_f64 v[90:91], v[96:97], v[98:99], v[90:91]
	s_set_gpr_idx_on s12, gpr_idx(SRC0)
	v_mov_b32_e32 v101, v30
	s_set_gpr_idx_off
	s_set_gpr_idx_on s13, gpr_idx(SRC0)
	v_mov_b32_e32 v100, v30
	s_set_gpr_idx_off
	ds_read2_b64 v[96:99], v93 offset0:2 offset1:3
	s_add_i32 s12, s9, -5
	s_add_i32 s13, s9, -6
	s_waitcnt lgkmcnt(0)
	v_fma_f64 v[90:91], v[100:101], v[96:97], v[90:91]
	s_set_gpr_idx_on s10, gpr_idx(SRC0)
	v_mov_b32_e32 v97, v30
	s_set_gpr_idx_off
	s_set_gpr_idx_on s11, gpr_idx(SRC0)
	v_mov_b32_e32 v96, v30
	s_set_gpr_idx_off
	s_add_i32 s10, s9, -3
	s_add_i32 s11, s9, -4
	v_fma_f64 v[90:91], v[96:97], v[98:99], v[90:91]
	s_set_gpr_idx_on s12, gpr_idx(SRC0)
	v_mov_b32_e32 v101, v30
	s_set_gpr_idx_off
	s_set_gpr_idx_on s13, gpr_idx(SRC0)
	v_mov_b32_e32 v100, v30
	s_set_gpr_idx_off
	ds_read2_b64 v[96:99], v93 offset0:4 offset1:5
	s_add_i32 s12, s9, -1
	s_add_i32 s13, s9, -2
	s_add_u32 s2, s2, 8
	s_addc_u32 s3, s3, 0
	s_waitcnt lgkmcnt(0)
	v_fma_f64 v[90:91], v[100:101], v[96:97], v[90:91]
	s_set_gpr_idx_on s10, gpr_idx(SRC0)
	v_mov_b32_e32 v97, v30
	s_set_gpr_idx_off
	s_set_gpr_idx_on s11, gpr_idx(SRC0)
	v_mov_b32_e32 v96, v30
	s_set_gpr_idx_off
	s_add_i32 s8, s8, 64
	v_fma_f64 v[90:91], v[96:97], v[98:99], v[90:91]
	s_set_gpr_idx_on s12, gpr_idx(SRC0)
	v_mov_b32_e32 v101, v30
	s_set_gpr_idx_off
	s_set_gpr_idx_on s13, gpr_idx(SRC0)
	v_mov_b32_e32 v100, v30
	s_set_gpr_idx_off
	ds_read2_b64 v[96:99], v93 offset0:6 offset1:7
	v_add_u32_e32 v93, s2, v95
	v_cmp_eq_u32_e32 vcc, 8, v93
	s_waitcnt lgkmcnt(0)
	v_fma_f64 v[90:91], v[100:101], v[96:97], v[90:91]
	s_set_gpr_idx_on s9, gpr_idx(SRC0)
	v_mov_b32_e32 v97, v31
	v_mov_b32_e32 v96, v30
	s_set_gpr_idx_off
	s_add_i32 s9, s2, -7
	s_or_b64 s[6:7], vcc, s[6:7]
	v_mov_b32_e32 v93, s9
	v_fma_f64 v[90:91], v[96:97], v[98:99], v[90:91]
	s_andn2_b64 exec, exec, s[6:7]
	s_cbranch_execnz .LBB13_185
; %bb.186:
	s_or_b64 exec, exec, s[6:7]
.LBB13_187:
	s_or_b64 exec, exec, s[0:1]
	v_and_b32_e32 v58, 7, v94
	v_cmp_ne_u32_e32 vcc, 0, v58
	s_and_saveexec_b64 s[2:3], vcc
	s_cbranch_execz .LBB13_191
; %bb.188:
	v_mov_b32_e32 v59, 0x70
	v_lshl_add_u32 v59, v93, 3, v59
	v_mov_b32_e32 v60, 0
	s_mov_b64 s[6:7], 0
.LBB13_189:                             ; =>This Inner Loop Header: Depth=1
	v_cmp_eq_u32_e32 vcc, 1, v93
	v_cndmask_b32_e32 v61, v31, v33, vcc
	v_cmp_eq_u32_e64 s[0:1], 2, v93
	v_cndmask_b32_e64 v61, v61, v35, s[0:1]
	v_cndmask_b32_e32 v96, v30, v32, vcc
	v_cmp_eq_u32_e32 vcc, 3, v93
	v_cndmask_b32_e32 v61, v61, v37, vcc
	v_cndmask_b32_e64 v96, v96, v34, s[0:1]
	v_cmp_eq_u32_e64 s[0:1], 4, v93
	v_cndmask_b32_e64 v61, v61, v39, s[0:1]
	v_cndmask_b32_e32 v96, v96, v36, vcc
	v_cmp_eq_u32_e32 vcc, 5, v93
	v_cndmask_b32_e32 v61, v61, v41, vcc
	v_cndmask_b32_e64 v96, v96, v38, s[0:1]
	;; [unrolled: 6-line block ×4, first 2 shown]
	v_cmp_eq_u32_e64 s[0:1], 10, v93
	ds_read_b64 v[94:95], v59
	v_cndmask_b32_e64 v61, v61, v51, s[0:1]
	v_cndmask_b32_e32 v96, v96, v48, vcc
	v_cmp_eq_u32_e32 vcc, 11, v93
	v_cndmask_b32_e32 v61, v61, v53, vcc
	v_cndmask_b32_e64 v96, v96, v50, s[0:1]
	v_cmp_eq_u32_e64 s[0:1], 12, v93
	v_cndmask_b32_e64 v61, v61, v55, s[0:1]
	v_cndmask_b32_e32 v96, v96, v52, vcc
	v_cmp_eq_u32_e32 vcc, 13, v93
	v_cndmask_b32_e32 v97, v61, v57, vcc
	v_cndmask_b32_e64 v61, v96, v54, s[0:1]
	v_cndmask_b32_e32 v96, v61, v56, vcc
	s_waitcnt lgkmcnt(0)
	v_fma_f64 v[90:91], v[96:97], v[94:95], v[90:91]
	v_add_u32_e32 v58, -1, v58
	v_cmp_eq_u32_e32 vcc, 0, v58
	s_or_b64 s[6:7], vcc, s[6:7]
	v_add_co_u32_e32 v93, vcc, 1, v93
	v_add_u32_e32 v59, 8, v59
	v_addc_co_u32_e32 v60, vcc, 0, v60, vcc
	s_andn2_b64 exec, exec, s[6:7]
	s_cbranch_execnz .LBB13_189
; %bb.190:
	s_or_b64 exec, exec, s[6:7]
.LBB13_191:
	s_or_b64 exec, exec, s[2:3]
.LBB13_192:
	s_or_b64 exec, exec, s[4:5]
	v_mov_b32_e32 v30, 0
	ds_read_b64 v[30:31], v30
	s_waitcnt lgkmcnt(0)
	v_mul_f64 v[30:31], v[90:91], v[30:31]
.LBB13_193:
	s_or_b64 exec, exec, s[26:27]
	s_branch .LBB13_327
.LBB13_194:
	v_cmp_eq_u32_e64 s[2:3], 0, v0
	s_waitcnt vmcnt(13)
	ds_write_b64 v92, v[4:5]
	s_waitcnt lgkmcnt(0)
	; wave barrier
	s_and_saveexec_b64 s[26:27], s[2:3]
	s_cbranch_execz .LBB13_200
; %bb.195:
	s_and_b64 vcc, exec, s[28:29]
	s_cbranch_vccz .LBB13_197
; %bb.196:
	v_cmp_eq_u32_e32 vcc, 1, v0
	s_waitcnt vmcnt(1)
	v_cndmask_b32_e32 v5, v3, v5, vcc
	v_cmp_eq_u32_e64 s[0:1], 2, v0
	v_cndmask_b32_e32 v4, v2, v4, vcc
	v_cndmask_b32_e64 v5, v5, v7, s[0:1]
	v_cmp_eq_u32_e64 s[4:5], 3, v0
	v_cndmask_b32_e64 v4, v4, v6, s[0:1]
	v_cndmask_b32_e64 v5, v5, v9, s[4:5]
	v_cmp_eq_u32_e64 s[6:7], 4, v0
	v_cndmask_b32_e64 v4, v4, v8, s[4:5]
	;; [unrolled: 3-line block ×8, first 2 shown]
	ds_read_b64 v[30:31], v92
	v_cndmask_b32_e64 v5, v5, v23, s[18:19]
	v_cmp_eq_u32_e64 s[20:21], 11, v0
	v_cndmask_b32_e64 v4, v4, v22, s[18:19]
	v_cndmask_b32_e64 v5, v5, v25, s[20:21]
	v_cmp_eq_u32_e64 s[22:23], 12, v0
	v_cndmask_b32_e64 v4, v4, v24, s[20:21]
	;; [unrolled: 3-line block ×3, first 2 shown]
	s_waitcnt vmcnt(0)
	v_cndmask_b32_e64 v5, v5, v29, s[24:25]
	v_cndmask_b32_e64 v4, v4, v28, s[24:25]
	s_waitcnt lgkmcnt(0)
	v_mul_f64 v[4:5], v[4:5], v[30:31]
	s_cbranch_execz .LBB13_198
	s_branch .LBB13_199
.LBB13_197:
                                        ; implicit-def: $vgpr4_vgpr5
.LBB13_198:
	ds_read_b64 v[4:5], v92
.LBB13_199:
	v_mov_b32_e32 v30, 0
	ds_read_b64 v[30:31], v30 offset:8
	s_waitcnt lgkmcnt(0)
	v_mul_f64 v[4:5], v[4:5], v[30:31]
.LBB13_200:
	s_or_b64 exec, exec, s[26:27]
	v_cndmask_b32_e64 v30, 0, 1, s[28:29]
	v_cmp_gt_u32_e32 vcc, 2, v0
	v_cmp_ne_u32_e64 s[0:1], 1, v30
	s_waitcnt vmcnt(12)
	ds_write_b64 v92, v[6:7]
	s_waitcnt lgkmcnt(0)
	; wave barrier
	s_and_saveexec_b64 s[28:29], vcc
	s_cbranch_execz .LBB13_206
; %bb.201:
	s_and_b64 vcc, exec, s[0:1]
	s_cbranch_vccnz .LBB13_203
; %bb.202:
	v_cmp_eq_u32_e32 vcc, 1, v0
	s_waitcnt vmcnt(1)
	v_cndmask_b32_e32 v30, v3, v5, vcc
	v_cmp_eq_u32_e64 s[4:5], 2, v0
	v_cndmask_b32_e64 v7, v30, v7, s[4:5]
	v_cndmask_b32_e32 v30, v2, v4, vcc
	v_cmp_eq_u32_e64 s[6:7], 3, v0
	v_cndmask_b32_e64 v6, v30, v6, s[4:5]
	v_cndmask_b32_e64 v7, v7, v9, s[6:7]
	v_cmp_eq_u32_e64 s[8:9], 4, v0
	v_cndmask_b32_e64 v6, v6, v8, s[6:7]
	v_cndmask_b32_e64 v7, v7, v11, s[8:9]
	;; [unrolled: 3-line block ×7, first 2 shown]
	v_cmp_eq_u32_e64 s[20:21], 10, v0
	v_cndmask_b32_e64 v6, v6, v20, s[18:19]
	ds_read_b64 v[30:31], v92
	v_cndmask_b32_e64 v7, v7, v23, s[20:21]
	v_cmp_eq_u32_e64 s[22:23], 11, v0
	v_cndmask_b32_e64 v6, v6, v22, s[20:21]
	v_cndmask_b32_e64 v7, v7, v25, s[22:23]
	v_cmp_eq_u32_e64 s[24:25], 12, v0
	v_cndmask_b32_e64 v6, v6, v24, s[22:23]
	;; [unrolled: 3-line block ×3, first 2 shown]
	s_waitcnt vmcnt(0)
	v_cndmask_b32_e64 v7, v7, v29, s[26:27]
	v_cndmask_b32_e64 v6, v6, v28, s[26:27]
	s_waitcnt lgkmcnt(0)
	v_mul_f64 v[6:7], v[6:7], v[30:31]
	s_cbranch_execz .LBB13_204
	s_branch .LBB13_205
.LBB13_203:
                                        ; implicit-def: $vgpr6_vgpr7
.LBB13_204:
	ds_read_b64 v[6:7], v92
.LBB13_205:
	v_mov_b32_e32 v30, 0
	ds_read2_b64 v[30:33], v30 offset0:2 offset1:15
	s_waitcnt lgkmcnt(0)
	v_fma_f64 v[32:33], v[4:5], v[32:33], v[6:7]
	v_cndmask_b32_e64 v7, v7, v33, s[2:3]
	v_cndmask_b32_e64 v6, v6, v32, s[2:3]
	v_mul_f64 v[6:7], v[6:7], v[30:31]
.LBB13_206:
	s_or_b64 exec, exec, s[28:29]
	v_add_u32_e32 v34, 1, v0
	v_cmp_gt_u32_e64 s[4:5], 3, v0
	s_waitcnt vmcnt(11)
	ds_write_b64 v92, v[8:9]
	s_waitcnt lgkmcnt(0)
	; wave barrier
	s_and_saveexec_b64 s[30:31], s[4:5]
	s_cbranch_execz .LBB13_214
; %bb.207:
	s_and_b64 vcc, exec, s[0:1]
	s_cbranch_vccnz .LBB13_209
; %bb.208:
	v_cmp_eq_u32_e32 vcc, 1, v0
	s_waitcnt vmcnt(1)
	v_cndmask_b32_e32 v30, v3, v5, vcc
	v_cmp_eq_u32_e64 s[6:7], 2, v0
	v_cndmask_b32_e64 v30, v30, v7, s[6:7]
	v_cmp_eq_u32_e64 s[8:9], 3, v0
	v_cndmask_b32_e64 v30, v30, v9, s[8:9]
	;; [unrolled: 2-line block ×11, first 2 shown]
	v_cmp_eq_u32_e64 s[28:29], 13, v0
	s_waitcnt vmcnt(0)
	v_cndmask_b32_e64 v31, v30, v29, s[28:29]
	v_cndmask_b32_e32 v30, v2, v4, vcc
	v_cndmask_b32_e64 v30, v30, v6, s[6:7]
	v_cndmask_b32_e64 v30, v30, v8, s[8:9]
	;; [unrolled: 1-line block ×8, first 2 shown]
	ds_read_b64 v[32:33], v92
	v_cndmask_b32_e64 v30, v30, v22, s[22:23]
	v_cndmask_b32_e64 v30, v30, v24, s[24:25]
	;; [unrolled: 1-line block ×4, first 2 shown]
	s_waitcnt lgkmcnt(0)
	v_mul_f64 v[30:31], v[30:31], v[32:33]
	s_cbranch_execz .LBB13_210
	s_branch .LBB13_211
.LBB13_209:
                                        ; implicit-def: $vgpr30_vgpr31
.LBB13_210:
	ds_read_b64 v[30:31], v92
.LBB13_211:
	v_cmp_ne_u32_e32 vcc, 2, v0
	s_and_saveexec_b64 s[34:35], vcc
	s_cbranch_execz .LBB13_213
; %bb.212:
	v_cmp_eq_u32_e32 vcc, 1, v34
	s_waitcnt vmcnt(1)
	v_cndmask_b32_e32 v32, v3, v5, vcc
	v_cmp_eq_u32_e64 s[6:7], 2, v34
	v_cndmask_b32_e64 v32, v32, v7, s[6:7]
	v_cmp_eq_u32_e64 s[8:9], 3, v34
	v_cndmask_b32_e64 v9, v32, v9, s[8:9]
	v_cndmask_b32_e32 v32, v2, v4, vcc
	v_cndmask_b32_e64 v32, v32, v6, s[6:7]
	v_cmp_eq_u32_e64 s[10:11], 4, v34
	v_cndmask_b32_e64 v8, v32, v8, s[8:9]
	v_cndmask_b32_e64 v9, v9, v11, s[10:11]
	v_cmp_eq_u32_e64 s[12:13], 5, v34
	v_cndmask_b32_e64 v8, v8, v10, s[10:11]
	;; [unrolled: 3-line block ×7, first 2 shown]
	ds_read_b64 v[32:33], v92 offset:8
	v_cndmask_b32_e64 v9, v9, v23, s[22:23]
	v_cmp_eq_u32_e64 s[24:25], 11, v34
	v_cndmask_b32_e64 v8, v8, v22, s[22:23]
	v_cndmask_b32_e64 v9, v9, v25, s[24:25]
	v_cmp_eq_u32_e64 s[26:27], 12, v34
	v_cndmask_b32_e64 v8, v8, v24, s[24:25]
	;; [unrolled: 3-line block ×3, first 2 shown]
	s_waitcnt vmcnt(0)
	v_cndmask_b32_e64 v9, v9, v29, s[28:29]
	v_cndmask_b32_e64 v8, v8, v28, s[28:29]
	v_mov_b32_e32 v35, 0
	ds_read_b64 v[35:36], v35 offset:128
	s_waitcnt lgkmcnt(1)
	v_fma_f64 v[8:9], v[8:9], v[32:33], v[30:31]
	s_waitcnt lgkmcnt(0)
	v_fma_f64 v[30:31], v[6:7], v[35:36], v[8:9]
	v_cndmask_b32_e64 v31, v9, v31, s[2:3]
	v_cndmask_b32_e64 v30, v8, v30, s[2:3]
.LBB13_213:
	s_or_b64 exec, exec, s[34:35]
	v_mov_b32_e32 v8, 0
	ds_read_b64 v[8:9], v8 offset:24
	s_waitcnt lgkmcnt(0)
	v_mul_f64 v[8:9], v[30:31], v[8:9]
.LBB13_214:
	s_or_b64 exec, exec, s[30:31]
	v_cmp_gt_u32_e32 vcc, 4, v0
	s_waitcnt vmcnt(10)
	ds_write_b64 v92, v[10:11]
	s_waitcnt lgkmcnt(0)
	; wave barrier
	s_and_saveexec_b64 s[30:31], vcc
	s_cbranch_execz .LBB13_224
; %bb.215:
	s_and_b64 vcc, exec, s[0:1]
	s_cbranch_vccnz .LBB13_217
; %bb.216:
	v_cmp_eq_u32_e32 vcc, 1, v0
	s_waitcnt vmcnt(1)
	v_cndmask_b32_e32 v30, v3, v5, vcc
	v_cmp_eq_u32_e64 s[6:7], 2, v0
	v_cndmask_b32_e64 v30, v30, v7, s[6:7]
	v_cmp_eq_u32_e64 s[8:9], 3, v0
	v_cndmask_b32_e64 v30, v30, v9, s[8:9]
	;; [unrolled: 2-line block ×11, first 2 shown]
	v_cmp_eq_u32_e64 s[28:29], 13, v0
	s_waitcnt vmcnt(0)
	v_cndmask_b32_e64 v31, v30, v29, s[28:29]
	v_cndmask_b32_e32 v30, v2, v4, vcc
	v_cndmask_b32_e64 v30, v30, v6, s[6:7]
	v_cndmask_b32_e64 v30, v30, v8, s[8:9]
	;; [unrolled: 1-line block ×8, first 2 shown]
	ds_read_b64 v[32:33], v92
	v_cndmask_b32_e64 v30, v30, v22, s[22:23]
	v_cndmask_b32_e64 v30, v30, v24, s[24:25]
	;; [unrolled: 1-line block ×4, first 2 shown]
	s_waitcnt lgkmcnt(0)
	v_mul_f64 v[30:31], v[30:31], v[32:33]
	s_cbranch_execz .LBB13_218
	s_branch .LBB13_219
.LBB13_217:
                                        ; implicit-def: $vgpr30_vgpr31
.LBB13_218:
	ds_read_b64 v[30:31], v92
.LBB13_219:
	v_cmp_ne_u32_e32 vcc, 3, v0
	s_and_saveexec_b64 s[8:9], vcc
	s_cbranch_execz .LBB13_223
; %bb.220:
	v_mov_b32_e32 v32, 0x78
	v_lshl_add_u32 v35, v0, 3, v32
	v_mov_b32_e32 v33, v1
	s_mov_b64 s[10:11], 0
	v_mov_b32_e32 v32, v0
.LBB13_221:                             ; =>This Inner Loop Header: Depth=1
	v_add_co_u32_e32 v32, vcc, 1, v32
	v_addc_co_u32_e32 v33, vcc, 0, v33, vcc
	v_cmp_eq_u32_e32 vcc, 1, v32
	s_waitcnt vmcnt(1)
	v_cndmask_b32_e32 v38, v3, v5, vcc
	v_cmp_eq_u32_e64 s[6:7], 2, v32
	v_cndmask_b32_e64 v38, v38, v7, s[6:7]
	v_cndmask_b32_e32 v39, v2, v4, vcc
	v_cmp_eq_u32_e32 vcc, 3, v32
	v_cndmask_b32_e32 v38, v38, v9, vcc
	v_cndmask_b32_e64 v39, v39, v6, s[6:7]
	v_cmp_eq_u32_e64 s[6:7], 4, v32
	v_cndmask_b32_e64 v38, v38, v11, s[6:7]
	v_cndmask_b32_e32 v39, v39, v8, vcc
	v_cmp_eq_u32_e32 vcc, 5, v32
	v_cndmask_b32_e32 v38, v38, v13, vcc
	v_cndmask_b32_e64 v39, v39, v10, s[6:7]
	v_cmp_eq_u32_e64 s[6:7], 6, v32
	v_cndmask_b32_e64 v38, v38, v15, s[6:7]
	v_cndmask_b32_e32 v39, v39, v12, vcc
	v_cmp_eq_u32_e32 vcc, 7, v32
	v_cndmask_b32_e32 v38, v38, v17, vcc
	v_cndmask_b32_e64 v39, v39, v14, s[6:7]
	v_cmp_eq_u32_e64 s[6:7], 8, v32
	v_cndmask_b32_e64 v38, v38, v19, s[6:7]
	v_cndmask_b32_e32 v39, v39, v16, vcc
	v_cmp_eq_u32_e32 vcc, 9, v32
	v_cndmask_b32_e32 v38, v38, v21, vcc
	v_cndmask_b32_e64 v39, v39, v18, s[6:7]
	v_cmp_eq_u32_e64 s[6:7], 10, v32
	ds_read_b64 v[36:37], v35
	v_cndmask_b32_e64 v38, v38, v23, s[6:7]
	v_cndmask_b32_e32 v39, v39, v20, vcc
	v_cmp_eq_u32_e32 vcc, 11, v32
	v_cndmask_b32_e32 v38, v38, v25, vcc
	v_cndmask_b32_e64 v39, v39, v22, s[6:7]
	v_cmp_eq_u32_e64 s[6:7], 12, v32
	v_cndmask_b32_e64 v38, v38, v27, s[6:7]
	v_cndmask_b32_e32 v40, v39, v24, vcc
	v_cmp_eq_u32_e32 vcc, 13, v32
	s_waitcnt vmcnt(0)
	v_cndmask_b32_e32 v39, v38, v29, vcc
	v_cndmask_b32_e64 v38, v40, v26, s[6:7]
	v_cndmask_b32_e32 v38, v38, v28, vcc
	s_waitcnt lgkmcnt(0)
	v_fma_f64 v[30:31], v[38:39], v[36:37], v[30:31]
	v_cmp_lt_u32_e32 vcc, 2, v32
	s_or_b64 s[10:11], vcc, s[10:11]
	v_add_u32_e32 v35, 8, v35
	s_andn2_b64 exec, exec, s[10:11]
	s_cbranch_execnz .LBB13_221
; %bb.222:
	s_or_b64 exec, exec, s[10:11]
.LBB13_223:
	s_or_b64 exec, exec, s[8:9]
	v_mov_b32_e32 v10, 0
	ds_read_b64 v[10:11], v10 offset:32
	s_waitcnt lgkmcnt(0)
	v_mul_f64 v[10:11], v[30:31], v[10:11]
.LBB13_224:
	s_or_b64 exec, exec, s[30:31]
	v_cmp_gt_u32_e64 s[6:7], 5, v0
	s_waitcnt vmcnt(9)
	ds_write_b64 v92, v[12:13]
	s_waitcnt lgkmcnt(0)
	; wave barrier
	s_and_saveexec_b64 s[34:35], s[6:7]
	s_cbranch_execz .LBB13_234
; %bb.225:
	s_and_b64 vcc, exec, s[0:1]
	s_cbranch_vccnz .LBB13_227
; %bb.226:
	v_cmp_eq_u32_e32 vcc, 1, v0
	s_waitcnt vmcnt(1)
	v_cndmask_b32_e32 v30, v3, v5, vcc
	v_cmp_eq_u32_e64 s[8:9], 2, v0
	v_cndmask_b32_e64 v30, v30, v7, s[8:9]
	v_cmp_eq_u32_e64 s[10:11], 3, v0
	v_cndmask_b32_e64 v30, v30, v9, s[10:11]
	;; [unrolled: 2-line block ×11, first 2 shown]
	v_cmp_eq_u32_e64 s[30:31], 13, v0
	s_waitcnt vmcnt(0)
	v_cndmask_b32_e64 v31, v30, v29, s[30:31]
	v_cndmask_b32_e32 v30, v2, v4, vcc
	v_cndmask_b32_e64 v30, v30, v6, s[8:9]
	v_cndmask_b32_e64 v30, v30, v8, s[10:11]
	;; [unrolled: 1-line block ×8, first 2 shown]
	ds_read_b64 v[32:33], v92
	v_cndmask_b32_e64 v30, v30, v22, s[24:25]
	v_cndmask_b32_e64 v30, v30, v24, s[26:27]
	;; [unrolled: 1-line block ×4, first 2 shown]
	s_waitcnt lgkmcnt(0)
	v_mul_f64 v[30:31], v[30:31], v[32:33]
	s_cbranch_execz .LBB13_228
	s_branch .LBB13_229
.LBB13_227:
                                        ; implicit-def: $vgpr30_vgpr31
.LBB13_228:
	ds_read_b64 v[30:31], v92
.LBB13_229:
	v_cmp_ne_u32_e32 vcc, 4, v0
	s_and_saveexec_b64 s[10:11], vcc
	s_cbranch_execz .LBB13_233
; %bb.230:
	v_mov_b32_e32 v32, 0x78
	v_lshl_add_u32 v35, v0, 3, v32
	v_mov_b32_e32 v33, v1
	s_mov_b64 s[12:13], 0
	v_mov_b32_e32 v32, v0
.LBB13_231:                             ; =>This Inner Loop Header: Depth=1
	v_add_co_u32_e32 v32, vcc, 1, v32
	v_addc_co_u32_e32 v33, vcc, 0, v33, vcc
	v_cmp_eq_u32_e32 vcc, 1, v32
	s_waitcnt vmcnt(1)
	v_cndmask_b32_e32 v38, v3, v5, vcc
	v_cmp_eq_u32_e64 s[8:9], 2, v32
	v_cndmask_b32_e64 v38, v38, v7, s[8:9]
	v_cndmask_b32_e32 v39, v2, v4, vcc
	v_cmp_eq_u32_e32 vcc, 3, v32
	v_cndmask_b32_e32 v38, v38, v9, vcc
	v_cndmask_b32_e64 v39, v39, v6, s[8:9]
	v_cmp_eq_u32_e64 s[8:9], 4, v32
	v_cndmask_b32_e64 v38, v38, v11, s[8:9]
	v_cndmask_b32_e32 v39, v39, v8, vcc
	v_cmp_eq_u32_e32 vcc, 5, v32
	v_cndmask_b32_e32 v38, v38, v13, vcc
	v_cndmask_b32_e64 v39, v39, v10, s[8:9]
	;; [unrolled: 6-line block ×4, first 2 shown]
	v_cmp_eq_u32_e64 s[8:9], 10, v32
	ds_read_b64 v[36:37], v35
	v_cndmask_b32_e64 v38, v38, v23, s[8:9]
	v_cndmask_b32_e32 v39, v39, v20, vcc
	v_cmp_eq_u32_e32 vcc, 11, v32
	v_cndmask_b32_e32 v38, v38, v25, vcc
	v_cndmask_b32_e64 v39, v39, v22, s[8:9]
	v_cmp_eq_u32_e64 s[8:9], 12, v32
	v_cndmask_b32_e64 v38, v38, v27, s[8:9]
	v_cndmask_b32_e32 v40, v39, v24, vcc
	v_cmp_eq_u32_e32 vcc, 13, v32
	s_waitcnt vmcnt(0)
	v_cndmask_b32_e32 v39, v38, v29, vcc
	v_cndmask_b32_e64 v38, v40, v26, s[8:9]
	v_cndmask_b32_e32 v38, v38, v28, vcc
	s_waitcnt lgkmcnt(0)
	v_fma_f64 v[30:31], v[38:39], v[36:37], v[30:31]
	v_cmp_lt_u32_e32 vcc, 3, v32
	s_or_b64 s[12:13], vcc, s[12:13]
	v_add_u32_e32 v35, 8, v35
	s_andn2_b64 exec, exec, s[12:13]
	s_cbranch_execnz .LBB13_231
; %bb.232:
	s_or_b64 exec, exec, s[12:13]
.LBB13_233:
	s_or_b64 exec, exec, s[10:11]
	v_mov_b32_e32 v12, 0
	ds_read_b64 v[12:13], v12 offset:40
	s_waitcnt lgkmcnt(0)
	v_mul_f64 v[12:13], v[30:31], v[12:13]
.LBB13_234:
	s_or_b64 exec, exec, s[34:35]
	v_cmp_gt_u32_e32 vcc, 6, v0
	s_waitcnt vmcnt(8)
	ds_write_b64 v92, v[14:15]
	s_waitcnt lgkmcnt(0)
	; wave barrier
	s_and_saveexec_b64 s[34:35], vcc
	s_cbranch_execz .LBB13_244
; %bb.235:
	s_and_b64 vcc, exec, s[0:1]
	s_cbranch_vccnz .LBB13_237
; %bb.236:
	v_cmp_eq_u32_e32 vcc, 1, v0
	s_waitcnt vmcnt(1)
	v_cndmask_b32_e32 v30, v3, v5, vcc
	v_cmp_eq_u32_e64 s[8:9], 2, v0
	v_cndmask_b32_e64 v30, v30, v7, s[8:9]
	v_cmp_eq_u32_e64 s[10:11], 3, v0
	v_cndmask_b32_e64 v30, v30, v9, s[10:11]
	;; [unrolled: 2-line block ×11, first 2 shown]
	v_cmp_eq_u32_e64 s[30:31], 13, v0
	s_waitcnt vmcnt(0)
	v_cndmask_b32_e64 v31, v30, v29, s[30:31]
	v_cndmask_b32_e32 v30, v2, v4, vcc
	v_cndmask_b32_e64 v30, v30, v6, s[8:9]
	v_cndmask_b32_e64 v30, v30, v8, s[10:11]
	;; [unrolled: 1-line block ×8, first 2 shown]
	ds_read_b64 v[32:33], v92
	v_cndmask_b32_e64 v30, v30, v22, s[24:25]
	v_cndmask_b32_e64 v30, v30, v24, s[26:27]
	;; [unrolled: 1-line block ×4, first 2 shown]
	s_waitcnt lgkmcnt(0)
	v_mul_f64 v[30:31], v[30:31], v[32:33]
	s_cbranch_execz .LBB13_238
	s_branch .LBB13_239
.LBB13_237:
                                        ; implicit-def: $vgpr30_vgpr31
.LBB13_238:
	ds_read_b64 v[30:31], v92
.LBB13_239:
	v_cmp_ne_u32_e32 vcc, 5, v0
	s_and_saveexec_b64 s[10:11], vcc
	s_cbranch_execz .LBB13_243
; %bb.240:
	v_mov_b32_e32 v32, 0x78
	v_lshl_add_u32 v35, v0, 3, v32
	v_mov_b32_e32 v33, v1
	s_mov_b64 s[12:13], 0
	v_mov_b32_e32 v32, v0
.LBB13_241:                             ; =>This Inner Loop Header: Depth=1
	v_add_co_u32_e32 v32, vcc, 1, v32
	v_addc_co_u32_e32 v33, vcc, 0, v33, vcc
	v_cmp_eq_u32_e32 vcc, 1, v32
	s_waitcnt vmcnt(1)
	v_cndmask_b32_e32 v38, v3, v5, vcc
	v_cmp_eq_u32_e64 s[8:9], 2, v32
	v_cndmask_b32_e64 v38, v38, v7, s[8:9]
	v_cndmask_b32_e32 v39, v2, v4, vcc
	v_cmp_eq_u32_e32 vcc, 3, v32
	v_cndmask_b32_e32 v38, v38, v9, vcc
	v_cndmask_b32_e64 v39, v39, v6, s[8:9]
	v_cmp_eq_u32_e64 s[8:9], 4, v32
	v_cndmask_b32_e64 v38, v38, v11, s[8:9]
	v_cndmask_b32_e32 v39, v39, v8, vcc
	v_cmp_eq_u32_e32 vcc, 5, v32
	v_cndmask_b32_e32 v38, v38, v13, vcc
	v_cndmask_b32_e64 v39, v39, v10, s[8:9]
	;; [unrolled: 6-line block ×4, first 2 shown]
	v_cmp_eq_u32_e64 s[8:9], 10, v32
	ds_read_b64 v[36:37], v35
	v_cndmask_b32_e64 v38, v38, v23, s[8:9]
	v_cndmask_b32_e32 v39, v39, v20, vcc
	v_cmp_eq_u32_e32 vcc, 11, v32
	v_cndmask_b32_e32 v38, v38, v25, vcc
	v_cndmask_b32_e64 v39, v39, v22, s[8:9]
	v_cmp_eq_u32_e64 s[8:9], 12, v32
	v_cndmask_b32_e64 v38, v38, v27, s[8:9]
	v_cndmask_b32_e32 v40, v39, v24, vcc
	v_cmp_eq_u32_e32 vcc, 13, v32
	s_waitcnt vmcnt(0)
	v_cndmask_b32_e32 v39, v38, v29, vcc
	v_cndmask_b32_e64 v38, v40, v26, s[8:9]
	v_cndmask_b32_e32 v38, v38, v28, vcc
	s_waitcnt lgkmcnt(0)
	v_fma_f64 v[30:31], v[38:39], v[36:37], v[30:31]
	v_cmp_lt_u32_e32 vcc, 4, v32
	s_or_b64 s[12:13], vcc, s[12:13]
	v_add_u32_e32 v35, 8, v35
	s_andn2_b64 exec, exec, s[12:13]
	s_cbranch_execnz .LBB13_241
; %bb.242:
	s_or_b64 exec, exec, s[12:13]
.LBB13_243:
	s_or_b64 exec, exec, s[10:11]
	v_mov_b32_e32 v14, 0
	ds_read_b64 v[14:15], v14 offset:48
	s_waitcnt lgkmcnt(0)
	v_mul_f64 v[14:15], v[30:31], v[14:15]
.LBB13_244:
	s_or_b64 exec, exec, s[34:35]
	v_cmp_gt_u32_e64 s[8:9], 7, v0
	s_waitcnt vmcnt(7)
	ds_write_b64 v92, v[16:17]
	s_waitcnt lgkmcnt(0)
	; wave barrier
	s_and_saveexec_b64 s[36:37], s[8:9]
	s_cbranch_execz .LBB13_254
; %bb.245:
	s_and_b64 vcc, exec, s[0:1]
	s_cbranch_vccnz .LBB13_247
; %bb.246:
	v_cmp_eq_u32_e32 vcc, 1, v0
	s_waitcnt vmcnt(1)
	v_cndmask_b32_e32 v30, v3, v5, vcc
	v_cmp_eq_u32_e64 s[10:11], 2, v0
	v_cndmask_b32_e64 v30, v30, v7, s[10:11]
	v_cmp_eq_u32_e64 s[12:13], 3, v0
	v_cndmask_b32_e64 v30, v30, v9, s[12:13]
	;; [unrolled: 2-line block ×11, first 2 shown]
	v_cmp_eq_u32_e64 s[34:35], 13, v0
	s_waitcnt vmcnt(0)
	v_cndmask_b32_e64 v31, v30, v29, s[34:35]
	v_cndmask_b32_e32 v30, v2, v4, vcc
	v_cndmask_b32_e64 v30, v30, v6, s[10:11]
	v_cndmask_b32_e64 v30, v30, v8, s[12:13]
	;; [unrolled: 1-line block ×8, first 2 shown]
	ds_read_b64 v[32:33], v92
	v_cndmask_b32_e64 v30, v30, v22, s[26:27]
	v_cndmask_b32_e64 v30, v30, v24, s[28:29]
	v_cndmask_b32_e64 v30, v30, v26, s[30:31]
	v_cndmask_b32_e64 v30, v30, v28, s[34:35]
	s_waitcnt lgkmcnt(0)
	v_mul_f64 v[30:31], v[30:31], v[32:33]
	s_cbranch_execz .LBB13_248
	s_branch .LBB13_249
.LBB13_247:
                                        ; implicit-def: $vgpr30_vgpr31
.LBB13_248:
	ds_read_b64 v[30:31], v92
.LBB13_249:
	v_cmp_ne_u32_e32 vcc, 6, v0
	s_and_saveexec_b64 s[12:13], vcc
	s_cbranch_execz .LBB13_253
; %bb.250:
	v_mov_b32_e32 v32, 0x78
	v_lshl_add_u32 v35, v0, 3, v32
	v_mov_b32_e32 v33, v1
	s_mov_b64 s[14:15], 0
	v_mov_b32_e32 v32, v0
.LBB13_251:                             ; =>This Inner Loop Header: Depth=1
	v_add_co_u32_e32 v32, vcc, 1, v32
	v_addc_co_u32_e32 v33, vcc, 0, v33, vcc
	v_cmp_eq_u32_e32 vcc, 1, v32
	s_waitcnt vmcnt(1)
	v_cndmask_b32_e32 v38, v3, v5, vcc
	v_cmp_eq_u32_e64 s[10:11], 2, v32
	v_cndmask_b32_e64 v38, v38, v7, s[10:11]
	v_cndmask_b32_e32 v39, v2, v4, vcc
	v_cmp_eq_u32_e32 vcc, 3, v32
	v_cndmask_b32_e32 v38, v38, v9, vcc
	v_cndmask_b32_e64 v39, v39, v6, s[10:11]
	v_cmp_eq_u32_e64 s[10:11], 4, v32
	v_cndmask_b32_e64 v38, v38, v11, s[10:11]
	v_cndmask_b32_e32 v39, v39, v8, vcc
	v_cmp_eq_u32_e32 vcc, 5, v32
	v_cndmask_b32_e32 v38, v38, v13, vcc
	v_cndmask_b32_e64 v39, v39, v10, s[10:11]
	;; [unrolled: 6-line block ×4, first 2 shown]
	v_cmp_eq_u32_e64 s[10:11], 10, v32
	ds_read_b64 v[36:37], v35
	v_cndmask_b32_e64 v38, v38, v23, s[10:11]
	v_cndmask_b32_e32 v39, v39, v20, vcc
	v_cmp_eq_u32_e32 vcc, 11, v32
	v_cndmask_b32_e32 v38, v38, v25, vcc
	v_cndmask_b32_e64 v39, v39, v22, s[10:11]
	v_cmp_eq_u32_e64 s[10:11], 12, v32
	v_cndmask_b32_e64 v38, v38, v27, s[10:11]
	v_cndmask_b32_e32 v40, v39, v24, vcc
	v_cmp_eq_u32_e32 vcc, 13, v32
	s_waitcnt vmcnt(0)
	v_cndmask_b32_e32 v39, v38, v29, vcc
	v_cndmask_b32_e64 v38, v40, v26, s[10:11]
	v_cndmask_b32_e32 v38, v38, v28, vcc
	s_waitcnt lgkmcnt(0)
	v_fma_f64 v[30:31], v[38:39], v[36:37], v[30:31]
	v_cmp_lt_u32_e32 vcc, 5, v32
	s_or_b64 s[14:15], vcc, s[14:15]
	v_add_u32_e32 v35, 8, v35
	s_andn2_b64 exec, exec, s[14:15]
	s_cbranch_execnz .LBB13_251
; %bb.252:
	s_or_b64 exec, exec, s[14:15]
.LBB13_253:
	s_or_b64 exec, exec, s[12:13]
	v_mov_b32_e32 v16, 0
	ds_read_b64 v[16:17], v16 offset:56
	s_waitcnt lgkmcnt(0)
	v_mul_f64 v[16:17], v[30:31], v[16:17]
.LBB13_254:
	s_or_b64 exec, exec, s[36:37]
	v_cmp_gt_u32_e32 vcc, 8, v0
	s_waitcnt vmcnt(6)
	ds_write_b64 v92, v[18:19]
	s_waitcnt lgkmcnt(0)
	; wave barrier
	s_and_saveexec_b64 s[36:37], vcc
	s_cbranch_execz .LBB13_264
; %bb.255:
	s_and_b64 vcc, exec, s[0:1]
	s_cbranch_vccnz .LBB13_257
; %bb.256:
	v_cmp_eq_u32_e32 vcc, 1, v0
	s_waitcnt vmcnt(1)
	v_cndmask_b32_e32 v30, v3, v5, vcc
	v_cmp_eq_u32_e64 s[10:11], 2, v0
	v_cndmask_b32_e64 v30, v30, v7, s[10:11]
	v_cmp_eq_u32_e64 s[12:13], 3, v0
	v_cndmask_b32_e64 v30, v30, v9, s[12:13]
	v_cmp_eq_u32_e64 s[14:15], 4, v0
	v_cndmask_b32_e64 v30, v30, v11, s[14:15]
	v_cmp_eq_u32_e64 s[16:17], 5, v0
	v_cndmask_b32_e64 v30, v30, v13, s[16:17]
	v_cmp_eq_u32_e64 s[18:19], 6, v0
	v_cndmask_b32_e64 v30, v30, v15, s[18:19]
	v_cmp_eq_u32_e64 s[20:21], 7, v0
	v_cndmask_b32_e64 v30, v30, v17, s[20:21]
	v_cmp_eq_u32_e64 s[22:23], 8, v0
	v_cndmask_b32_e64 v30, v30, v19, s[22:23]
	v_cmp_eq_u32_e64 s[24:25], 9, v0
	v_cndmask_b32_e64 v30, v30, v21, s[24:25]
	v_cmp_eq_u32_e64 s[26:27], 10, v0
	v_cndmask_b32_e64 v30, v30, v23, s[26:27]
	v_cmp_eq_u32_e64 s[28:29], 11, v0
	v_cndmask_b32_e64 v30, v30, v25, s[28:29]
	v_cmp_eq_u32_e64 s[30:31], 12, v0
	v_cndmask_b32_e64 v30, v30, v27, s[30:31]
	v_cmp_eq_u32_e64 s[34:35], 13, v0
	s_waitcnt vmcnt(0)
	v_cndmask_b32_e64 v31, v30, v29, s[34:35]
	v_cndmask_b32_e32 v30, v2, v4, vcc
	v_cndmask_b32_e64 v30, v30, v6, s[10:11]
	v_cndmask_b32_e64 v30, v30, v8, s[12:13]
	;; [unrolled: 1-line block ×8, first 2 shown]
	ds_read_b64 v[32:33], v92
	v_cndmask_b32_e64 v30, v30, v22, s[26:27]
	v_cndmask_b32_e64 v30, v30, v24, s[28:29]
	v_cndmask_b32_e64 v30, v30, v26, s[30:31]
	v_cndmask_b32_e64 v30, v30, v28, s[34:35]
	s_waitcnt lgkmcnt(0)
	v_mul_f64 v[30:31], v[30:31], v[32:33]
	s_cbranch_execz .LBB13_258
	s_branch .LBB13_259
.LBB13_257:
                                        ; implicit-def: $vgpr30_vgpr31
.LBB13_258:
	ds_read_b64 v[30:31], v92
.LBB13_259:
	v_cmp_ne_u32_e32 vcc, 7, v0
	s_and_saveexec_b64 s[12:13], vcc
	s_cbranch_execz .LBB13_263
; %bb.260:
	v_mov_b32_e32 v32, 0x78
	v_lshl_add_u32 v35, v0, 3, v32
	v_mov_b32_e32 v33, v1
	s_mov_b64 s[14:15], 0
	v_mov_b32_e32 v32, v0
.LBB13_261:                             ; =>This Inner Loop Header: Depth=1
	v_add_co_u32_e32 v32, vcc, 1, v32
	v_addc_co_u32_e32 v33, vcc, 0, v33, vcc
	v_cmp_eq_u32_e32 vcc, 1, v32
	s_waitcnt vmcnt(1)
	v_cndmask_b32_e32 v38, v3, v5, vcc
	v_cmp_eq_u32_e64 s[10:11], 2, v32
	v_cndmask_b32_e64 v38, v38, v7, s[10:11]
	v_cndmask_b32_e32 v39, v2, v4, vcc
	v_cmp_eq_u32_e32 vcc, 3, v32
	v_cndmask_b32_e32 v38, v38, v9, vcc
	v_cndmask_b32_e64 v39, v39, v6, s[10:11]
	v_cmp_eq_u32_e64 s[10:11], 4, v32
	v_cndmask_b32_e64 v38, v38, v11, s[10:11]
	v_cndmask_b32_e32 v39, v39, v8, vcc
	v_cmp_eq_u32_e32 vcc, 5, v32
	v_cndmask_b32_e32 v38, v38, v13, vcc
	v_cndmask_b32_e64 v39, v39, v10, s[10:11]
	;; [unrolled: 6-line block ×4, first 2 shown]
	v_cmp_eq_u32_e64 s[10:11], 10, v32
	ds_read_b64 v[36:37], v35
	v_cndmask_b32_e64 v38, v38, v23, s[10:11]
	v_cndmask_b32_e32 v39, v39, v20, vcc
	v_cmp_eq_u32_e32 vcc, 11, v32
	v_cndmask_b32_e32 v38, v38, v25, vcc
	v_cndmask_b32_e64 v39, v39, v22, s[10:11]
	v_cmp_eq_u32_e64 s[10:11], 12, v32
	v_cndmask_b32_e64 v38, v38, v27, s[10:11]
	v_cndmask_b32_e32 v40, v39, v24, vcc
	v_cmp_eq_u32_e32 vcc, 13, v32
	s_waitcnt vmcnt(0)
	v_cndmask_b32_e32 v39, v38, v29, vcc
	v_cndmask_b32_e64 v38, v40, v26, s[10:11]
	v_cndmask_b32_e32 v38, v38, v28, vcc
	s_waitcnt lgkmcnt(0)
	v_fma_f64 v[30:31], v[38:39], v[36:37], v[30:31]
	v_cmp_lt_u32_e32 vcc, 6, v32
	s_or_b64 s[14:15], vcc, s[14:15]
	v_add_u32_e32 v35, 8, v35
	s_andn2_b64 exec, exec, s[14:15]
	s_cbranch_execnz .LBB13_261
; %bb.262:
	s_or_b64 exec, exec, s[14:15]
.LBB13_263:
	s_or_b64 exec, exec, s[12:13]
	v_mov_b32_e32 v18, 0
	ds_read_b64 v[18:19], v18 offset:64
	s_waitcnt lgkmcnt(0)
	v_mul_f64 v[18:19], v[30:31], v[18:19]
.LBB13_264:
	s_or_b64 exec, exec, s[36:37]
	v_cmp_gt_u32_e32 vcc, 9, v0
	s_waitcnt vmcnt(5)
	ds_write_b64 v92, v[20:21]
	s_waitcnt lgkmcnt(0)
	; wave barrier
	s_and_saveexec_b64 s[36:37], vcc
	s_cbranch_execz .LBB13_286
; %bb.265:
	s_and_b64 vcc, exec, s[0:1]
	s_cbranch_vccnz .LBB13_267
; %bb.266:
	v_cmp_eq_u32_e32 vcc, 1, v0
	s_waitcnt vmcnt(1)
	v_cndmask_b32_e32 v30, v3, v5, vcc
	v_cmp_eq_u32_e64 s[10:11], 2, v0
	v_cndmask_b32_e64 v30, v30, v7, s[10:11]
	v_cmp_eq_u32_e64 s[12:13], 3, v0
	v_cndmask_b32_e64 v30, v30, v9, s[12:13]
	;; [unrolled: 2-line block ×11, first 2 shown]
	v_cmp_eq_u32_e64 s[34:35], 13, v0
	s_waitcnt vmcnt(0)
	v_cndmask_b32_e64 v31, v30, v29, s[34:35]
	v_cndmask_b32_e32 v30, v2, v4, vcc
	v_cndmask_b32_e64 v30, v30, v6, s[10:11]
	v_cndmask_b32_e64 v30, v30, v8, s[12:13]
	;; [unrolled: 1-line block ×8, first 2 shown]
	ds_read_b64 v[32:33], v92
	v_cndmask_b32_e64 v30, v30, v22, s[26:27]
	v_cndmask_b32_e64 v30, v30, v24, s[28:29]
	;; [unrolled: 1-line block ×4, first 2 shown]
	s_waitcnt lgkmcnt(0)
	v_mul_f64 v[30:31], v[30:31], v[32:33]
	s_cbranch_execz .LBB13_268
	s_branch .LBB13_269
.LBB13_267:
                                        ; implicit-def: $vgpr30_vgpr31
.LBB13_268:
	ds_read_b64 v[30:31], v92
.LBB13_269:
	v_cmp_ne_u32_e32 vcc, 8, v0
	s_and_saveexec_b64 s[38:39], vcc
	s_cbranch_execz .LBB13_285
; %bb.270:
	v_cmp_eq_u32_e32 vcc, 1, v34
	s_waitcnt vmcnt(1)
	v_cndmask_b32_e32 v32, v3, v5, vcc
	v_cmp_eq_u32_e64 s[10:11], 2, v34
	v_cndmask_b32_e64 v32, v32, v7, s[10:11]
	v_cmp_eq_u32_e64 s[12:13], 3, v34
	v_cndmask_b32_e64 v32, v32, v9, s[12:13]
	;; [unrolled: 2-line block ×11, first 2 shown]
	v_cmp_eq_u32_e64 s[34:35], 13, v34
	s_waitcnt vmcnt(0)
	v_cndmask_b32_e64 v33, v32, v29, s[34:35]
	v_cndmask_b32_e32 v32, v2, v4, vcc
	v_cndmask_b32_e64 v32, v32, v6, s[10:11]
	v_cndmask_b32_e64 v32, v32, v8, s[12:13]
	;; [unrolled: 1-line block ×8, first 2 shown]
	ds_read_b64 v[34:35], v92 offset:8
	v_cndmask_b32_e64 v32, v32, v22, s[26:27]
	v_cndmask_b32_e64 v32, v32, v24, s[28:29]
	;; [unrolled: 1-line block ×4, first 2 shown]
	s_waitcnt lgkmcnt(0)
	v_fma_f64 v[30:31], v[32:33], v[34:35], v[30:31]
	s_and_saveexec_b64 s[34:35], s[8:9]
	s_cbranch_execz .LBB13_284
; %bb.271:
	v_add_u32_e32 v32, 2, v0
	v_cmp_eq_u32_e32 vcc, 1, v32
	v_cndmask_b32_e32 v33, v3, v5, vcc
	v_cmp_eq_u32_e64 s[8:9], 2, v32
	v_cmp_eq_u32_e64 s[10:11], 3, v32
	;; [unrolled: 1-line block ×12, first 2 shown]
	v_cndmask_b32_e32 v32, v2, v4, vcc
	v_cndmask_b32_e64 v33, v33, v7, s[8:9]
	v_cndmask_b32_e64 v32, v32, v6, s[8:9]
	;; [unrolled: 1-line block ×16, first 2 shown]
	ds_read_b64 v[34:35], v92 offset:16
	v_cndmask_b32_e64 v33, v33, v23, s[24:25]
	v_cndmask_b32_e64 v32, v32, v22, s[24:25]
	;; [unrolled: 1-line block ×8, first 2 shown]
	s_waitcnt lgkmcnt(0)
	v_fma_f64 v[30:31], v[32:33], v[34:35], v[30:31]
	v_cmp_ne_u32_e32 vcc, 6, v0
	s_and_saveexec_b64 s[40:41], vcc
	s_cbranch_execz .LBB13_283
; %bb.272:
	v_add_u32_e32 v32, 3, v0
	v_cmp_eq_u32_e32 vcc, 1, v32
	v_cndmask_b32_e32 v33, v3, v5, vcc
	v_cmp_eq_u32_e64 s[8:9], 2, v32
	v_cmp_eq_u32_e64 s[10:11], 3, v32
	v_cmp_eq_u32_e64 s[12:13], 4, v32
	v_cmp_eq_u32_e64 s[14:15], 5, v32
	v_cmp_eq_u32_e64 s[16:17], 6, v32
	v_cmp_eq_u32_e64 s[18:19], 7, v32
	v_cmp_eq_u32_e64 s[20:21], 8, v32
	v_cmp_eq_u32_e64 s[22:23], 9, v32
	v_cmp_eq_u32_e64 s[24:25], 10, v32
	v_cmp_eq_u32_e64 s[26:27], 11, v32
	v_cmp_eq_u32_e64 s[28:29], 12, v32
	v_cmp_eq_u32_e64 s[30:31], 13, v32
	v_cndmask_b32_e32 v32, v2, v4, vcc
	v_cndmask_b32_e64 v33, v33, v7, s[8:9]
	v_cndmask_b32_e64 v32, v32, v6, s[8:9]
	;; [unrolled: 1-line block ×16, first 2 shown]
	ds_read_b64 v[34:35], v92 offset:24
	v_cndmask_b32_e64 v33, v33, v23, s[24:25]
	v_cndmask_b32_e64 v32, v32, v22, s[24:25]
	;; [unrolled: 1-line block ×8, first 2 shown]
	s_waitcnt lgkmcnt(0)
	v_fma_f64 v[30:31], v[32:33], v[34:35], v[30:31]
	s_and_saveexec_b64 s[30:31], s[6:7]
	s_cbranch_execz .LBB13_282
; %bb.273:
	v_add_u32_e32 v32, 4, v0
	v_cmp_eq_u32_e32 vcc, 1, v32
	v_cndmask_b32_e32 v33, v3, v5, vcc
	v_cmp_eq_u32_e64 s[6:7], 2, v32
	v_cmp_eq_u32_e64 s[8:9], 3, v32
	;; [unrolled: 1-line block ×12, first 2 shown]
	v_cndmask_b32_e32 v32, v2, v4, vcc
	v_cndmask_b32_e64 v33, v33, v7, s[6:7]
	v_cndmask_b32_e64 v32, v32, v6, s[6:7]
	;; [unrolled: 1-line block ×16, first 2 shown]
	ds_read_b64 v[34:35], v92 offset:32
	v_cndmask_b32_e64 v33, v33, v23, s[22:23]
	v_cndmask_b32_e64 v32, v32, v22, s[22:23]
	;; [unrolled: 1-line block ×8, first 2 shown]
	s_waitcnt lgkmcnt(0)
	v_fma_f64 v[30:31], v[32:33], v[34:35], v[30:31]
	v_cmp_ne_u32_e32 vcc, 4, v0
	s_and_saveexec_b64 s[42:43], vcc
	s_cbranch_execz .LBB13_281
; %bb.274:
	v_add_u32_e32 v32, 5, v0
	v_cmp_eq_u32_e32 vcc, 1, v32
	v_cndmask_b32_e32 v33, v3, v5, vcc
	v_cmp_eq_u32_e64 s[6:7], 2, v32
	v_cmp_eq_u32_e64 s[8:9], 3, v32
	;; [unrolled: 1-line block ×12, first 2 shown]
	v_cndmask_b32_e32 v32, v2, v4, vcc
	v_cndmask_b32_e64 v33, v33, v7, s[6:7]
	v_cndmask_b32_e64 v32, v32, v6, s[6:7]
	;; [unrolled: 1-line block ×16, first 2 shown]
	ds_read_b64 v[34:35], v92 offset:40
	v_cndmask_b32_e64 v33, v33, v23, s[22:23]
	v_cndmask_b32_e64 v32, v32, v22, s[22:23]
	;; [unrolled: 1-line block ×8, first 2 shown]
	s_waitcnt lgkmcnt(0)
	v_fma_f64 v[30:31], v[32:33], v[34:35], v[30:31]
	s_and_saveexec_b64 s[28:29], s[4:5]
	s_cbranch_execz .LBB13_280
; %bb.275:
	v_add_u32_e32 v32, 6, v0
	v_cmp_eq_u32_e32 vcc, 1, v32
	v_cndmask_b32_e32 v33, v3, v5, vcc
	v_cmp_eq_u32_e64 s[4:5], 2, v32
	v_cmp_eq_u32_e64 s[6:7], 3, v32
	;; [unrolled: 1-line block ×12, first 2 shown]
	v_cndmask_b32_e32 v32, v2, v4, vcc
	v_cndmask_b32_e64 v33, v33, v7, s[4:5]
	v_cndmask_b32_e64 v32, v32, v6, s[4:5]
	;; [unrolled: 1-line block ×16, first 2 shown]
	ds_read_b64 v[34:35], v92 offset:48
	v_cndmask_b32_e64 v33, v33, v23, s[20:21]
	v_cndmask_b32_e64 v32, v32, v22, s[20:21]
	;; [unrolled: 1-line block ×8, first 2 shown]
	s_waitcnt lgkmcnt(0)
	v_fma_f64 v[30:31], v[32:33], v[34:35], v[30:31]
	v_cmp_ne_u32_e32 vcc, 2, v0
	s_and_saveexec_b64 s[44:45], vcc
	s_cbranch_execz .LBB13_279
; %bb.276:
	v_add_u32_e32 v32, 7, v0
	v_cmp_eq_u32_e32 vcc, 1, v32
	v_cndmask_b32_e32 v33, v3, v5, vcc
	v_cmp_eq_u32_e64 s[4:5], 2, v32
	v_cmp_eq_u32_e64 s[6:7], 3, v32
	;; [unrolled: 1-line block ×12, first 2 shown]
	v_cndmask_b32_e32 v32, v2, v4, vcc
	v_cndmask_b32_e64 v33, v33, v7, s[4:5]
	v_cndmask_b32_e64 v32, v32, v6, s[4:5]
	;; [unrolled: 1-line block ×16, first 2 shown]
	ds_read_b64 v[32:33], v92 offset:56
	v_cndmask_b32_e64 v21, v21, v23, s[20:21]
	v_cndmask_b32_e64 v20, v20, v22, s[20:21]
	;; [unrolled: 1-line block ×8, first 2 shown]
	s_waitcnt lgkmcnt(0)
	v_fma_f64 v[30:31], v[20:21], v[32:33], v[30:31]
	s_and_saveexec_b64 s[4:5], s[2:3]
	s_cbranch_execz .LBB13_278
; %bb.277:
	ds_read_b64 v[20:21], v92 offset:64
	s_waitcnt lgkmcnt(0)
	v_fma_f64 v[30:31], v[18:19], v[20:21], v[30:31]
.LBB13_278:
	s_or_b64 exec, exec, s[4:5]
.LBB13_279:
	s_or_b64 exec, exec, s[44:45]
.LBB13_280:
	s_or_b64 exec, exec, s[28:29]
.LBB13_281:
	s_or_b64 exec, exec, s[42:43]
.LBB13_282:
	s_or_b64 exec, exec, s[30:31]
.LBB13_283:
	s_or_b64 exec, exec, s[40:41]
.LBB13_284:
	s_or_b64 exec, exec, s[34:35]
.LBB13_285:
	s_or_b64 exec, exec, s[38:39]
	v_mov_b32_e32 v20, 0
	ds_read_b64 v[20:21], v20 offset:72
	s_waitcnt lgkmcnt(0)
	v_mul_f64 v[20:21], v[30:31], v[20:21]
.LBB13_286:
	s_or_b64 exec, exec, s[36:37]
	v_cmp_gt_u32_e32 vcc, 10, v0
	s_waitcnt vmcnt(4)
	ds_write_b64 v92, v[22:23]
	s_waitcnt lgkmcnt(0)
	; wave barrier
	s_and_saveexec_b64 s[26:27], vcc
	s_cbranch_execz .LBB13_296
; %bb.287:
	s_and_b64 vcc, exec, s[0:1]
	s_cbranch_vccnz .LBB13_289
; %bb.288:
	v_cmp_eq_u32_e32 vcc, 1, v0
	s_waitcnt vmcnt(1)
	v_cndmask_b32_e32 v30, v3, v5, vcc
	v_cmp_eq_u32_e64 s[2:3], 2, v0
	v_cndmask_b32_e64 v30, v30, v7, s[2:3]
	v_cmp_eq_u32_e64 s[4:5], 3, v0
	v_cndmask_b32_e64 v30, v30, v9, s[4:5]
	;; [unrolled: 2-line block ×11, first 2 shown]
	v_cmp_eq_u32_e64 s[24:25], 13, v0
	s_waitcnt vmcnt(0)
	v_cndmask_b32_e64 v31, v30, v29, s[24:25]
	v_cndmask_b32_e32 v30, v2, v4, vcc
	v_cndmask_b32_e64 v30, v30, v6, s[2:3]
	v_cndmask_b32_e64 v30, v30, v8, s[4:5]
	v_cndmask_b32_e64 v30, v30, v10, s[6:7]
	v_cndmask_b32_e64 v30, v30, v12, s[8:9]
	v_cndmask_b32_e64 v30, v30, v14, s[10:11]
	v_cndmask_b32_e64 v30, v30, v16, s[12:13]
	v_cndmask_b32_e64 v30, v30, v18, s[14:15]
	v_cndmask_b32_e64 v30, v30, v20, s[16:17]
	ds_read_b64 v[32:33], v92
	v_cndmask_b32_e64 v30, v30, v22, s[18:19]
	v_cndmask_b32_e64 v30, v30, v24, s[20:21]
	;; [unrolled: 1-line block ×4, first 2 shown]
	s_waitcnt lgkmcnt(0)
	v_mul_f64 v[30:31], v[30:31], v[32:33]
	s_cbranch_execz .LBB13_290
	s_branch .LBB13_291
.LBB13_289:
                                        ; implicit-def: $vgpr30_vgpr31
.LBB13_290:
	ds_read_b64 v[30:31], v92
.LBB13_291:
	v_cmp_ne_u32_e32 vcc, 9, v0
	s_and_saveexec_b64 s[4:5], vcc
	s_cbranch_execz .LBB13_295
; %bb.292:
	v_mov_b32_e32 v32, 0x78
	v_lshl_add_u32 v34, v0, 3, v32
	v_mov_b32_e32 v33, v1
	s_mov_b64 s[6:7], 0
	v_mov_b32_e32 v32, v0
.LBB13_293:                             ; =>This Inner Loop Header: Depth=1
	v_add_co_u32_e32 v32, vcc, 1, v32
	v_addc_co_u32_e32 v33, vcc, 0, v33, vcc
	v_cmp_eq_u32_e32 vcc, 1, v32
	s_waitcnt vmcnt(1)
	v_cndmask_b32_e32 v37, v3, v5, vcc
	v_cmp_eq_u32_e64 s[2:3], 2, v32
	v_cndmask_b32_e64 v37, v37, v7, s[2:3]
	v_cndmask_b32_e32 v38, v2, v4, vcc
	v_cmp_eq_u32_e32 vcc, 3, v32
	v_cndmask_b32_e32 v37, v37, v9, vcc
	v_cndmask_b32_e64 v38, v38, v6, s[2:3]
	v_cmp_eq_u32_e64 s[2:3], 4, v32
	v_cndmask_b32_e64 v37, v37, v11, s[2:3]
	v_cndmask_b32_e32 v38, v38, v8, vcc
	v_cmp_eq_u32_e32 vcc, 5, v32
	v_cndmask_b32_e32 v37, v37, v13, vcc
	v_cndmask_b32_e64 v38, v38, v10, s[2:3]
	;; [unrolled: 6-line block ×4, first 2 shown]
	v_cmp_eq_u32_e64 s[2:3], 10, v32
	ds_read_b64 v[35:36], v34
	v_cndmask_b32_e64 v37, v37, v23, s[2:3]
	v_cndmask_b32_e32 v38, v38, v20, vcc
	v_cmp_eq_u32_e32 vcc, 11, v32
	v_cndmask_b32_e32 v37, v37, v25, vcc
	v_cndmask_b32_e64 v38, v38, v22, s[2:3]
	v_cmp_eq_u32_e64 s[2:3], 12, v32
	v_cndmask_b32_e64 v37, v37, v27, s[2:3]
	v_cndmask_b32_e32 v39, v38, v24, vcc
	v_cmp_eq_u32_e32 vcc, 13, v32
	s_waitcnt vmcnt(0)
	v_cndmask_b32_e32 v38, v37, v29, vcc
	v_cndmask_b32_e64 v37, v39, v26, s[2:3]
	v_cndmask_b32_e32 v37, v37, v28, vcc
	s_waitcnt lgkmcnt(0)
	v_fma_f64 v[30:31], v[37:38], v[35:36], v[30:31]
	v_cmp_lt_u32_e32 vcc, 8, v32
	s_or_b64 s[6:7], vcc, s[6:7]
	v_add_u32_e32 v34, 8, v34
	s_andn2_b64 exec, exec, s[6:7]
	s_cbranch_execnz .LBB13_293
; %bb.294:
	s_or_b64 exec, exec, s[6:7]
.LBB13_295:
	s_or_b64 exec, exec, s[4:5]
	v_mov_b32_e32 v22, 0
	ds_read_b64 v[22:23], v22 offset:80
	s_waitcnt lgkmcnt(0)
	v_mul_f64 v[22:23], v[30:31], v[22:23]
.LBB13_296:
	s_or_b64 exec, exec, s[26:27]
	v_cmp_gt_u32_e32 vcc, 11, v0
	s_waitcnt vmcnt(3)
	ds_write_b64 v92, v[24:25]
	s_waitcnt lgkmcnt(0)
	; wave barrier
	s_and_saveexec_b64 s[26:27], vcc
	s_cbranch_execz .LBB13_306
; %bb.297:
	s_and_b64 vcc, exec, s[0:1]
	s_cbranch_vccnz .LBB13_299
; %bb.298:
	v_cmp_eq_u32_e32 vcc, 1, v0
	s_waitcnt vmcnt(1)
	v_cndmask_b32_e32 v30, v3, v5, vcc
	v_cmp_eq_u32_e64 s[2:3], 2, v0
	v_cndmask_b32_e64 v30, v30, v7, s[2:3]
	v_cmp_eq_u32_e64 s[4:5], 3, v0
	v_cndmask_b32_e64 v30, v30, v9, s[4:5]
	v_cmp_eq_u32_e64 s[6:7], 4, v0
	v_cndmask_b32_e64 v30, v30, v11, s[6:7]
	v_cmp_eq_u32_e64 s[8:9], 5, v0
	v_cndmask_b32_e64 v30, v30, v13, s[8:9]
	v_cmp_eq_u32_e64 s[10:11], 6, v0
	v_cndmask_b32_e64 v30, v30, v15, s[10:11]
	v_cmp_eq_u32_e64 s[12:13], 7, v0
	v_cndmask_b32_e64 v30, v30, v17, s[12:13]
	v_cmp_eq_u32_e64 s[14:15], 8, v0
	v_cndmask_b32_e64 v30, v30, v19, s[14:15]
	v_cmp_eq_u32_e64 s[16:17], 9, v0
	v_cndmask_b32_e64 v30, v30, v21, s[16:17]
	v_cmp_eq_u32_e64 s[18:19], 10, v0
	v_cndmask_b32_e64 v30, v30, v23, s[18:19]
	v_cmp_eq_u32_e64 s[20:21], 11, v0
	v_cndmask_b32_e64 v30, v30, v25, s[20:21]
	v_cmp_eq_u32_e64 s[22:23], 12, v0
	v_cndmask_b32_e64 v30, v30, v27, s[22:23]
	v_cmp_eq_u32_e64 s[24:25], 13, v0
	s_waitcnt vmcnt(0)
	v_cndmask_b32_e64 v31, v30, v29, s[24:25]
	v_cndmask_b32_e32 v30, v2, v4, vcc
	v_cndmask_b32_e64 v30, v30, v6, s[2:3]
	v_cndmask_b32_e64 v30, v30, v8, s[4:5]
	;; [unrolled: 1-line block ×8, first 2 shown]
	ds_read_b64 v[32:33], v92
	v_cndmask_b32_e64 v30, v30, v22, s[18:19]
	v_cndmask_b32_e64 v30, v30, v24, s[20:21]
	;; [unrolled: 1-line block ×4, first 2 shown]
	s_waitcnt lgkmcnt(0)
	v_mul_f64 v[30:31], v[30:31], v[32:33]
	s_cbranch_execz .LBB13_300
	s_branch .LBB13_301
.LBB13_299:
                                        ; implicit-def: $vgpr30_vgpr31
.LBB13_300:
	ds_read_b64 v[30:31], v92
.LBB13_301:
	v_cmp_ne_u32_e32 vcc, 10, v0
	s_and_saveexec_b64 s[4:5], vcc
	s_cbranch_execz .LBB13_305
; %bb.302:
	v_mov_b32_e32 v32, 0x78
	v_lshl_add_u32 v34, v0, 3, v32
	v_mov_b32_e32 v33, v1
	s_mov_b64 s[6:7], 0
	v_mov_b32_e32 v32, v0
.LBB13_303:                             ; =>This Inner Loop Header: Depth=1
	v_add_co_u32_e32 v32, vcc, 1, v32
	v_addc_co_u32_e32 v33, vcc, 0, v33, vcc
	v_cmp_eq_u32_e32 vcc, 1, v32
	s_waitcnt vmcnt(1)
	v_cndmask_b32_e32 v37, v3, v5, vcc
	v_cmp_eq_u32_e64 s[2:3], 2, v32
	v_cndmask_b32_e64 v37, v37, v7, s[2:3]
	v_cndmask_b32_e32 v38, v2, v4, vcc
	v_cmp_eq_u32_e32 vcc, 3, v32
	v_cndmask_b32_e32 v37, v37, v9, vcc
	v_cndmask_b32_e64 v38, v38, v6, s[2:3]
	v_cmp_eq_u32_e64 s[2:3], 4, v32
	v_cndmask_b32_e64 v37, v37, v11, s[2:3]
	v_cndmask_b32_e32 v38, v38, v8, vcc
	v_cmp_eq_u32_e32 vcc, 5, v32
	v_cndmask_b32_e32 v37, v37, v13, vcc
	v_cndmask_b32_e64 v38, v38, v10, s[2:3]
	;; [unrolled: 6-line block ×4, first 2 shown]
	v_cmp_eq_u32_e64 s[2:3], 10, v32
	ds_read_b64 v[35:36], v34
	v_cndmask_b32_e64 v37, v37, v23, s[2:3]
	v_cndmask_b32_e32 v38, v38, v20, vcc
	v_cmp_eq_u32_e32 vcc, 11, v32
	v_cndmask_b32_e32 v37, v37, v25, vcc
	v_cndmask_b32_e64 v38, v38, v22, s[2:3]
	v_cmp_eq_u32_e64 s[2:3], 12, v32
	v_cndmask_b32_e64 v37, v37, v27, s[2:3]
	v_cndmask_b32_e32 v39, v38, v24, vcc
	v_cmp_eq_u32_e32 vcc, 13, v32
	s_waitcnt vmcnt(0)
	v_cndmask_b32_e32 v38, v37, v29, vcc
	v_cndmask_b32_e64 v37, v39, v26, s[2:3]
	v_cndmask_b32_e32 v37, v37, v28, vcc
	s_waitcnt lgkmcnt(0)
	v_fma_f64 v[30:31], v[37:38], v[35:36], v[30:31]
	v_cmp_lt_u32_e32 vcc, 9, v32
	s_or_b64 s[6:7], vcc, s[6:7]
	v_add_u32_e32 v34, 8, v34
	s_andn2_b64 exec, exec, s[6:7]
	s_cbranch_execnz .LBB13_303
; %bb.304:
	s_or_b64 exec, exec, s[6:7]
.LBB13_305:
	s_or_b64 exec, exec, s[4:5]
	v_mov_b32_e32 v24, 0
	ds_read_b64 v[24:25], v24 offset:88
	s_waitcnt lgkmcnt(0)
	v_mul_f64 v[24:25], v[30:31], v[24:25]
.LBB13_306:
	s_or_b64 exec, exec, s[26:27]
	v_cmp_gt_u32_e64 s[2:3], 12, v0
	s_waitcnt vmcnt(2)
	ds_write_b64 v92, v[26:27]
	s_waitcnt lgkmcnt(0)
	; wave barrier
	s_and_saveexec_b64 s[28:29], s[2:3]
	s_cbranch_execz .LBB13_316
; %bb.307:
	s_and_b64 vcc, exec, s[0:1]
	s_cbranch_vccnz .LBB13_309
; %bb.308:
	v_cmp_eq_u32_e32 vcc, 1, v0
	s_waitcnt vmcnt(1)
	v_cndmask_b32_e32 v30, v3, v5, vcc
	v_cmp_eq_u32_e64 s[4:5], 2, v0
	v_cndmask_b32_e64 v30, v30, v7, s[4:5]
	v_cmp_eq_u32_e64 s[6:7], 3, v0
	v_cndmask_b32_e64 v30, v30, v9, s[6:7]
	v_cmp_eq_u32_e64 s[8:9], 4, v0
	v_cndmask_b32_e64 v30, v30, v11, s[8:9]
	v_cmp_eq_u32_e64 s[10:11], 5, v0
	v_cndmask_b32_e64 v30, v30, v13, s[10:11]
	v_cmp_eq_u32_e64 s[12:13], 6, v0
	v_cndmask_b32_e64 v30, v30, v15, s[12:13]
	v_cmp_eq_u32_e64 s[14:15], 7, v0
	v_cndmask_b32_e64 v30, v30, v17, s[14:15]
	v_cmp_eq_u32_e64 s[16:17], 8, v0
	v_cndmask_b32_e64 v30, v30, v19, s[16:17]
	v_cmp_eq_u32_e64 s[18:19], 9, v0
	v_cndmask_b32_e64 v30, v30, v21, s[18:19]
	v_cmp_eq_u32_e64 s[20:21], 10, v0
	v_cndmask_b32_e64 v30, v30, v23, s[20:21]
	v_cmp_eq_u32_e64 s[22:23], 11, v0
	v_cndmask_b32_e64 v30, v30, v25, s[22:23]
	v_cmp_eq_u32_e64 s[24:25], 12, v0
	v_cndmask_b32_e64 v30, v30, v27, s[24:25]
	v_cmp_eq_u32_e64 s[26:27], 13, v0
	s_waitcnt vmcnt(0)
	v_cndmask_b32_e64 v31, v30, v29, s[26:27]
	v_cndmask_b32_e32 v30, v2, v4, vcc
	v_cndmask_b32_e64 v30, v30, v6, s[4:5]
	v_cndmask_b32_e64 v30, v30, v8, s[6:7]
	;; [unrolled: 1-line block ×8, first 2 shown]
	ds_read_b64 v[32:33], v92
	v_cndmask_b32_e64 v30, v30, v22, s[20:21]
	v_cndmask_b32_e64 v30, v30, v24, s[22:23]
	;; [unrolled: 1-line block ×4, first 2 shown]
	s_waitcnt lgkmcnt(0)
	v_mul_f64 v[30:31], v[30:31], v[32:33]
	s_cbranch_execz .LBB13_310
	s_branch .LBB13_311
.LBB13_309:
                                        ; implicit-def: $vgpr30_vgpr31
.LBB13_310:
	ds_read_b64 v[30:31], v92
.LBB13_311:
	v_cmp_ne_u32_e32 vcc, 11, v0
	s_and_saveexec_b64 s[6:7], vcc
	s_cbranch_execz .LBB13_315
; %bb.312:
	v_mov_b32_e32 v32, 0x78
	v_lshl_add_u32 v34, v0, 3, v32
	v_mov_b32_e32 v33, v1
	s_mov_b64 s[8:9], 0
	v_mov_b32_e32 v32, v0
.LBB13_313:                             ; =>This Inner Loop Header: Depth=1
	v_add_co_u32_e32 v32, vcc, 1, v32
	v_addc_co_u32_e32 v33, vcc, 0, v33, vcc
	v_cmp_eq_u32_e32 vcc, 1, v32
	s_waitcnt vmcnt(1)
	v_cndmask_b32_e32 v37, v3, v5, vcc
	v_cmp_eq_u32_e64 s[4:5], 2, v32
	v_cndmask_b32_e64 v37, v37, v7, s[4:5]
	v_cndmask_b32_e32 v38, v2, v4, vcc
	v_cmp_eq_u32_e32 vcc, 3, v32
	v_cndmask_b32_e32 v37, v37, v9, vcc
	v_cndmask_b32_e64 v38, v38, v6, s[4:5]
	v_cmp_eq_u32_e64 s[4:5], 4, v32
	v_cndmask_b32_e64 v37, v37, v11, s[4:5]
	v_cndmask_b32_e32 v38, v38, v8, vcc
	v_cmp_eq_u32_e32 vcc, 5, v32
	v_cndmask_b32_e32 v37, v37, v13, vcc
	v_cndmask_b32_e64 v38, v38, v10, s[4:5]
	;; [unrolled: 6-line block ×4, first 2 shown]
	v_cmp_eq_u32_e64 s[4:5], 10, v32
	ds_read_b64 v[35:36], v34
	v_cndmask_b32_e64 v37, v37, v23, s[4:5]
	v_cndmask_b32_e32 v38, v38, v20, vcc
	v_cmp_eq_u32_e32 vcc, 11, v32
	v_cndmask_b32_e32 v37, v37, v25, vcc
	v_cndmask_b32_e64 v38, v38, v22, s[4:5]
	v_cmp_eq_u32_e64 s[4:5], 12, v32
	v_cndmask_b32_e64 v37, v37, v27, s[4:5]
	v_cndmask_b32_e32 v39, v38, v24, vcc
	v_cmp_eq_u32_e32 vcc, 13, v32
	s_waitcnt vmcnt(0)
	v_cndmask_b32_e32 v38, v37, v29, vcc
	v_cndmask_b32_e64 v37, v39, v26, s[4:5]
	v_cndmask_b32_e32 v37, v37, v28, vcc
	s_waitcnt lgkmcnt(0)
	v_fma_f64 v[30:31], v[37:38], v[35:36], v[30:31]
	v_cmp_lt_u32_e32 vcc, 10, v32
	s_or_b64 s[8:9], vcc, s[8:9]
	v_add_u32_e32 v34, 8, v34
	s_andn2_b64 exec, exec, s[8:9]
	s_cbranch_execnz .LBB13_313
; %bb.314:
	s_or_b64 exec, exec, s[8:9]
.LBB13_315:
	s_or_b64 exec, exec, s[6:7]
	v_mov_b32_e32 v26, 0
	ds_read_b64 v[26:27], v26 offset:96
	s_waitcnt lgkmcnt(0)
	v_mul_f64 v[26:27], v[30:31], v[26:27]
.LBB13_316:
	s_or_b64 exec, exec, s[28:29]
	v_cmp_ne_u32_e32 vcc, 13, v0
	s_waitcnt vmcnt(0)
	ds_write_b64 v92, v[28:29]
	s_waitcnt lgkmcnt(0)
	; wave barrier
	s_and_saveexec_b64 s[26:27], vcc
	s_cbranch_execz .LBB13_326
; %bb.317:
	s_and_b64 vcc, exec, s[0:1]
	s_cbranch_vccnz .LBB13_319
; %bb.318:
	v_cmp_eq_u32_e32 vcc, 1, v0
	v_cndmask_b32_e32 v30, v3, v5, vcc
	v_cmp_eq_u32_e64 s[0:1], 2, v0
	v_cndmask_b32_e64 v30, v30, v7, s[0:1]
	v_cmp_eq_u32_e64 s[4:5], 3, v0
	v_cndmask_b32_e64 v30, v30, v9, s[4:5]
	;; [unrolled: 2-line block ×12, first 2 shown]
	v_cndmask_b32_e32 v30, v2, v4, vcc
	v_cndmask_b32_e64 v30, v30, v6, s[0:1]
	v_cndmask_b32_e64 v30, v30, v8, s[4:5]
	;; [unrolled: 1-line block ×8, first 2 shown]
	ds_read_b64 v[32:33], v92
	v_cndmask_b32_e64 v30, v30, v22, s[18:19]
	v_cndmask_b32_e64 v30, v30, v24, s[20:21]
	;; [unrolled: 1-line block ×4, first 2 shown]
	s_waitcnt lgkmcnt(0)
	v_mul_f64 v[30:31], v[30:31], v[32:33]
	s_cbranch_execz .LBB13_320
	s_branch .LBB13_321
.LBB13_319:
                                        ; implicit-def: $vgpr30_vgpr31
.LBB13_320:
	ds_read_b64 v[30:31], v92
.LBB13_321:
	s_and_saveexec_b64 s[4:5], s[2:3]
	s_cbranch_execz .LBB13_325
; %bb.322:
	v_mov_b32_e32 v32, 0x78
	v_lshl_add_u32 v32, v0, 3, v32
	s_mov_b64 s[2:3], 0
.LBB13_323:                             ; =>This Inner Loop Header: Depth=1
	v_add_co_u32_e32 v0, vcc, 1, v0
	v_addc_co_u32_e32 v1, vcc, 0, v1, vcc
	v_cmp_eq_u32_e32 vcc, 1, v0
	v_cndmask_b32_e32 v35, v3, v5, vcc
	v_cmp_eq_u32_e64 s[0:1], 2, v0
	v_cndmask_b32_e64 v35, v35, v7, s[0:1]
	v_cndmask_b32_e32 v36, v2, v4, vcc
	v_cmp_eq_u32_e32 vcc, 3, v0
	v_cndmask_b32_e32 v35, v35, v9, vcc
	v_cndmask_b32_e64 v36, v36, v6, s[0:1]
	v_cmp_eq_u32_e64 s[0:1], 4, v0
	v_cndmask_b32_e64 v35, v35, v11, s[0:1]
	v_cndmask_b32_e32 v36, v36, v8, vcc
	v_cmp_eq_u32_e32 vcc, 5, v0
	v_cndmask_b32_e32 v35, v35, v13, vcc
	v_cndmask_b32_e64 v36, v36, v10, s[0:1]
	;; [unrolled: 6-line block ×4, first 2 shown]
	v_cmp_eq_u32_e64 s[0:1], 10, v0
	ds_read_b64 v[33:34], v32
	v_cndmask_b32_e64 v35, v35, v23, s[0:1]
	v_cndmask_b32_e32 v36, v36, v20, vcc
	v_cmp_eq_u32_e32 vcc, 11, v0
	v_cndmask_b32_e32 v35, v35, v25, vcc
	v_cndmask_b32_e64 v36, v36, v22, s[0:1]
	v_cmp_eq_u32_e64 s[0:1], 12, v0
	v_cndmask_b32_e64 v35, v35, v27, s[0:1]
	v_cndmask_b32_e32 v37, v36, v24, vcc
	v_cmp_eq_u32_e32 vcc, 13, v0
	v_cndmask_b32_e32 v36, v35, v29, vcc
	v_cndmask_b32_e64 v35, v37, v26, s[0:1]
	v_cndmask_b32_e32 v35, v35, v28, vcc
	s_waitcnt lgkmcnt(0)
	v_fma_f64 v[30:31], v[35:36], v[33:34], v[30:31]
	v_cmp_lt_u32_e32 vcc, 11, v0
	s_or_b64 s[2:3], vcc, s[2:3]
	v_add_u32_e32 v32, 8, v32
	s_andn2_b64 exec, exec, s[2:3]
	s_cbranch_execnz .LBB13_323
; %bb.324:
	s_or_b64 exec, exec, s[2:3]
.LBB13_325:
	s_or_b64 exec, exec, s[4:5]
	v_mov_b32_e32 v0, 0
	ds_read_b64 v[0:1], v0 offset:104
	s_waitcnt lgkmcnt(0)
	v_mul_f64 v[28:29], v[30:31], v[0:1]
.LBB13_326:
	s_or_b64 exec, exec, s[26:27]
	v_mov_b32_e32 v61, v33
	v_mov_b32_e32 v60, v32
	;; [unrolled: 1-line block ×32, first 2 shown]
.LBB13_327:
	global_store_dwordx2 v[86:87], v[30:31], off
	global_store_dwordx2 v[88:89], v[32:33], off
	;; [unrolled: 1-line block ×14, first 2 shown]
.LBB13_328:
	s_endpgm
	.section	.rodata,"a",@progbits
	.p2align	6, 0x0
	.amdhsa_kernel _ZN9rocsolver6v33100L18trti2_kernel_smallILi14EdPdEEv13rocblas_fill_17rocblas_diagonal_T1_iil
		.amdhsa_group_segment_fixed_size 224
		.amdhsa_private_segment_fixed_size 0
		.amdhsa_kernarg_size 32
		.amdhsa_user_sgpr_count 6
		.amdhsa_user_sgpr_private_segment_buffer 1
		.amdhsa_user_sgpr_dispatch_ptr 0
		.amdhsa_user_sgpr_queue_ptr 0
		.amdhsa_user_sgpr_kernarg_segment_ptr 1
		.amdhsa_user_sgpr_dispatch_id 0
		.amdhsa_user_sgpr_flat_scratch_init 0
		.amdhsa_user_sgpr_private_segment_size 0
		.amdhsa_uses_dynamic_stack 0
		.amdhsa_system_sgpr_private_segment_wavefront_offset 0
		.amdhsa_system_sgpr_workgroup_id_x 1
		.amdhsa_system_sgpr_workgroup_id_y 0
		.amdhsa_system_sgpr_workgroup_id_z 0
		.amdhsa_system_sgpr_workgroup_info 0
		.amdhsa_system_vgpr_workitem_id 0
		.amdhsa_next_free_vgpr 112
		.amdhsa_next_free_sgpr 46
		.amdhsa_reserve_vcc 1
		.amdhsa_reserve_flat_scratch 0
		.amdhsa_float_round_mode_32 0
		.amdhsa_float_round_mode_16_64 0
		.amdhsa_float_denorm_mode_32 3
		.amdhsa_float_denorm_mode_16_64 3
		.amdhsa_dx10_clamp 1
		.amdhsa_ieee_mode 1
		.amdhsa_fp16_overflow 0
		.amdhsa_exception_fp_ieee_invalid_op 0
		.amdhsa_exception_fp_denorm_src 0
		.amdhsa_exception_fp_ieee_div_zero 0
		.amdhsa_exception_fp_ieee_overflow 0
		.amdhsa_exception_fp_ieee_underflow 0
		.amdhsa_exception_fp_ieee_inexact 0
		.amdhsa_exception_int_div_zero 0
	.end_amdhsa_kernel
	.section	.text._ZN9rocsolver6v33100L18trti2_kernel_smallILi14EdPdEEv13rocblas_fill_17rocblas_diagonal_T1_iil,"axG",@progbits,_ZN9rocsolver6v33100L18trti2_kernel_smallILi14EdPdEEv13rocblas_fill_17rocblas_diagonal_T1_iil,comdat
.Lfunc_end13:
	.size	_ZN9rocsolver6v33100L18trti2_kernel_smallILi14EdPdEEv13rocblas_fill_17rocblas_diagonal_T1_iil, .Lfunc_end13-_ZN9rocsolver6v33100L18trti2_kernel_smallILi14EdPdEEv13rocblas_fill_17rocblas_diagonal_T1_iil
                                        ; -- End function
	.set _ZN9rocsolver6v33100L18trti2_kernel_smallILi14EdPdEEv13rocblas_fill_17rocblas_diagonal_T1_iil.num_vgpr, 112
	.set _ZN9rocsolver6v33100L18trti2_kernel_smallILi14EdPdEEv13rocblas_fill_17rocblas_diagonal_T1_iil.num_agpr, 0
	.set _ZN9rocsolver6v33100L18trti2_kernel_smallILi14EdPdEEv13rocblas_fill_17rocblas_diagonal_T1_iil.numbered_sgpr, 46
	.set _ZN9rocsolver6v33100L18trti2_kernel_smallILi14EdPdEEv13rocblas_fill_17rocblas_diagonal_T1_iil.num_named_barrier, 0
	.set _ZN9rocsolver6v33100L18trti2_kernel_smallILi14EdPdEEv13rocblas_fill_17rocblas_diagonal_T1_iil.private_seg_size, 0
	.set _ZN9rocsolver6v33100L18trti2_kernel_smallILi14EdPdEEv13rocblas_fill_17rocblas_diagonal_T1_iil.uses_vcc, 1
	.set _ZN9rocsolver6v33100L18trti2_kernel_smallILi14EdPdEEv13rocblas_fill_17rocblas_diagonal_T1_iil.uses_flat_scratch, 0
	.set _ZN9rocsolver6v33100L18trti2_kernel_smallILi14EdPdEEv13rocblas_fill_17rocblas_diagonal_T1_iil.has_dyn_sized_stack, 0
	.set _ZN9rocsolver6v33100L18trti2_kernel_smallILi14EdPdEEv13rocblas_fill_17rocblas_diagonal_T1_iil.has_recursion, 0
	.set _ZN9rocsolver6v33100L18trti2_kernel_smallILi14EdPdEEv13rocblas_fill_17rocblas_diagonal_T1_iil.has_indirect_call, 0
	.section	.AMDGPU.csdata,"",@progbits
; Kernel info:
; codeLenInByte = 26760
; TotalNumSgprs: 50
; NumVgprs: 112
; ScratchSize: 0
; MemoryBound: 0
; FloatMode: 240
; IeeeMode: 1
; LDSByteSize: 224 bytes/workgroup (compile time only)
; SGPRBlocks: 6
; VGPRBlocks: 27
; NumSGPRsForWavesPerEU: 50
; NumVGPRsForWavesPerEU: 112
; Occupancy: 2
; WaveLimiterHint : 0
; COMPUTE_PGM_RSRC2:SCRATCH_EN: 0
; COMPUTE_PGM_RSRC2:USER_SGPR: 6
; COMPUTE_PGM_RSRC2:TRAP_HANDLER: 0
; COMPUTE_PGM_RSRC2:TGID_X_EN: 1
; COMPUTE_PGM_RSRC2:TGID_Y_EN: 0
; COMPUTE_PGM_RSRC2:TGID_Z_EN: 0
; COMPUTE_PGM_RSRC2:TIDIG_COMP_CNT: 0
	.section	.text._ZN9rocsolver6v33100L18trti2_kernel_smallILi15EdPdEEv13rocblas_fill_17rocblas_diagonal_T1_iil,"axG",@progbits,_ZN9rocsolver6v33100L18trti2_kernel_smallILi15EdPdEEv13rocblas_fill_17rocblas_diagonal_T1_iil,comdat
	.globl	_ZN9rocsolver6v33100L18trti2_kernel_smallILi15EdPdEEv13rocblas_fill_17rocblas_diagonal_T1_iil ; -- Begin function _ZN9rocsolver6v33100L18trti2_kernel_smallILi15EdPdEEv13rocblas_fill_17rocblas_diagonal_T1_iil
	.p2align	8
	.type	_ZN9rocsolver6v33100L18trti2_kernel_smallILi15EdPdEEv13rocblas_fill_17rocblas_diagonal_T1_iil,@function
_ZN9rocsolver6v33100L18trti2_kernel_smallILi15EdPdEEv13rocblas_fill_17rocblas_diagonal_T1_iil: ; @_ZN9rocsolver6v33100L18trti2_kernel_smallILi15EdPdEEv13rocblas_fill_17rocblas_diagonal_T1_iil
; %bb.0:
	v_cmp_gt_u32_e32 vcc, 15, v0
	s_and_saveexec_b64 s[0:1], vcc
	s_cbranch_execz .LBB14_354
; %bb.1:
	s_load_dwordx8 s[36:43], s[4:5], 0x0
	s_ashr_i32 s2, s6, 31
	v_lshlrev_b32_e32 v34, 3, v0
	v_mov_b32_e32 v32, 0
	v_mov_b32_e32 v33, 0xbff00000
	s_waitcnt lgkmcnt(0)
	s_mul_hi_u32 s3, s42, s6
	s_mul_i32 s2, s42, s2
	s_add_i32 s2, s3, s2
	s_mul_i32 s3, s43, s6
	s_add_i32 s3, s2, s3
	s_mul_i32 s2, s42, s6
	s_ashr_i32 s1, s40, 31
	s_lshl_b64 s[2:3], s[2:3], 3
	s_mov_b32 s0, s40
	s_add_u32 s2, s38, s2
	s_addc_u32 s3, s39, s3
	s_lshl_b64 s[0:1], s[0:1], 3
	s_add_u32 s0, s2, s0
	s_addc_u32 s1, s3, s1
	s_add_i32 s2, s41, s41
	v_add_u32_e32 v1, s2, v0
	v_ashrrev_i32_e32 v2, 31, v1
	v_lshlrev_b64 v[2:3], 3, v[1:2]
	v_add_u32_e32 v1, s41, v1
	v_mov_b32_e32 v4, s1
	v_add_co_u32_e32 v64, vcc, s0, v2
	v_ashrrev_i32_e32 v2, 31, v1
	v_addc_co_u32_e32 v65, vcc, v4, v3, vcc
	v_lshlrev_b64 v[2:3], 3, v[1:2]
	v_add_u32_e32 v1, s41, v1
	v_add_co_u32_e32 v66, vcc, s0, v2
	v_ashrrev_i32_e32 v2, 31, v1
	v_addc_co_u32_e32 v67, vcc, v4, v3, vcc
	v_lshlrev_b64 v[2:3], 3, v[1:2]
	v_add_u32_e32 v1, s41, v1
	;; [unrolled: 5-line block ×11, first 2 shown]
	v_add_co_u32_e32 v86, vcc, s0, v2
	v_ashrrev_i32_e32 v2, 31, v1
	v_lshlrev_b64 v[1:2], 3, v[1:2]
	v_addc_co_u32_e32 v87, vcc, v4, v3, vcc
	v_mov_b32_e32 v3, s1
	v_add_co_u32_e32 v88, vcc, s0, v1
	v_addc_co_u32_e32 v89, vcc, v3, v2, vcc
	v_mov_b32_e32 v1, s1
	v_add_co_u32_e32 v90, vcc, s0, v34
	s_ashr_i32 s3, s41, 31
	s_mov_b32 s2, s41
	v_addc_co_u32_e32 v91, vcc, 0, v1, vcc
	s_lshl_b64 s[2:3], s[2:3], 3
	v_mov_b32_e32 v1, s3
	v_add_co_u32_e32 v92, vcc, s2, v90
	v_addc_co_u32_e32 v93, vcc, v91, v1, vcc
	global_load_dwordx2 v[4:5], v[92:93], off
	global_load_dwordx2 v[6:7], v[64:65], off
	;; [unrolled: 1-line block ×12, first 2 shown]
	global_load_dwordx2 v[2:3], v34, s[0:1]
	global_load_dwordx2 v[28:29], v[86:87], off
	global_load_dwordx2 v[30:31], v[88:89], off
	s_cmpk_lg_i32 s37, 0x84
	s_cselect_b64 s[30:31], -1, 0
	s_cmpk_eq_i32 s37, 0x84
	v_mov_b32_e32 v1, 0
	s_cbranch_scc1 .LBB14_3
; %bb.2:
	v_cmp_eq_u32_e64 s[0:1], 1, v0
	s_waitcnt vmcnt(2)
	v_cndmask_b32_e64 v32, v3, v5, s[0:1]
	v_cmp_eq_u32_e64 s[2:3], 2, v0
	v_cndmask_b32_e64 v32, v32, v7, s[2:3]
	v_cmp_eq_u32_e64 s[4:5], 3, v0
	;; [unrolled: 2-line block ×12, first 2 shown]
	s_waitcnt vmcnt(1)
	v_cndmask_b32_e64 v32, v32, v29, s[24:25]
	v_cmp_eq_u32_e64 s[26:27], 14, v0
	s_waitcnt vmcnt(0)
	v_cndmask_b32_e64 v33, v32, v31, s[26:27]
	v_cndmask_b32_e64 v32, v2, v4, s[0:1]
	;; [unrolled: 1-line block ×15, first 2 shown]
	v_div_scale_f64 v[35:36], s[28:29], v[32:33], v[32:33], 1.0
	v_rcp_f64_e32 v[37:38], v[35:36]
	v_fma_f64 v[39:40], -v[35:36], v[37:38], 1.0
	v_fma_f64 v[37:38], v[37:38], v[39:40], v[37:38]
	v_div_scale_f64 v[39:40], vcc, 1.0, v[32:33], 1.0
	v_fma_f64 v[41:42], -v[35:36], v[37:38], 1.0
	v_fma_f64 v[37:38], v[37:38], v[41:42], v[37:38]
	v_mul_f64 v[41:42], v[39:40], v[37:38]
	v_fma_f64 v[35:36], -v[35:36], v[41:42], v[39:40]
	v_div_fmas_f64 v[35:36], v[35:36], v[37:38], v[41:42]
	v_cmp_eq_u32_e32 vcc, 0, v0
	v_div_fixup_f64 v[32:33], v[35:36], v[32:33], 1.0
	v_cndmask_b32_e64 v31, v31, v33, s[26:27]
	v_cndmask_b32_e64 v30, v30, v32, s[26:27]
	;; [unrolled: 1-line block ×28, first 2 shown]
	v_cndmask_b32_e32 v3, v3, v33, vcc
	v_cndmask_b32_e32 v2, v2, v32, vcc
	v_xor_b32_e32 v33, 0x80000000, v33
.LBB14_3:
	s_cmpk_eq_i32 s36, 0x79
	v_add_u32_e32 v96, 0x80, v34
	ds_write_b64 v34, v[32:33]
	s_cbranch_scc1 .LBB14_7
; %bb.4:
	s_waitcnt vmcnt(0)
	v_mov_b32_e32 v63, v33
	v_mov_b32_e32 v62, v32
	;; [unrolled: 1-line block ×32, first 2 shown]
	v_cmp_eq_u32_e64 s[2:3], 14, v0
	ds_write_b64 v96, v[28:29]
	s_waitcnt lgkmcnt(0)
	; wave barrier
	s_and_saveexec_b64 s[28:29], s[2:3]
	s_cbranch_execz .LBB14_11
; %bb.5:
	s_and_b64 vcc, exec, s[30:31]
	s_cbranch_vccz .LBB14_8
; %bb.6:
	v_cmp_eq_u32_e32 vcc, 1, v0
	v_cndmask_b32_e32 v32, v3, v5, vcc
	v_cmp_eq_u32_e64 s[0:1], 2, v0
	v_cndmask_b32_e64 v32, v32, v7, s[0:1]
	v_cmp_eq_u32_e64 s[4:5], 3, v0
	v_cndmask_b32_e64 v32, v32, v9, s[4:5]
	;; [unrolled: 2-line block ×13, first 2 shown]
	v_cndmask_b32_e32 v32, v2, v4, vcc
	v_cndmask_b32_e64 v32, v32, v6, s[0:1]
	v_cndmask_b32_e64 v32, v32, v8, s[4:5]
	;; [unrolled: 1-line block ×9, first 2 shown]
	ds_read_b64 v[34:35], v96
	v_cndmask_b32_e64 v32, v32, v24, s[20:21]
	v_cndmask_b32_e64 v32, v32, v26, s[22:23]
	;; [unrolled: 1-line block ×4, first 2 shown]
	s_waitcnt lgkmcnt(0)
	v_mul_f64 v[36:37], v[32:33], v[34:35]
	s_cbranch_execz .LBB14_9
	s_branch .LBB14_10
.LBB14_7:
                                        ; implicit-def: $vgpr32_vgpr33_vgpr34_vgpr35_vgpr36_vgpr37_vgpr38_vgpr39_vgpr40_vgpr41_vgpr42_vgpr43_vgpr44_vgpr45_vgpr46_vgpr47_vgpr48_vgpr49_vgpr50_vgpr51_vgpr52_vgpr53_vgpr54_vgpr55_vgpr56_vgpr57_vgpr58_vgpr59_vgpr60_vgpr61_vgpr62_vgpr63
	s_cbranch_execnz .LBB14_210
	s_branch .LBB14_353
.LBB14_8:
                                        ; implicit-def: $vgpr36_vgpr37
.LBB14_9:
	ds_read_b64 v[36:37], v96
.LBB14_10:
	v_mov_b32_e32 v32, 0
	ds_read_b64 v[38:39], v32 offset:104
	v_mov_b32_e32 v32, v2
	v_mov_b32_e32 v33, v3
	;; [unrolled: 1-line block ×4, first 2 shown]
	s_waitcnt lgkmcnt(0)
	v_mul_f64 v[58:59], v[36:37], v[38:39]
	v_mov_b32_e32 v36, v6
	v_mov_b32_e32 v37, v7
	;; [unrolled: 1-line block ×24, first 2 shown]
.LBB14_11:
	s_or_b64 exec, exec, s[28:29]
	v_cmp_lt_u32_e64 s[0:1], 12, v0
	ds_write_b64 v96, v[56:57]
	s_waitcnt lgkmcnt(0)
	; wave barrier
	s_and_saveexec_b64 s[34:35], s[0:1]
	s_cbranch_execz .LBB14_17
; %bb.12:
	s_andn2_b64 vcc, exec, s[30:31]
	s_cbranch_vccnz .LBB14_14
; %bb.13:
	v_cmp_eq_u32_e32 vcc, 1, v0
	v_cndmask_b32_e32 v62, v33, v35, vcc
	v_cmp_eq_u32_e64 s[4:5], 2, v0
	v_cndmask_b32_e64 v62, v62, v37, s[4:5]
	v_cmp_eq_u32_e64 s[6:7], 3, v0
	v_cndmask_b32_e64 v62, v62, v39, s[6:7]
	;; [unrolled: 2-line block ×11, first 2 shown]
	v_cndmask_b32_e32 v62, v32, v34, vcc
	v_cndmask_b32_e64 v62, v62, v36, s[4:5]
	v_cndmask_b32_e64 v62, v62, v38, s[6:7]
	v_cndmask_b32_e64 v62, v62, v40, s[8:9]
	v_cndmask_b32_e64 v62, v62, v42, s[10:11]
	v_cndmask_b32_e64 v62, v62, v44, s[12:13]
	v_cndmask_b32_e64 v62, v62, v46, s[14:15]
	v_cndmask_b32_e64 v62, v62, v48, s[16:17]
	v_cndmask_b32_e64 v62, v62, v50, s[18:19]
	v_cndmask_b32_e64 v94, v62, v52, s[20:21]
	ds_read_b64 v[62:63], v96
	v_cndmask_b32_e64 v94, v94, v54, s[22:23]
	v_cmp_eq_u32_e64 s[26:27], 13, v0
	v_cndmask_b32_e64 v56, v94, v56, s[24:25]
	v_cndmask_b32_e64 v57, v57, v59, s[26:27]
	v_cmp_eq_u32_e64 s[28:29], 14, v0
	v_cndmask_b32_e64 v56, v56, v58, s[26:27]
	v_cndmask_b32_e64 v57, v57, v61, s[28:29]
	;; [unrolled: 1-line block ×3, first 2 shown]
	s_waitcnt lgkmcnt(0)
	v_mul_f64 v[56:57], v[56:57], v[62:63]
	s_cbranch_execz .LBB14_15
	s_branch .LBB14_16
.LBB14_14:
                                        ; implicit-def: $vgpr56_vgpr57
.LBB14_15:
	ds_read_b64 v[56:57], v96
.LBB14_16:
	v_mov_b32_e32 v62, 0
	ds_read2_b64 v[97:100], v62 offset0:12 offset1:29
	s_waitcnt lgkmcnt(0)
	v_fma_f64 v[62:63], v[58:59], v[99:100], v[56:57]
	v_cndmask_b32_e64 v57, v57, v63, s[2:3]
	v_cndmask_b32_e64 v56, v56, v62, s[2:3]
	v_mul_f64 v[56:57], v[56:57], v[97:98]
.LBB14_17:
	s_or_b64 exec, exec, s[34:35]
	v_cmp_lt_u32_e64 s[2:3], 11, v0
	ds_write_b64 v96, v[54:55]
	s_waitcnt lgkmcnt(0)
	; wave barrier
	s_and_saveexec_b64 s[34:35], s[2:3]
	s_cbranch_execz .LBB14_33
; %bb.18:
	s_andn2_b64 vcc, exec, s[30:31]
	s_cbranch_vccnz .LBB14_20
; %bb.19:
	v_cmp_eq_u32_e32 vcc, 1, v0
	v_cndmask_b32_e32 v94, v33, v35, vcc
	v_cmp_eq_u32_e64 s[4:5], 2, v0
	v_cndmask_b32_e64 v94, v94, v37, s[4:5]
	v_cmp_eq_u32_e64 s[6:7], 3, v0
	v_cndmask_b32_e64 v94, v94, v39, s[6:7]
	;; [unrolled: 2-line block ×13, first 2 shown]
	v_cndmask_b32_e32 v94, v32, v34, vcc
	v_cndmask_b32_e64 v94, v94, v36, s[4:5]
	v_cndmask_b32_e64 v94, v94, v38, s[6:7]
	v_cndmask_b32_e64 v94, v94, v40, s[8:9]
	v_cndmask_b32_e64 v94, v94, v42, s[10:11]
	v_cndmask_b32_e64 v94, v94, v44, s[12:13]
	v_cndmask_b32_e64 v94, v94, v46, s[14:15]
	v_cndmask_b32_e64 v94, v94, v48, s[16:17]
	v_cndmask_b32_e64 v94, v94, v50, s[18:19]
	v_cndmask_b32_e64 v94, v94, v52, s[20:21]
	ds_read_b64 v[97:98], v96
	v_cndmask_b32_e64 v94, v94, v54, s[22:23]
	v_cndmask_b32_e64 v94, v94, v56, s[24:25]
	v_cndmask_b32_e64 v94, v94, v58, s[26:27]
	v_cndmask_b32_e64 v94, v94, v60, s[28:29]
	s_waitcnt lgkmcnt(0)
	v_mul_f64 v[94:95], v[94:95], v[97:98]
	s_cbranch_execz .LBB14_21
	s_branch .LBB14_22
.LBB14_20:
                                        ; implicit-def: $vgpr94_vgpr95
.LBB14_21:
	ds_read_b64 v[94:95], v96
.LBB14_22:
	s_and_saveexec_b64 s[4:5], s[0:1]
	s_cbranch_execz .LBB14_32
; %bb.23:
	v_add_u32_e32 v97, -13, v0
	v_add_u32_e32 v98, -12, v0
	v_cmp_lt_u32_e32 vcc, 6, v97
	v_mov_b32_e32 v97, 12
	s_and_saveexec_b64 s[0:1], vcc
	s_cbranch_execz .LBB14_27
; %bb.24:
	v_and_b32_e32 v97, -8, v98
	v_sub_u32_e32 v99, 0, v97
	s_mov_b64 s[6:7], 19
	s_movk_i32 s10, 0xe0
	s_mov_b64 s[8:9], 0
.LBB14_25:                              ; =>This Inner Loop Header: Depth=1
	s_lshl_b32 s11, s6, 1
	s_add_i32 s12, s11, -13
	v_mov_b32_e32 v97, s10
	s_add_i32 s13, s11, -14
	s_set_gpr_idx_on s12, gpr_idx(SRC0)
	v_mov_b32_e32 v109, v32
	s_set_gpr_idx_off
	s_set_gpr_idx_on s13, gpr_idx(SRC0)
	v_mov_b32_e32 v108, v32
	s_set_gpr_idx_off
	ds_read_b128 v[100:103], v97
	ds_read_b128 v[104:107], v97 offset:16
	s_add_i32 s12, s11, -11
	s_add_i32 s13, s11, -12
	s_waitcnt lgkmcnt(1)
	v_fma_f64 v[94:95], v[108:109], v[100:101], v[94:95]
	ds_read_b128 v[108:111], v97 offset:32
	ds_read_b128 v[112:115], v97 offset:48
	s_set_gpr_idx_on s12, gpr_idx(SRC0)
	v_mov_b32_e32 v101, v32
	s_set_gpr_idx_off
	s_set_gpr_idx_on s13, gpr_idx(SRC0)
	v_mov_b32_e32 v100, v32
	s_set_gpr_idx_off
	s_add_i32 s12, s11, -9
	s_add_i32 s13, s11, -10
	v_fma_f64 v[94:95], v[100:101], v[102:103], v[94:95]
	s_set_gpr_idx_on s12, gpr_idx(SRC0)
	v_mov_b32_e32 v101, v32
	s_set_gpr_idx_off
	s_set_gpr_idx_on s13, gpr_idx(SRC0)
	v_mov_b32_e32 v100, v32
	s_set_gpr_idx_off
	s_add_i32 s12, s11, -7
	s_add_i32 s13, s11, -8
	s_waitcnt lgkmcnt(2)
	v_fma_f64 v[94:95], v[100:101], v[104:105], v[94:95]
	s_set_gpr_idx_on s12, gpr_idx(SRC0)
	v_mov_b32_e32 v101, v32
	s_set_gpr_idx_off
	s_set_gpr_idx_on s13, gpr_idx(SRC0)
	v_mov_b32_e32 v100, v32
	s_set_gpr_idx_off
	s_add_i32 s12, s11, -5
	s_add_i32 s13, s11, -6
	v_fma_f64 v[94:95], v[100:101], v[106:107], v[94:95]
	s_set_gpr_idx_on s12, gpr_idx(SRC0)
	v_mov_b32_e32 v101, v32
	s_set_gpr_idx_off
	s_set_gpr_idx_on s13, gpr_idx(SRC0)
	v_mov_b32_e32 v100, v32
	s_set_gpr_idx_off
	s_add_i32 s12, s11, -3
	s_add_i32 s13, s11, -4
	s_waitcnt lgkmcnt(1)
	v_fma_f64 v[94:95], v[100:101], v[108:109], v[94:95]
	s_set_gpr_idx_on s12, gpr_idx(SRC0)
	v_mov_b32_e32 v101, v32
	s_set_gpr_idx_off
	s_set_gpr_idx_on s13, gpr_idx(SRC0)
	v_mov_b32_e32 v100, v32
	s_set_gpr_idx_off
	s_add_i32 s12, s11, -1
	s_add_i32 s13, s11, -2
	s_add_u32 s6, s6, 8
	v_add_u32_e32 v97, s6, v99
	s_addc_u32 s7, s7, 0
	v_fma_f64 v[94:95], v[100:101], v[110:111], v[94:95]
	s_set_gpr_idx_on s12, gpr_idx(SRC0)
	v_mov_b32_e32 v101, v32
	s_set_gpr_idx_off
	s_set_gpr_idx_on s13, gpr_idx(SRC0)
	v_mov_b32_e32 v100, v32
	s_set_gpr_idx_off
	s_add_i32 s10, s10, 64
	v_cmp_eq_u32_e32 vcc, 19, v97
	s_waitcnt lgkmcnt(0)
	v_fma_f64 v[94:95], v[100:101], v[112:113], v[94:95]
	s_set_gpr_idx_on s11, gpr_idx(SRC0)
	v_mov_b32_e32 v101, v33
	v_mov_b32_e32 v100, v32
	s_set_gpr_idx_off
	s_add_i32 s11, s6, -7
	s_or_b64 s[8:9], vcc, s[8:9]
	v_mov_b32_e32 v97, s11
	v_fma_f64 v[94:95], v[100:101], v[114:115], v[94:95]
	s_andn2_b64 exec, exec, s[8:9]
	s_cbranch_execnz .LBB14_25
; %bb.26:
	s_or_b64 exec, exec, s[8:9]
.LBB14_27:
	s_or_b64 exec, exec, s[0:1]
	v_and_b32_e32 v62, 7, v98
	v_cmp_ne_u32_e32 vcc, 0, v62
	s_and_saveexec_b64 s[6:7], vcc
	s_cbranch_execz .LBB14_31
; %bb.28:
	v_mov_b32_e32 v63, 0x80
	v_lshl_add_u32 v63, v97, 3, v63
	v_mov_b32_e32 v98, 0
	s_mov_b64 s[8:9], 0
.LBB14_29:                              ; =>This Inner Loop Header: Depth=1
	v_cmp_eq_u32_e32 vcc, 1, v97
	v_cndmask_b32_e32 v101, v33, v35, vcc
	v_cmp_eq_u32_e64 s[0:1], 2, v97
	v_cndmask_b32_e64 v101, v101, v37, s[0:1]
	v_cndmask_b32_e32 v102, v32, v34, vcc
	v_cmp_eq_u32_e32 vcc, 3, v97
	v_cndmask_b32_e32 v101, v101, v39, vcc
	v_cndmask_b32_e64 v102, v102, v36, s[0:1]
	v_cmp_eq_u32_e64 s[0:1], 4, v97
	v_cndmask_b32_e64 v101, v101, v41, s[0:1]
	v_cndmask_b32_e32 v102, v102, v38, vcc
	v_cmp_eq_u32_e32 vcc, 5, v97
	v_cndmask_b32_e32 v101, v101, v43, vcc
	v_cndmask_b32_e64 v102, v102, v40, s[0:1]
	;; [unrolled: 6-line block ×4, first 2 shown]
	v_cmp_eq_u32_e64 s[0:1], 10, v97
	v_cndmask_b32_e64 v101, v101, v53, s[0:1]
	v_cndmask_b32_e32 v102, v102, v50, vcc
	v_cmp_eq_u32_e32 vcc, 11, v97
	ds_read_b64 v[99:100], v63
	v_cndmask_b32_e32 v101, v101, v55, vcc
	v_cndmask_b32_e64 v102, v102, v52, s[0:1]
	v_cmp_eq_u32_e64 s[0:1], 12, v97
	v_cndmask_b32_e64 v101, v101, v57, s[0:1]
	v_cndmask_b32_e32 v102, v102, v54, vcc
	v_cmp_eq_u32_e32 vcc, 13, v97
	v_cndmask_b32_e32 v101, v101, v59, vcc
	v_cndmask_b32_e64 v103, v102, v56, s[0:1]
	v_cmp_eq_u32_e64 s[0:1], 14, v97
	v_cndmask_b32_e64 v102, v101, v61, s[0:1]
	v_cndmask_b32_e32 v101, v103, v58, vcc
	v_cndmask_b32_e64 v101, v101, v60, s[0:1]
	s_waitcnt lgkmcnt(0)
	v_fma_f64 v[94:95], v[101:102], v[99:100], v[94:95]
	v_add_u32_e32 v62, -1, v62
	v_cmp_eq_u32_e32 vcc, 0, v62
	s_or_b64 s[8:9], vcc, s[8:9]
	v_add_co_u32_e32 v97, vcc, 1, v97
	v_add_u32_e32 v63, 8, v63
	v_addc_co_u32_e32 v98, vcc, 0, v98, vcc
	s_andn2_b64 exec, exec, s[8:9]
	s_cbranch_execnz .LBB14_29
; %bb.30:
	s_or_b64 exec, exec, s[8:9]
.LBB14_31:
	s_or_b64 exec, exec, s[6:7]
.LBB14_32:
	s_or_b64 exec, exec, s[4:5]
	v_mov_b32_e32 v54, 0
	ds_read_b64 v[54:55], v54 offset:88
	s_waitcnt lgkmcnt(0)
	v_mul_f64 v[54:55], v[94:95], v[54:55]
.LBB14_33:
	s_or_b64 exec, exec, s[34:35]
	v_cmp_lt_u32_e64 s[0:1], 10, v0
	ds_write_b64 v96, v[52:53]
	s_waitcnt lgkmcnt(0)
	; wave barrier
	s_and_saveexec_b64 s[34:35], s[0:1]
	s_cbranch_execz .LBB14_49
; %bb.34:
	s_andn2_b64 vcc, exec, s[30:31]
	s_cbranch_vccnz .LBB14_36
; %bb.35:
	v_cmp_eq_u32_e32 vcc, 1, v0
	v_cndmask_b32_e32 v94, v33, v35, vcc
	v_cmp_eq_u32_e64 s[4:5], 2, v0
	v_cndmask_b32_e64 v94, v94, v37, s[4:5]
	v_cmp_eq_u32_e64 s[6:7], 3, v0
	v_cndmask_b32_e64 v94, v94, v39, s[6:7]
	;; [unrolled: 2-line block ×13, first 2 shown]
	v_cndmask_b32_e32 v94, v32, v34, vcc
	v_cndmask_b32_e64 v94, v94, v36, s[4:5]
	v_cndmask_b32_e64 v94, v94, v38, s[6:7]
	v_cndmask_b32_e64 v94, v94, v40, s[8:9]
	v_cndmask_b32_e64 v94, v94, v42, s[10:11]
	v_cndmask_b32_e64 v94, v94, v44, s[12:13]
	v_cndmask_b32_e64 v94, v94, v46, s[14:15]
	v_cndmask_b32_e64 v94, v94, v48, s[16:17]
	v_cndmask_b32_e64 v94, v94, v50, s[18:19]
	v_cndmask_b32_e64 v94, v94, v52, s[20:21]
	ds_read_b64 v[97:98], v96
	v_cndmask_b32_e64 v94, v94, v54, s[22:23]
	v_cndmask_b32_e64 v94, v94, v56, s[24:25]
	;; [unrolled: 1-line block ×4, first 2 shown]
	s_waitcnt lgkmcnt(0)
	v_mul_f64 v[94:95], v[94:95], v[97:98]
	s_cbranch_execz .LBB14_37
	s_branch .LBB14_38
.LBB14_36:
                                        ; implicit-def: $vgpr94_vgpr95
.LBB14_37:
	ds_read_b64 v[94:95], v96
.LBB14_38:
	s_and_saveexec_b64 s[4:5], s[2:3]
	s_cbranch_execz .LBB14_48
; %bb.39:
	v_add_u32_e32 v97, -12, v0
	v_add_u32_e32 v98, -11, v0
	v_cmp_lt_u32_e32 vcc, 6, v97
	v_mov_b32_e32 v97, 11
	s_and_saveexec_b64 s[2:3], vcc
	s_cbranch_execz .LBB14_43
; %bb.40:
	v_and_b32_e32 v97, -8, v98
	v_sub_u32_e32 v99, 0, v97
	s_mov_b64 s[6:7], 18
	s_movk_i32 s10, 0xd8
	s_mov_b64 s[8:9], 0
.LBB14_41:                              ; =>This Inner Loop Header: Depth=1
	s_lshl_b32 s11, s6, 1
	s_add_i32 s12, s11, -13
	v_mov_b32_e32 v97, s10
	s_add_i32 s13, s11, -14
	s_set_gpr_idx_on s12, gpr_idx(SRC0)
	v_mov_b32_e32 v105, v32
	s_set_gpr_idx_off
	s_set_gpr_idx_on s13, gpr_idx(SRC0)
	v_mov_b32_e32 v104, v32
	s_set_gpr_idx_off
	ds_read2_b64 v[100:103], v97 offset1:1
	s_add_i32 s12, s11, -11
	s_add_i32 s13, s11, -12
	;; [unrolled: 1-line block ×4, first 2 shown]
	s_waitcnt lgkmcnt(0)
	v_fma_f64 v[94:95], v[104:105], v[100:101], v[94:95]
	s_set_gpr_idx_on s12, gpr_idx(SRC0)
	v_mov_b32_e32 v101, v32
	s_set_gpr_idx_off
	s_set_gpr_idx_on s13, gpr_idx(SRC0)
	v_mov_b32_e32 v100, v32
	s_set_gpr_idx_off
	s_add_i32 s12, s11, -7
	s_add_i32 s13, s11, -8
	v_fma_f64 v[94:95], v[100:101], v[102:103], v[94:95]
	s_set_gpr_idx_on s14, gpr_idx(SRC0)
	v_mov_b32_e32 v105, v32
	s_set_gpr_idx_off
	s_set_gpr_idx_on s15, gpr_idx(SRC0)
	v_mov_b32_e32 v104, v32
	s_set_gpr_idx_off
	ds_read2_b64 v[100:103], v97 offset0:2 offset1:3
	s_add_i32 s14, s11, -5
	s_add_i32 s15, s11, -6
	s_waitcnt lgkmcnt(0)
	v_fma_f64 v[94:95], v[104:105], v[100:101], v[94:95]
	s_set_gpr_idx_on s12, gpr_idx(SRC0)
	v_mov_b32_e32 v101, v32
	s_set_gpr_idx_off
	s_set_gpr_idx_on s13, gpr_idx(SRC0)
	v_mov_b32_e32 v100, v32
	s_set_gpr_idx_off
	s_add_i32 s12, s11, -3
	s_add_i32 s13, s11, -4
	v_fma_f64 v[94:95], v[100:101], v[102:103], v[94:95]
	s_set_gpr_idx_on s14, gpr_idx(SRC0)
	v_mov_b32_e32 v105, v32
	s_set_gpr_idx_off
	s_set_gpr_idx_on s15, gpr_idx(SRC0)
	v_mov_b32_e32 v104, v32
	s_set_gpr_idx_off
	ds_read2_b64 v[100:103], v97 offset0:4 offset1:5
	s_add_i32 s14, s11, -1
	s_add_i32 s15, s11, -2
	s_add_u32 s6, s6, 8
	s_addc_u32 s7, s7, 0
	s_waitcnt lgkmcnt(0)
	v_fma_f64 v[94:95], v[104:105], v[100:101], v[94:95]
	s_set_gpr_idx_on s12, gpr_idx(SRC0)
	v_mov_b32_e32 v101, v32
	s_set_gpr_idx_off
	s_set_gpr_idx_on s13, gpr_idx(SRC0)
	v_mov_b32_e32 v100, v32
	s_set_gpr_idx_off
	s_add_i32 s10, s10, 64
	v_fma_f64 v[94:95], v[100:101], v[102:103], v[94:95]
	s_set_gpr_idx_on s14, gpr_idx(SRC0)
	v_mov_b32_e32 v105, v32
	s_set_gpr_idx_off
	s_set_gpr_idx_on s15, gpr_idx(SRC0)
	v_mov_b32_e32 v104, v32
	s_set_gpr_idx_off
	ds_read2_b64 v[100:103], v97 offset0:6 offset1:7
	v_add_u32_e32 v97, s6, v99
	v_cmp_eq_u32_e32 vcc, 18, v97
	s_waitcnt lgkmcnt(0)
	v_fma_f64 v[94:95], v[104:105], v[100:101], v[94:95]
	s_set_gpr_idx_on s11, gpr_idx(SRC0)
	v_mov_b32_e32 v101, v33
	v_mov_b32_e32 v100, v32
	s_set_gpr_idx_off
	s_add_i32 s11, s6, -7
	s_or_b64 s[8:9], vcc, s[8:9]
	v_mov_b32_e32 v97, s11
	v_fma_f64 v[94:95], v[100:101], v[102:103], v[94:95]
	s_andn2_b64 exec, exec, s[8:9]
	s_cbranch_execnz .LBB14_41
; %bb.42:
	s_or_b64 exec, exec, s[8:9]
.LBB14_43:
	s_or_b64 exec, exec, s[2:3]
	v_and_b32_e32 v62, 7, v98
	v_cmp_ne_u32_e32 vcc, 0, v62
	s_and_saveexec_b64 s[6:7], vcc
	s_cbranch_execz .LBB14_47
; %bb.44:
	v_mov_b32_e32 v63, 0x80
	v_lshl_add_u32 v63, v97, 3, v63
	v_mov_b32_e32 v98, 0
	s_mov_b64 s[8:9], 0
.LBB14_45:                              ; =>This Inner Loop Header: Depth=1
	v_cmp_eq_u32_e32 vcc, 1, v97
	v_cndmask_b32_e32 v101, v33, v35, vcc
	v_cmp_eq_u32_e64 s[2:3], 2, v97
	v_cndmask_b32_e64 v101, v101, v37, s[2:3]
	v_cndmask_b32_e32 v102, v32, v34, vcc
	v_cmp_eq_u32_e32 vcc, 3, v97
	v_cndmask_b32_e32 v101, v101, v39, vcc
	v_cndmask_b32_e64 v102, v102, v36, s[2:3]
	v_cmp_eq_u32_e64 s[2:3], 4, v97
	v_cndmask_b32_e64 v101, v101, v41, s[2:3]
	v_cndmask_b32_e32 v102, v102, v38, vcc
	v_cmp_eq_u32_e32 vcc, 5, v97
	v_cndmask_b32_e32 v101, v101, v43, vcc
	v_cndmask_b32_e64 v102, v102, v40, s[2:3]
	;; [unrolled: 6-line block ×4, first 2 shown]
	v_cmp_eq_u32_e64 s[2:3], 10, v97
	v_cndmask_b32_e64 v101, v101, v53, s[2:3]
	v_cndmask_b32_e32 v102, v102, v50, vcc
	v_cmp_eq_u32_e32 vcc, 11, v97
	ds_read_b64 v[99:100], v63
	v_cndmask_b32_e32 v101, v101, v55, vcc
	v_cndmask_b32_e64 v102, v102, v52, s[2:3]
	v_cmp_eq_u32_e64 s[2:3], 12, v97
	v_cndmask_b32_e64 v101, v101, v57, s[2:3]
	v_cndmask_b32_e32 v102, v102, v54, vcc
	v_cmp_eq_u32_e32 vcc, 13, v97
	v_cndmask_b32_e32 v101, v101, v59, vcc
	v_cndmask_b32_e64 v103, v102, v56, s[2:3]
	v_cmp_eq_u32_e64 s[2:3], 14, v97
	v_cndmask_b32_e64 v102, v101, v61, s[2:3]
	v_cndmask_b32_e32 v101, v103, v58, vcc
	v_cndmask_b32_e64 v101, v101, v60, s[2:3]
	s_waitcnt lgkmcnt(0)
	v_fma_f64 v[94:95], v[101:102], v[99:100], v[94:95]
	v_add_u32_e32 v62, -1, v62
	v_cmp_eq_u32_e32 vcc, 0, v62
	s_or_b64 s[8:9], vcc, s[8:9]
	v_add_co_u32_e32 v97, vcc, 1, v97
	v_add_u32_e32 v63, 8, v63
	v_addc_co_u32_e32 v98, vcc, 0, v98, vcc
	s_andn2_b64 exec, exec, s[8:9]
	s_cbranch_execnz .LBB14_45
; %bb.46:
	s_or_b64 exec, exec, s[8:9]
.LBB14_47:
	s_or_b64 exec, exec, s[6:7]
.LBB14_48:
	s_or_b64 exec, exec, s[4:5]
	v_mov_b32_e32 v52, 0
	ds_read_b64 v[52:53], v52 offset:80
	s_waitcnt lgkmcnt(0)
	v_mul_f64 v[52:53], v[94:95], v[52:53]
.LBB14_49:
	s_or_b64 exec, exec, s[34:35]
	v_cmp_lt_u32_e64 s[2:3], 9, v0
	ds_write_b64 v96, v[50:51]
	s_waitcnt lgkmcnt(0)
	; wave barrier
	s_and_saveexec_b64 s[34:35], s[2:3]
	s_cbranch_execz .LBB14_65
; %bb.50:
	s_andn2_b64 vcc, exec, s[30:31]
	s_cbranch_vccnz .LBB14_52
; %bb.51:
	v_cmp_eq_u32_e32 vcc, 1, v0
	v_cndmask_b32_e32 v94, v33, v35, vcc
	v_cmp_eq_u32_e64 s[4:5], 2, v0
	v_cndmask_b32_e64 v94, v94, v37, s[4:5]
	v_cmp_eq_u32_e64 s[6:7], 3, v0
	v_cndmask_b32_e64 v94, v94, v39, s[6:7]
	;; [unrolled: 2-line block ×13, first 2 shown]
	v_cndmask_b32_e32 v94, v32, v34, vcc
	v_cndmask_b32_e64 v94, v94, v36, s[4:5]
	v_cndmask_b32_e64 v94, v94, v38, s[6:7]
	;; [unrolled: 1-line block ×9, first 2 shown]
	ds_read_b64 v[97:98], v96
	v_cndmask_b32_e64 v94, v94, v54, s[22:23]
	v_cndmask_b32_e64 v94, v94, v56, s[24:25]
	;; [unrolled: 1-line block ×4, first 2 shown]
	s_waitcnt lgkmcnt(0)
	v_mul_f64 v[94:95], v[94:95], v[97:98]
	s_cbranch_execz .LBB14_53
	s_branch .LBB14_54
.LBB14_52:
                                        ; implicit-def: $vgpr94_vgpr95
.LBB14_53:
	ds_read_b64 v[94:95], v96
.LBB14_54:
	s_and_saveexec_b64 s[4:5], s[0:1]
	s_cbranch_execz .LBB14_64
; %bb.55:
	v_add_u32_e32 v97, -11, v0
	v_add_u32_e32 v98, -10, v0
	v_cmp_lt_u32_e32 vcc, 6, v97
	v_mov_b32_e32 v97, 10
	s_and_saveexec_b64 s[0:1], vcc
	s_cbranch_execz .LBB14_59
; %bb.56:
	v_and_b32_e32 v97, -8, v98
	v_sub_u32_e32 v99, 0, v97
	s_mov_b64 s[6:7], 17
	s_movk_i32 s10, 0xd0
	s_mov_b64 s[8:9], 0
.LBB14_57:                              ; =>This Inner Loop Header: Depth=1
	s_lshl_b32 s11, s6, 1
	s_add_i32 s12, s11, -13
	v_mov_b32_e32 v97, s10
	s_add_i32 s13, s11, -14
	s_set_gpr_idx_on s12, gpr_idx(SRC0)
	v_mov_b32_e32 v109, v32
	s_set_gpr_idx_off
	s_set_gpr_idx_on s13, gpr_idx(SRC0)
	v_mov_b32_e32 v108, v32
	s_set_gpr_idx_off
	ds_read_b128 v[100:103], v97
	ds_read_b128 v[104:107], v97 offset:16
	s_add_i32 s12, s11, -11
	s_add_i32 s13, s11, -12
	s_waitcnt lgkmcnt(1)
	v_fma_f64 v[94:95], v[108:109], v[100:101], v[94:95]
	ds_read_b128 v[108:111], v97 offset:32
	ds_read_b128 v[112:115], v97 offset:48
	s_set_gpr_idx_on s12, gpr_idx(SRC0)
	v_mov_b32_e32 v101, v32
	s_set_gpr_idx_off
	s_set_gpr_idx_on s13, gpr_idx(SRC0)
	v_mov_b32_e32 v100, v32
	s_set_gpr_idx_off
	s_add_i32 s12, s11, -9
	s_add_i32 s13, s11, -10
	v_fma_f64 v[94:95], v[100:101], v[102:103], v[94:95]
	s_set_gpr_idx_on s12, gpr_idx(SRC0)
	v_mov_b32_e32 v101, v32
	s_set_gpr_idx_off
	s_set_gpr_idx_on s13, gpr_idx(SRC0)
	v_mov_b32_e32 v100, v32
	s_set_gpr_idx_off
	s_add_i32 s12, s11, -7
	s_add_i32 s13, s11, -8
	s_waitcnt lgkmcnt(2)
	v_fma_f64 v[94:95], v[100:101], v[104:105], v[94:95]
	s_set_gpr_idx_on s12, gpr_idx(SRC0)
	v_mov_b32_e32 v101, v32
	s_set_gpr_idx_off
	s_set_gpr_idx_on s13, gpr_idx(SRC0)
	v_mov_b32_e32 v100, v32
	s_set_gpr_idx_off
	s_add_i32 s12, s11, -5
	s_add_i32 s13, s11, -6
	v_fma_f64 v[94:95], v[100:101], v[106:107], v[94:95]
	s_set_gpr_idx_on s12, gpr_idx(SRC0)
	v_mov_b32_e32 v101, v32
	s_set_gpr_idx_off
	s_set_gpr_idx_on s13, gpr_idx(SRC0)
	v_mov_b32_e32 v100, v32
	s_set_gpr_idx_off
	s_add_i32 s12, s11, -3
	s_add_i32 s13, s11, -4
	s_waitcnt lgkmcnt(1)
	v_fma_f64 v[94:95], v[100:101], v[108:109], v[94:95]
	s_set_gpr_idx_on s12, gpr_idx(SRC0)
	v_mov_b32_e32 v101, v32
	s_set_gpr_idx_off
	s_set_gpr_idx_on s13, gpr_idx(SRC0)
	v_mov_b32_e32 v100, v32
	s_set_gpr_idx_off
	s_add_i32 s12, s11, -1
	s_add_i32 s13, s11, -2
	s_add_u32 s6, s6, 8
	v_add_u32_e32 v97, s6, v99
	s_addc_u32 s7, s7, 0
	v_fma_f64 v[94:95], v[100:101], v[110:111], v[94:95]
	s_set_gpr_idx_on s12, gpr_idx(SRC0)
	v_mov_b32_e32 v101, v32
	s_set_gpr_idx_off
	s_set_gpr_idx_on s13, gpr_idx(SRC0)
	v_mov_b32_e32 v100, v32
	s_set_gpr_idx_off
	s_add_i32 s10, s10, 64
	v_cmp_eq_u32_e32 vcc, 17, v97
	s_waitcnt lgkmcnt(0)
	v_fma_f64 v[94:95], v[100:101], v[112:113], v[94:95]
	s_set_gpr_idx_on s11, gpr_idx(SRC0)
	v_mov_b32_e32 v101, v33
	v_mov_b32_e32 v100, v32
	s_set_gpr_idx_off
	s_add_i32 s11, s6, -7
	s_or_b64 s[8:9], vcc, s[8:9]
	v_mov_b32_e32 v97, s11
	v_fma_f64 v[94:95], v[100:101], v[114:115], v[94:95]
	s_andn2_b64 exec, exec, s[8:9]
	s_cbranch_execnz .LBB14_57
; %bb.58:
	s_or_b64 exec, exec, s[8:9]
.LBB14_59:
	s_or_b64 exec, exec, s[0:1]
	v_and_b32_e32 v62, 7, v98
	v_cmp_ne_u32_e32 vcc, 0, v62
	s_and_saveexec_b64 s[6:7], vcc
	s_cbranch_execz .LBB14_63
; %bb.60:
	v_mov_b32_e32 v63, 0x80
	v_lshl_add_u32 v63, v97, 3, v63
	v_mov_b32_e32 v98, 0
	s_mov_b64 s[8:9], 0
.LBB14_61:                              ; =>This Inner Loop Header: Depth=1
	v_cmp_eq_u32_e32 vcc, 1, v97
	v_cndmask_b32_e32 v101, v33, v35, vcc
	v_cmp_eq_u32_e64 s[0:1], 2, v97
	v_cndmask_b32_e64 v101, v101, v37, s[0:1]
	v_cndmask_b32_e32 v102, v32, v34, vcc
	v_cmp_eq_u32_e32 vcc, 3, v97
	v_cndmask_b32_e32 v101, v101, v39, vcc
	v_cndmask_b32_e64 v102, v102, v36, s[0:1]
	v_cmp_eq_u32_e64 s[0:1], 4, v97
	v_cndmask_b32_e64 v101, v101, v41, s[0:1]
	v_cndmask_b32_e32 v102, v102, v38, vcc
	v_cmp_eq_u32_e32 vcc, 5, v97
	v_cndmask_b32_e32 v101, v101, v43, vcc
	v_cndmask_b32_e64 v102, v102, v40, s[0:1]
	;; [unrolled: 6-line block ×4, first 2 shown]
	v_cmp_eq_u32_e64 s[0:1], 10, v97
	v_cndmask_b32_e64 v101, v101, v53, s[0:1]
	v_cndmask_b32_e32 v102, v102, v50, vcc
	v_cmp_eq_u32_e32 vcc, 11, v97
	ds_read_b64 v[99:100], v63
	v_cndmask_b32_e32 v101, v101, v55, vcc
	v_cndmask_b32_e64 v102, v102, v52, s[0:1]
	v_cmp_eq_u32_e64 s[0:1], 12, v97
	v_cndmask_b32_e64 v101, v101, v57, s[0:1]
	v_cndmask_b32_e32 v102, v102, v54, vcc
	v_cmp_eq_u32_e32 vcc, 13, v97
	v_cndmask_b32_e32 v101, v101, v59, vcc
	v_cndmask_b32_e64 v103, v102, v56, s[0:1]
	v_cmp_eq_u32_e64 s[0:1], 14, v97
	v_cndmask_b32_e64 v102, v101, v61, s[0:1]
	v_cndmask_b32_e32 v101, v103, v58, vcc
	v_cndmask_b32_e64 v101, v101, v60, s[0:1]
	s_waitcnt lgkmcnt(0)
	v_fma_f64 v[94:95], v[101:102], v[99:100], v[94:95]
	v_add_u32_e32 v62, -1, v62
	v_cmp_eq_u32_e32 vcc, 0, v62
	s_or_b64 s[8:9], vcc, s[8:9]
	v_add_co_u32_e32 v97, vcc, 1, v97
	v_add_u32_e32 v63, 8, v63
	v_addc_co_u32_e32 v98, vcc, 0, v98, vcc
	s_andn2_b64 exec, exec, s[8:9]
	s_cbranch_execnz .LBB14_61
; %bb.62:
	s_or_b64 exec, exec, s[8:9]
.LBB14_63:
	s_or_b64 exec, exec, s[6:7]
.LBB14_64:
	s_or_b64 exec, exec, s[4:5]
	v_mov_b32_e32 v50, 0
	ds_read_b64 v[50:51], v50 offset:72
	s_waitcnt lgkmcnt(0)
	v_mul_f64 v[50:51], v[94:95], v[50:51]
.LBB14_65:
	s_or_b64 exec, exec, s[34:35]
	v_cmp_lt_u32_e64 s[0:1], 8, v0
	ds_write_b64 v96, v[48:49]
	s_waitcnt lgkmcnt(0)
	; wave barrier
	s_and_saveexec_b64 s[34:35], s[0:1]
	s_cbranch_execz .LBB14_81
; %bb.66:
	s_andn2_b64 vcc, exec, s[30:31]
	s_cbranch_vccnz .LBB14_68
; %bb.67:
	v_cmp_eq_u32_e32 vcc, 1, v0
	v_cndmask_b32_e32 v94, v33, v35, vcc
	v_cmp_eq_u32_e64 s[4:5], 2, v0
	v_cndmask_b32_e64 v94, v94, v37, s[4:5]
	v_cmp_eq_u32_e64 s[6:7], 3, v0
	v_cndmask_b32_e64 v94, v94, v39, s[6:7]
	;; [unrolled: 2-line block ×13, first 2 shown]
	v_cndmask_b32_e32 v94, v32, v34, vcc
	v_cndmask_b32_e64 v94, v94, v36, s[4:5]
	v_cndmask_b32_e64 v94, v94, v38, s[6:7]
	;; [unrolled: 1-line block ×9, first 2 shown]
	ds_read_b64 v[97:98], v96
	v_cndmask_b32_e64 v94, v94, v54, s[22:23]
	v_cndmask_b32_e64 v94, v94, v56, s[24:25]
	;; [unrolled: 1-line block ×4, first 2 shown]
	s_waitcnt lgkmcnt(0)
	v_mul_f64 v[94:95], v[94:95], v[97:98]
	s_cbranch_execz .LBB14_69
	s_branch .LBB14_70
.LBB14_68:
                                        ; implicit-def: $vgpr94_vgpr95
.LBB14_69:
	ds_read_b64 v[94:95], v96
.LBB14_70:
	s_and_saveexec_b64 s[4:5], s[2:3]
	s_cbranch_execz .LBB14_80
; %bb.71:
	v_add_u32_e32 v97, -10, v0
	v_add_u32_e32 v98, -9, v0
	v_cmp_lt_u32_e32 vcc, 6, v97
	v_mov_b32_e32 v97, 9
	s_and_saveexec_b64 s[2:3], vcc
	s_cbranch_execz .LBB14_75
; %bb.72:
	v_and_b32_e32 v97, -8, v98
	v_sub_u32_e32 v99, 0, v97
	s_mov_b64 s[6:7], 16
	s_movk_i32 s10, 0xc8
	s_mov_b64 s[8:9], 0
.LBB14_73:                              ; =>This Inner Loop Header: Depth=1
	s_lshl_b32 s11, s6, 1
	s_add_i32 s12, s11, -13
	v_mov_b32_e32 v97, s10
	s_add_i32 s13, s11, -14
	s_set_gpr_idx_on s12, gpr_idx(SRC0)
	v_mov_b32_e32 v105, v32
	s_set_gpr_idx_off
	s_set_gpr_idx_on s13, gpr_idx(SRC0)
	v_mov_b32_e32 v104, v32
	s_set_gpr_idx_off
	ds_read2_b64 v[100:103], v97 offset1:1
	s_add_i32 s12, s11, -11
	s_add_i32 s13, s11, -12
	;; [unrolled: 1-line block ×4, first 2 shown]
	s_waitcnt lgkmcnt(0)
	v_fma_f64 v[94:95], v[104:105], v[100:101], v[94:95]
	s_set_gpr_idx_on s12, gpr_idx(SRC0)
	v_mov_b32_e32 v101, v32
	s_set_gpr_idx_off
	s_set_gpr_idx_on s13, gpr_idx(SRC0)
	v_mov_b32_e32 v100, v32
	s_set_gpr_idx_off
	s_add_i32 s12, s11, -7
	s_add_i32 s13, s11, -8
	v_fma_f64 v[94:95], v[100:101], v[102:103], v[94:95]
	s_set_gpr_idx_on s14, gpr_idx(SRC0)
	v_mov_b32_e32 v105, v32
	s_set_gpr_idx_off
	s_set_gpr_idx_on s15, gpr_idx(SRC0)
	v_mov_b32_e32 v104, v32
	s_set_gpr_idx_off
	ds_read2_b64 v[100:103], v97 offset0:2 offset1:3
	s_add_i32 s14, s11, -5
	s_add_i32 s15, s11, -6
	s_waitcnt lgkmcnt(0)
	v_fma_f64 v[94:95], v[104:105], v[100:101], v[94:95]
	s_set_gpr_idx_on s12, gpr_idx(SRC0)
	v_mov_b32_e32 v101, v32
	s_set_gpr_idx_off
	s_set_gpr_idx_on s13, gpr_idx(SRC0)
	v_mov_b32_e32 v100, v32
	s_set_gpr_idx_off
	s_add_i32 s12, s11, -3
	s_add_i32 s13, s11, -4
	v_fma_f64 v[94:95], v[100:101], v[102:103], v[94:95]
	s_set_gpr_idx_on s14, gpr_idx(SRC0)
	v_mov_b32_e32 v105, v32
	s_set_gpr_idx_off
	s_set_gpr_idx_on s15, gpr_idx(SRC0)
	v_mov_b32_e32 v104, v32
	s_set_gpr_idx_off
	ds_read2_b64 v[100:103], v97 offset0:4 offset1:5
	s_add_i32 s14, s11, -1
	s_add_i32 s15, s11, -2
	s_add_u32 s6, s6, 8
	s_addc_u32 s7, s7, 0
	s_waitcnt lgkmcnt(0)
	v_fma_f64 v[94:95], v[104:105], v[100:101], v[94:95]
	s_set_gpr_idx_on s12, gpr_idx(SRC0)
	v_mov_b32_e32 v101, v32
	s_set_gpr_idx_off
	s_set_gpr_idx_on s13, gpr_idx(SRC0)
	v_mov_b32_e32 v100, v32
	s_set_gpr_idx_off
	s_add_i32 s10, s10, 64
	v_fma_f64 v[94:95], v[100:101], v[102:103], v[94:95]
	s_set_gpr_idx_on s14, gpr_idx(SRC0)
	v_mov_b32_e32 v105, v32
	s_set_gpr_idx_off
	s_set_gpr_idx_on s15, gpr_idx(SRC0)
	v_mov_b32_e32 v104, v32
	s_set_gpr_idx_off
	ds_read2_b64 v[100:103], v97 offset0:6 offset1:7
	v_add_u32_e32 v97, s6, v99
	v_cmp_eq_u32_e32 vcc, 16, v97
	s_waitcnt lgkmcnt(0)
	v_fma_f64 v[94:95], v[104:105], v[100:101], v[94:95]
	s_set_gpr_idx_on s11, gpr_idx(SRC0)
	v_mov_b32_e32 v101, v33
	v_mov_b32_e32 v100, v32
	s_set_gpr_idx_off
	s_add_i32 s11, s6, -7
	s_or_b64 s[8:9], vcc, s[8:9]
	v_mov_b32_e32 v97, s11
	v_fma_f64 v[94:95], v[100:101], v[102:103], v[94:95]
	s_andn2_b64 exec, exec, s[8:9]
	s_cbranch_execnz .LBB14_73
; %bb.74:
	s_or_b64 exec, exec, s[8:9]
.LBB14_75:
	s_or_b64 exec, exec, s[2:3]
	v_and_b32_e32 v62, 7, v98
	v_cmp_ne_u32_e32 vcc, 0, v62
	s_and_saveexec_b64 s[6:7], vcc
	s_cbranch_execz .LBB14_79
; %bb.76:
	v_mov_b32_e32 v63, 0x80
	v_lshl_add_u32 v63, v97, 3, v63
	v_mov_b32_e32 v98, 0
	s_mov_b64 s[8:9], 0
.LBB14_77:                              ; =>This Inner Loop Header: Depth=1
	v_cmp_eq_u32_e32 vcc, 1, v97
	v_cndmask_b32_e32 v101, v33, v35, vcc
	v_cmp_eq_u32_e64 s[2:3], 2, v97
	v_cndmask_b32_e64 v101, v101, v37, s[2:3]
	v_cndmask_b32_e32 v102, v32, v34, vcc
	v_cmp_eq_u32_e32 vcc, 3, v97
	v_cndmask_b32_e32 v101, v101, v39, vcc
	v_cndmask_b32_e64 v102, v102, v36, s[2:3]
	v_cmp_eq_u32_e64 s[2:3], 4, v97
	v_cndmask_b32_e64 v101, v101, v41, s[2:3]
	v_cndmask_b32_e32 v102, v102, v38, vcc
	v_cmp_eq_u32_e32 vcc, 5, v97
	v_cndmask_b32_e32 v101, v101, v43, vcc
	v_cndmask_b32_e64 v102, v102, v40, s[2:3]
	;; [unrolled: 6-line block ×4, first 2 shown]
	v_cmp_eq_u32_e64 s[2:3], 10, v97
	v_cndmask_b32_e64 v101, v101, v53, s[2:3]
	v_cndmask_b32_e32 v102, v102, v50, vcc
	v_cmp_eq_u32_e32 vcc, 11, v97
	ds_read_b64 v[99:100], v63
	v_cndmask_b32_e32 v101, v101, v55, vcc
	v_cndmask_b32_e64 v102, v102, v52, s[2:3]
	v_cmp_eq_u32_e64 s[2:3], 12, v97
	v_cndmask_b32_e64 v101, v101, v57, s[2:3]
	v_cndmask_b32_e32 v102, v102, v54, vcc
	v_cmp_eq_u32_e32 vcc, 13, v97
	v_cndmask_b32_e32 v101, v101, v59, vcc
	v_cndmask_b32_e64 v103, v102, v56, s[2:3]
	v_cmp_eq_u32_e64 s[2:3], 14, v97
	v_cndmask_b32_e64 v102, v101, v61, s[2:3]
	v_cndmask_b32_e32 v101, v103, v58, vcc
	v_cndmask_b32_e64 v101, v101, v60, s[2:3]
	s_waitcnt lgkmcnt(0)
	v_fma_f64 v[94:95], v[101:102], v[99:100], v[94:95]
	v_add_u32_e32 v62, -1, v62
	v_cmp_eq_u32_e32 vcc, 0, v62
	s_or_b64 s[8:9], vcc, s[8:9]
	v_add_co_u32_e32 v97, vcc, 1, v97
	v_add_u32_e32 v63, 8, v63
	v_addc_co_u32_e32 v98, vcc, 0, v98, vcc
	s_andn2_b64 exec, exec, s[8:9]
	s_cbranch_execnz .LBB14_77
; %bb.78:
	s_or_b64 exec, exec, s[8:9]
.LBB14_79:
	s_or_b64 exec, exec, s[6:7]
.LBB14_80:
	s_or_b64 exec, exec, s[4:5]
	v_mov_b32_e32 v48, 0
	ds_read_b64 v[48:49], v48 offset:64
	s_waitcnt lgkmcnt(0)
	v_mul_f64 v[48:49], v[94:95], v[48:49]
.LBB14_81:
	s_or_b64 exec, exec, s[34:35]
	v_cmp_lt_u32_e64 s[2:3], 7, v0
	ds_write_b64 v96, v[46:47]
	s_waitcnt lgkmcnt(0)
	; wave barrier
	s_and_saveexec_b64 s[34:35], s[2:3]
	s_cbranch_execz .LBB14_97
; %bb.82:
	s_andn2_b64 vcc, exec, s[30:31]
	s_cbranch_vccnz .LBB14_84
; %bb.83:
	v_cmp_eq_u32_e32 vcc, 1, v0
	v_cndmask_b32_e32 v94, v33, v35, vcc
	v_cmp_eq_u32_e64 s[4:5], 2, v0
	v_cndmask_b32_e64 v94, v94, v37, s[4:5]
	v_cmp_eq_u32_e64 s[6:7], 3, v0
	v_cndmask_b32_e64 v94, v94, v39, s[6:7]
	;; [unrolled: 2-line block ×13, first 2 shown]
	v_cndmask_b32_e32 v94, v32, v34, vcc
	v_cndmask_b32_e64 v94, v94, v36, s[4:5]
	v_cndmask_b32_e64 v94, v94, v38, s[6:7]
	v_cndmask_b32_e64 v94, v94, v40, s[8:9]
	v_cndmask_b32_e64 v94, v94, v42, s[10:11]
	v_cndmask_b32_e64 v94, v94, v44, s[12:13]
	v_cndmask_b32_e64 v94, v94, v46, s[14:15]
	v_cndmask_b32_e64 v94, v94, v48, s[16:17]
	v_cndmask_b32_e64 v94, v94, v50, s[18:19]
	v_cndmask_b32_e64 v94, v94, v52, s[20:21]
	ds_read_b64 v[97:98], v96
	v_cndmask_b32_e64 v94, v94, v54, s[22:23]
	v_cndmask_b32_e64 v94, v94, v56, s[24:25]
	;; [unrolled: 1-line block ×4, first 2 shown]
	s_waitcnt lgkmcnt(0)
	v_mul_f64 v[94:95], v[94:95], v[97:98]
	s_cbranch_execz .LBB14_85
	s_branch .LBB14_86
.LBB14_84:
                                        ; implicit-def: $vgpr94_vgpr95
.LBB14_85:
	ds_read_b64 v[94:95], v96
.LBB14_86:
	s_and_saveexec_b64 s[4:5], s[0:1]
	s_cbranch_execz .LBB14_96
; %bb.87:
	v_add_u32_e32 v97, -9, v0
	v_cmp_lt_u32_e32 vcc, 6, v97
	v_mov_b32_e32 v97, 8
	s_and_saveexec_b64 s[0:1], vcc
	s_cbranch_execz .LBB14_91
; %bb.88:
	v_and_b32_e32 v97, 8, v0
	v_sub_u32_e32 v98, 0, v97
	s_mov_b64 s[6:7], 15
	s_movk_i32 s10, 0xc0
	s_mov_b64 s[8:9], 0
.LBB14_89:                              ; =>This Inner Loop Header: Depth=1
	s_lshl_b32 s11, s6, 1
	s_add_i32 s12, s11, -13
	v_mov_b32_e32 v97, s10
	s_add_i32 s13, s11, -14
	s_set_gpr_idx_on s12, gpr_idx(SRC0)
	v_mov_b32_e32 v108, v32
	s_set_gpr_idx_off
	s_set_gpr_idx_on s13, gpr_idx(SRC0)
	v_mov_b32_e32 v107, v32
	s_set_gpr_idx_off
	ds_read_b128 v[99:102], v97
	ds_read_b128 v[103:106], v97 offset:16
	s_add_i32 s12, s11, -11
	s_add_i32 s13, s11, -12
	s_waitcnt lgkmcnt(1)
	v_fma_f64 v[94:95], v[107:108], v[99:100], v[94:95]
	ds_read_b128 v[107:110], v97 offset:32
	ds_read_b128 v[111:114], v97 offset:48
	s_set_gpr_idx_on s12, gpr_idx(SRC0)
	v_mov_b32_e32 v100, v32
	s_set_gpr_idx_off
	s_set_gpr_idx_on s13, gpr_idx(SRC0)
	v_mov_b32_e32 v99, v32
	s_set_gpr_idx_off
	s_add_i32 s12, s11, -9
	s_add_i32 s13, s11, -10
	v_fma_f64 v[94:95], v[99:100], v[101:102], v[94:95]
	s_set_gpr_idx_on s12, gpr_idx(SRC0)
	v_mov_b32_e32 v100, v32
	s_set_gpr_idx_off
	s_set_gpr_idx_on s13, gpr_idx(SRC0)
	v_mov_b32_e32 v99, v32
	s_set_gpr_idx_off
	s_add_i32 s12, s11, -7
	s_add_i32 s13, s11, -8
	s_waitcnt lgkmcnt(2)
	v_fma_f64 v[94:95], v[99:100], v[103:104], v[94:95]
	s_set_gpr_idx_on s12, gpr_idx(SRC0)
	v_mov_b32_e32 v100, v32
	s_set_gpr_idx_off
	s_set_gpr_idx_on s13, gpr_idx(SRC0)
	v_mov_b32_e32 v99, v32
	s_set_gpr_idx_off
	s_add_i32 s12, s11, -5
	s_add_i32 s13, s11, -6
	v_fma_f64 v[94:95], v[99:100], v[105:106], v[94:95]
	s_set_gpr_idx_on s12, gpr_idx(SRC0)
	v_mov_b32_e32 v100, v32
	s_set_gpr_idx_off
	s_set_gpr_idx_on s13, gpr_idx(SRC0)
	v_mov_b32_e32 v99, v32
	s_set_gpr_idx_off
	s_add_i32 s12, s11, -3
	s_add_i32 s13, s11, -4
	s_waitcnt lgkmcnt(1)
	v_fma_f64 v[94:95], v[99:100], v[107:108], v[94:95]
	s_set_gpr_idx_on s12, gpr_idx(SRC0)
	v_mov_b32_e32 v100, v32
	s_set_gpr_idx_off
	s_set_gpr_idx_on s13, gpr_idx(SRC0)
	v_mov_b32_e32 v99, v32
	s_set_gpr_idx_off
	s_add_i32 s12, s11, -1
	s_add_i32 s13, s11, -2
	s_add_u32 s6, s6, 8
	v_add_u32_e32 v97, s6, v98
	s_addc_u32 s7, s7, 0
	v_fma_f64 v[94:95], v[99:100], v[109:110], v[94:95]
	s_set_gpr_idx_on s12, gpr_idx(SRC0)
	v_mov_b32_e32 v100, v32
	s_set_gpr_idx_off
	s_set_gpr_idx_on s13, gpr_idx(SRC0)
	v_mov_b32_e32 v99, v32
	s_set_gpr_idx_off
	s_add_i32 s10, s10, 64
	v_cmp_eq_u32_e32 vcc, 7, v97
	s_waitcnt lgkmcnt(0)
	v_fma_f64 v[94:95], v[99:100], v[111:112], v[94:95]
	s_set_gpr_idx_on s11, gpr_idx(SRC0)
	v_mov_b32_e32 v100, v33
	v_mov_b32_e32 v99, v32
	s_set_gpr_idx_off
	s_add_i32 s11, s6, -7
	s_or_b64 s[8:9], vcc, s[8:9]
	v_mov_b32_e32 v97, s11
	v_fma_f64 v[94:95], v[99:100], v[113:114], v[94:95]
	s_andn2_b64 exec, exec, s[8:9]
	s_cbranch_execnz .LBB14_89
; %bb.90:
	s_or_b64 exec, exec, s[8:9]
.LBB14_91:
	s_or_b64 exec, exec, s[0:1]
	v_and_b32_e32 v62, 7, v0
	v_cmp_ne_u32_e32 vcc, 0, v62
	s_and_saveexec_b64 s[6:7], vcc
	s_cbranch_execz .LBB14_95
; %bb.92:
	v_mov_b32_e32 v63, 0x80
	v_lshl_add_u32 v63, v97, 3, v63
	v_mov_b32_e32 v98, 0
	s_mov_b64 s[8:9], 0
.LBB14_93:                              ; =>This Inner Loop Header: Depth=1
	v_cmp_eq_u32_e32 vcc, 1, v97
	v_cndmask_b32_e32 v101, v33, v35, vcc
	v_cmp_eq_u32_e64 s[0:1], 2, v97
	v_cndmask_b32_e64 v101, v101, v37, s[0:1]
	v_cndmask_b32_e32 v102, v32, v34, vcc
	v_cmp_eq_u32_e32 vcc, 3, v97
	v_cndmask_b32_e32 v101, v101, v39, vcc
	v_cndmask_b32_e64 v102, v102, v36, s[0:1]
	v_cmp_eq_u32_e64 s[0:1], 4, v97
	v_cndmask_b32_e64 v101, v101, v41, s[0:1]
	v_cndmask_b32_e32 v102, v102, v38, vcc
	v_cmp_eq_u32_e32 vcc, 5, v97
	v_cndmask_b32_e32 v101, v101, v43, vcc
	v_cndmask_b32_e64 v102, v102, v40, s[0:1]
	;; [unrolled: 6-line block ×4, first 2 shown]
	v_cmp_eq_u32_e64 s[0:1], 10, v97
	v_cndmask_b32_e64 v101, v101, v53, s[0:1]
	v_cndmask_b32_e32 v102, v102, v50, vcc
	v_cmp_eq_u32_e32 vcc, 11, v97
	ds_read_b64 v[99:100], v63
	v_cndmask_b32_e32 v101, v101, v55, vcc
	v_cndmask_b32_e64 v102, v102, v52, s[0:1]
	v_cmp_eq_u32_e64 s[0:1], 12, v97
	v_cndmask_b32_e64 v101, v101, v57, s[0:1]
	v_cndmask_b32_e32 v102, v102, v54, vcc
	v_cmp_eq_u32_e32 vcc, 13, v97
	v_cndmask_b32_e32 v101, v101, v59, vcc
	v_cndmask_b32_e64 v103, v102, v56, s[0:1]
	v_cmp_eq_u32_e64 s[0:1], 14, v97
	v_cndmask_b32_e64 v102, v101, v61, s[0:1]
	v_cndmask_b32_e32 v101, v103, v58, vcc
	v_cndmask_b32_e64 v101, v101, v60, s[0:1]
	s_waitcnt lgkmcnt(0)
	v_fma_f64 v[94:95], v[101:102], v[99:100], v[94:95]
	v_add_u32_e32 v62, -1, v62
	v_cmp_eq_u32_e32 vcc, 0, v62
	s_or_b64 s[8:9], vcc, s[8:9]
	v_add_co_u32_e32 v97, vcc, 1, v97
	v_add_u32_e32 v63, 8, v63
	v_addc_co_u32_e32 v98, vcc, 0, v98, vcc
	s_andn2_b64 exec, exec, s[8:9]
	s_cbranch_execnz .LBB14_93
; %bb.94:
	s_or_b64 exec, exec, s[8:9]
.LBB14_95:
	s_or_b64 exec, exec, s[6:7]
.LBB14_96:
	s_or_b64 exec, exec, s[4:5]
	v_mov_b32_e32 v46, 0
	ds_read_b64 v[46:47], v46 offset:56
	s_waitcnt lgkmcnt(0)
	v_mul_f64 v[46:47], v[94:95], v[46:47]
.LBB14_97:
	s_or_b64 exec, exec, s[34:35]
	v_cmp_lt_u32_e64 s[0:1], 6, v0
	ds_write_b64 v96, v[44:45]
	s_waitcnt lgkmcnt(0)
	; wave barrier
	s_and_saveexec_b64 s[34:35], s[0:1]
	s_cbranch_execz .LBB14_113
; %bb.98:
	s_andn2_b64 vcc, exec, s[30:31]
	s_cbranch_vccnz .LBB14_100
; %bb.99:
	v_cmp_eq_u32_e32 vcc, 1, v0
	v_cndmask_b32_e32 v94, v33, v35, vcc
	v_cmp_eq_u32_e64 s[4:5], 2, v0
	v_cndmask_b32_e64 v94, v94, v37, s[4:5]
	v_cmp_eq_u32_e64 s[6:7], 3, v0
	v_cndmask_b32_e64 v94, v94, v39, s[6:7]
	;; [unrolled: 2-line block ×13, first 2 shown]
	v_cndmask_b32_e32 v94, v32, v34, vcc
	v_cndmask_b32_e64 v94, v94, v36, s[4:5]
	v_cndmask_b32_e64 v94, v94, v38, s[6:7]
	;; [unrolled: 1-line block ×9, first 2 shown]
	ds_read_b64 v[97:98], v96
	v_cndmask_b32_e64 v94, v94, v54, s[22:23]
	v_cndmask_b32_e64 v94, v94, v56, s[24:25]
	;; [unrolled: 1-line block ×4, first 2 shown]
	s_waitcnt lgkmcnt(0)
	v_mul_f64 v[94:95], v[94:95], v[97:98]
	s_cbranch_execz .LBB14_101
	s_branch .LBB14_102
.LBB14_100:
                                        ; implicit-def: $vgpr94_vgpr95
.LBB14_101:
	ds_read_b64 v[94:95], v96
.LBB14_102:
	s_and_saveexec_b64 s[4:5], s[2:3]
	s_cbranch_execz .LBB14_112
; %bb.103:
	v_add_u32_e32 v97, -8, v0
	v_add_u32_e32 v98, -7, v0
	v_cmp_lt_u32_e32 vcc, 6, v97
	v_mov_b32_e32 v97, 7
	s_and_saveexec_b64 s[2:3], vcc
	s_cbranch_execz .LBB14_107
; %bb.104:
	v_and_b32_e32 v97, -8, v98
	v_sub_u32_e32 v99, 0, v97
	s_mov_b64 s[6:7], 14
	s_movk_i32 s10, 0xb8
	s_mov_b64 s[8:9], 0
.LBB14_105:                             ; =>This Inner Loop Header: Depth=1
	s_lshl_b32 s11, s6, 1
	s_add_i32 s12, s11, -13
	v_mov_b32_e32 v97, s10
	s_add_i32 s13, s11, -14
	s_set_gpr_idx_on s12, gpr_idx(SRC0)
	v_mov_b32_e32 v105, v32
	s_set_gpr_idx_off
	s_set_gpr_idx_on s13, gpr_idx(SRC0)
	v_mov_b32_e32 v104, v32
	s_set_gpr_idx_off
	ds_read2_b64 v[100:103], v97 offset1:1
	s_add_i32 s12, s11, -11
	s_add_i32 s13, s11, -12
	;; [unrolled: 1-line block ×4, first 2 shown]
	s_waitcnt lgkmcnt(0)
	v_fma_f64 v[94:95], v[104:105], v[100:101], v[94:95]
	s_set_gpr_idx_on s12, gpr_idx(SRC0)
	v_mov_b32_e32 v101, v32
	s_set_gpr_idx_off
	s_set_gpr_idx_on s13, gpr_idx(SRC0)
	v_mov_b32_e32 v100, v32
	s_set_gpr_idx_off
	s_add_i32 s12, s11, -7
	s_add_i32 s13, s11, -8
	v_fma_f64 v[94:95], v[100:101], v[102:103], v[94:95]
	s_set_gpr_idx_on s14, gpr_idx(SRC0)
	v_mov_b32_e32 v105, v32
	s_set_gpr_idx_off
	s_set_gpr_idx_on s15, gpr_idx(SRC0)
	v_mov_b32_e32 v104, v32
	s_set_gpr_idx_off
	ds_read2_b64 v[100:103], v97 offset0:2 offset1:3
	s_add_i32 s14, s11, -5
	s_add_i32 s15, s11, -6
	s_waitcnt lgkmcnt(0)
	v_fma_f64 v[94:95], v[104:105], v[100:101], v[94:95]
	s_set_gpr_idx_on s12, gpr_idx(SRC0)
	v_mov_b32_e32 v101, v32
	s_set_gpr_idx_off
	s_set_gpr_idx_on s13, gpr_idx(SRC0)
	v_mov_b32_e32 v100, v32
	s_set_gpr_idx_off
	s_add_i32 s12, s11, -3
	s_add_i32 s13, s11, -4
	v_fma_f64 v[94:95], v[100:101], v[102:103], v[94:95]
	s_set_gpr_idx_on s14, gpr_idx(SRC0)
	v_mov_b32_e32 v105, v32
	s_set_gpr_idx_off
	s_set_gpr_idx_on s15, gpr_idx(SRC0)
	v_mov_b32_e32 v104, v32
	s_set_gpr_idx_off
	ds_read2_b64 v[100:103], v97 offset0:4 offset1:5
	s_add_i32 s14, s11, -1
	s_add_i32 s15, s11, -2
	s_add_u32 s6, s6, 8
	s_addc_u32 s7, s7, 0
	s_waitcnt lgkmcnt(0)
	v_fma_f64 v[94:95], v[104:105], v[100:101], v[94:95]
	s_set_gpr_idx_on s12, gpr_idx(SRC0)
	v_mov_b32_e32 v101, v32
	s_set_gpr_idx_off
	s_set_gpr_idx_on s13, gpr_idx(SRC0)
	v_mov_b32_e32 v100, v32
	s_set_gpr_idx_off
	s_add_i32 s10, s10, 64
	v_fma_f64 v[94:95], v[100:101], v[102:103], v[94:95]
	s_set_gpr_idx_on s14, gpr_idx(SRC0)
	v_mov_b32_e32 v105, v32
	s_set_gpr_idx_off
	s_set_gpr_idx_on s15, gpr_idx(SRC0)
	v_mov_b32_e32 v104, v32
	s_set_gpr_idx_off
	ds_read2_b64 v[100:103], v97 offset0:6 offset1:7
	v_add_u32_e32 v97, s6, v99
	v_cmp_eq_u32_e32 vcc, 14, v97
	s_waitcnt lgkmcnt(0)
	v_fma_f64 v[94:95], v[104:105], v[100:101], v[94:95]
	s_set_gpr_idx_on s11, gpr_idx(SRC0)
	v_mov_b32_e32 v101, v33
	v_mov_b32_e32 v100, v32
	s_set_gpr_idx_off
	s_add_i32 s11, s6, -7
	s_or_b64 s[8:9], vcc, s[8:9]
	v_mov_b32_e32 v97, s11
	v_fma_f64 v[94:95], v[100:101], v[102:103], v[94:95]
	s_andn2_b64 exec, exec, s[8:9]
	s_cbranch_execnz .LBB14_105
; %bb.106:
	s_or_b64 exec, exec, s[8:9]
.LBB14_107:
	s_or_b64 exec, exec, s[2:3]
	v_and_b32_e32 v62, 7, v98
	v_cmp_ne_u32_e32 vcc, 0, v62
	s_and_saveexec_b64 s[6:7], vcc
	s_cbranch_execz .LBB14_111
; %bb.108:
	v_mov_b32_e32 v63, 0x80
	v_lshl_add_u32 v63, v97, 3, v63
	v_mov_b32_e32 v98, 0
	s_mov_b64 s[8:9], 0
.LBB14_109:                             ; =>This Inner Loop Header: Depth=1
	v_cmp_eq_u32_e32 vcc, 1, v97
	v_cndmask_b32_e32 v101, v33, v35, vcc
	v_cmp_eq_u32_e64 s[2:3], 2, v97
	v_cndmask_b32_e64 v101, v101, v37, s[2:3]
	v_cndmask_b32_e32 v102, v32, v34, vcc
	v_cmp_eq_u32_e32 vcc, 3, v97
	v_cndmask_b32_e32 v101, v101, v39, vcc
	v_cndmask_b32_e64 v102, v102, v36, s[2:3]
	v_cmp_eq_u32_e64 s[2:3], 4, v97
	v_cndmask_b32_e64 v101, v101, v41, s[2:3]
	v_cndmask_b32_e32 v102, v102, v38, vcc
	v_cmp_eq_u32_e32 vcc, 5, v97
	v_cndmask_b32_e32 v101, v101, v43, vcc
	v_cndmask_b32_e64 v102, v102, v40, s[2:3]
	;; [unrolled: 6-line block ×4, first 2 shown]
	v_cmp_eq_u32_e64 s[2:3], 10, v97
	v_cndmask_b32_e64 v101, v101, v53, s[2:3]
	v_cndmask_b32_e32 v102, v102, v50, vcc
	v_cmp_eq_u32_e32 vcc, 11, v97
	ds_read_b64 v[99:100], v63
	v_cndmask_b32_e32 v101, v101, v55, vcc
	v_cndmask_b32_e64 v102, v102, v52, s[2:3]
	v_cmp_eq_u32_e64 s[2:3], 12, v97
	v_cndmask_b32_e64 v101, v101, v57, s[2:3]
	v_cndmask_b32_e32 v102, v102, v54, vcc
	v_cmp_eq_u32_e32 vcc, 13, v97
	v_cndmask_b32_e32 v101, v101, v59, vcc
	v_cndmask_b32_e64 v103, v102, v56, s[2:3]
	v_cmp_eq_u32_e64 s[2:3], 14, v97
	v_cndmask_b32_e64 v102, v101, v61, s[2:3]
	v_cndmask_b32_e32 v101, v103, v58, vcc
	v_cndmask_b32_e64 v101, v101, v60, s[2:3]
	s_waitcnt lgkmcnt(0)
	v_fma_f64 v[94:95], v[101:102], v[99:100], v[94:95]
	v_add_u32_e32 v62, -1, v62
	v_cmp_eq_u32_e32 vcc, 0, v62
	s_or_b64 s[8:9], vcc, s[8:9]
	v_add_co_u32_e32 v97, vcc, 1, v97
	v_add_u32_e32 v63, 8, v63
	v_addc_co_u32_e32 v98, vcc, 0, v98, vcc
	s_andn2_b64 exec, exec, s[8:9]
	s_cbranch_execnz .LBB14_109
; %bb.110:
	s_or_b64 exec, exec, s[8:9]
.LBB14_111:
	s_or_b64 exec, exec, s[6:7]
.LBB14_112:
	s_or_b64 exec, exec, s[4:5]
	v_mov_b32_e32 v44, 0
	ds_read_b64 v[44:45], v44 offset:48
	s_waitcnt lgkmcnt(0)
	v_mul_f64 v[44:45], v[94:95], v[44:45]
.LBB14_113:
	s_or_b64 exec, exec, s[34:35]
	v_cmp_lt_u32_e64 s[2:3], 5, v0
	ds_write_b64 v96, v[42:43]
	s_waitcnt lgkmcnt(0)
	; wave barrier
	s_and_saveexec_b64 s[34:35], s[2:3]
	s_cbranch_execz .LBB14_129
; %bb.114:
	s_andn2_b64 vcc, exec, s[30:31]
	s_cbranch_vccnz .LBB14_116
; %bb.115:
	v_cmp_eq_u32_e32 vcc, 1, v0
	v_cndmask_b32_e32 v94, v33, v35, vcc
	v_cmp_eq_u32_e64 s[4:5], 2, v0
	v_cndmask_b32_e64 v94, v94, v37, s[4:5]
	v_cmp_eq_u32_e64 s[6:7], 3, v0
	v_cndmask_b32_e64 v94, v94, v39, s[6:7]
	;; [unrolled: 2-line block ×13, first 2 shown]
	v_cndmask_b32_e32 v94, v32, v34, vcc
	v_cndmask_b32_e64 v94, v94, v36, s[4:5]
	v_cndmask_b32_e64 v94, v94, v38, s[6:7]
	;; [unrolled: 1-line block ×9, first 2 shown]
	ds_read_b64 v[97:98], v96
	v_cndmask_b32_e64 v94, v94, v54, s[22:23]
	v_cndmask_b32_e64 v94, v94, v56, s[24:25]
	;; [unrolled: 1-line block ×4, first 2 shown]
	s_waitcnt lgkmcnt(0)
	v_mul_f64 v[94:95], v[94:95], v[97:98]
	s_cbranch_execz .LBB14_117
	s_branch .LBB14_118
.LBB14_116:
                                        ; implicit-def: $vgpr94_vgpr95
.LBB14_117:
	ds_read_b64 v[94:95], v96
.LBB14_118:
	s_and_saveexec_b64 s[4:5], s[0:1]
	s_cbranch_execz .LBB14_128
; %bb.119:
	v_add_u32_e32 v99, -7, v0
	v_add_u32_e32 v98, -6, v0
	v_mov_b32_e32 v97, 6
	v_cmp_lt_u32_e32 vcc, 6, v99
	s_and_saveexec_b64 s[0:1], vcc
	s_cbranch_execz .LBB14_123
; %bb.120:
	v_and_b32_e32 v97, -8, v98
	v_sub_u32_e32 v99, 0, v97
	s_mov_b64 s[6:7], 13
	s_movk_i32 s10, 0xb0
	s_mov_b64 s[8:9], 0
.LBB14_121:                             ; =>This Inner Loop Header: Depth=1
	s_lshl_b32 s11, s6, 1
	s_add_i32 s12, s11, -13
	v_mov_b32_e32 v97, s10
	s_add_i32 s13, s11, -14
	s_set_gpr_idx_on s12, gpr_idx(SRC0)
	v_mov_b32_e32 v109, v32
	s_set_gpr_idx_off
	s_set_gpr_idx_on s13, gpr_idx(SRC0)
	v_mov_b32_e32 v108, v32
	s_set_gpr_idx_off
	ds_read_b128 v[100:103], v97
	ds_read_b128 v[104:107], v97 offset:16
	s_add_i32 s12, s11, -11
	s_add_i32 s13, s11, -12
	s_waitcnt lgkmcnt(1)
	v_fma_f64 v[94:95], v[108:109], v[100:101], v[94:95]
	ds_read_b128 v[108:111], v97 offset:32
	ds_read_b128 v[112:115], v97 offset:48
	s_set_gpr_idx_on s12, gpr_idx(SRC0)
	v_mov_b32_e32 v101, v32
	s_set_gpr_idx_off
	s_set_gpr_idx_on s13, gpr_idx(SRC0)
	v_mov_b32_e32 v100, v32
	s_set_gpr_idx_off
	s_add_i32 s12, s11, -9
	s_add_i32 s13, s11, -10
	v_fma_f64 v[94:95], v[100:101], v[102:103], v[94:95]
	s_set_gpr_idx_on s12, gpr_idx(SRC0)
	v_mov_b32_e32 v101, v32
	s_set_gpr_idx_off
	s_set_gpr_idx_on s13, gpr_idx(SRC0)
	v_mov_b32_e32 v100, v32
	s_set_gpr_idx_off
	s_add_i32 s12, s11, -7
	s_add_i32 s13, s11, -8
	s_waitcnt lgkmcnt(2)
	v_fma_f64 v[94:95], v[100:101], v[104:105], v[94:95]
	s_set_gpr_idx_on s12, gpr_idx(SRC0)
	v_mov_b32_e32 v101, v32
	s_set_gpr_idx_off
	s_set_gpr_idx_on s13, gpr_idx(SRC0)
	v_mov_b32_e32 v100, v32
	s_set_gpr_idx_off
	s_add_i32 s12, s11, -5
	s_add_i32 s13, s11, -6
	v_fma_f64 v[94:95], v[100:101], v[106:107], v[94:95]
	s_set_gpr_idx_on s12, gpr_idx(SRC0)
	v_mov_b32_e32 v101, v32
	s_set_gpr_idx_off
	s_set_gpr_idx_on s13, gpr_idx(SRC0)
	v_mov_b32_e32 v100, v32
	s_set_gpr_idx_off
	s_add_i32 s12, s11, -3
	s_add_i32 s13, s11, -4
	s_waitcnt lgkmcnt(1)
	v_fma_f64 v[94:95], v[100:101], v[108:109], v[94:95]
	s_set_gpr_idx_on s12, gpr_idx(SRC0)
	v_mov_b32_e32 v101, v32
	s_set_gpr_idx_off
	s_set_gpr_idx_on s13, gpr_idx(SRC0)
	v_mov_b32_e32 v100, v32
	s_set_gpr_idx_off
	s_add_i32 s12, s11, -1
	s_add_i32 s13, s11, -2
	s_add_u32 s6, s6, 8
	v_add_u32_e32 v97, s6, v99
	s_addc_u32 s7, s7, 0
	v_fma_f64 v[94:95], v[100:101], v[110:111], v[94:95]
	s_set_gpr_idx_on s12, gpr_idx(SRC0)
	v_mov_b32_e32 v101, v32
	s_set_gpr_idx_off
	s_set_gpr_idx_on s13, gpr_idx(SRC0)
	v_mov_b32_e32 v100, v32
	s_set_gpr_idx_off
	s_add_i32 s10, s10, 64
	v_cmp_eq_u32_e32 vcc, 13, v97
	s_waitcnt lgkmcnt(0)
	v_fma_f64 v[94:95], v[100:101], v[112:113], v[94:95]
	s_set_gpr_idx_on s11, gpr_idx(SRC0)
	v_mov_b32_e32 v101, v33
	v_mov_b32_e32 v100, v32
	s_set_gpr_idx_off
	s_add_i32 s11, s6, -7
	s_or_b64 s[8:9], vcc, s[8:9]
	v_mov_b32_e32 v97, s11
	v_fma_f64 v[94:95], v[100:101], v[114:115], v[94:95]
	s_andn2_b64 exec, exec, s[8:9]
	s_cbranch_execnz .LBB14_121
; %bb.122:
	s_or_b64 exec, exec, s[8:9]
.LBB14_123:
	s_or_b64 exec, exec, s[0:1]
	v_and_b32_e32 v62, 7, v98
	v_cmp_ne_u32_e32 vcc, 0, v62
	s_and_saveexec_b64 s[6:7], vcc
	s_cbranch_execz .LBB14_127
; %bb.124:
	v_mov_b32_e32 v63, 0x80
	v_lshl_add_u32 v63, v97, 3, v63
	v_mov_b32_e32 v98, 0
	s_mov_b64 s[8:9], 0
.LBB14_125:                             ; =>This Inner Loop Header: Depth=1
	v_cmp_eq_u32_e32 vcc, 1, v97
	v_cndmask_b32_e32 v101, v33, v35, vcc
	v_cmp_eq_u32_e64 s[0:1], 2, v97
	v_cndmask_b32_e64 v101, v101, v37, s[0:1]
	v_cndmask_b32_e32 v102, v32, v34, vcc
	v_cmp_eq_u32_e32 vcc, 3, v97
	v_cndmask_b32_e32 v101, v101, v39, vcc
	v_cndmask_b32_e64 v102, v102, v36, s[0:1]
	v_cmp_eq_u32_e64 s[0:1], 4, v97
	v_cndmask_b32_e64 v101, v101, v41, s[0:1]
	v_cndmask_b32_e32 v102, v102, v38, vcc
	v_cmp_eq_u32_e32 vcc, 5, v97
	v_cndmask_b32_e32 v101, v101, v43, vcc
	v_cndmask_b32_e64 v102, v102, v40, s[0:1]
	;; [unrolled: 6-line block ×4, first 2 shown]
	v_cmp_eq_u32_e64 s[0:1], 10, v97
	v_cndmask_b32_e64 v101, v101, v53, s[0:1]
	v_cndmask_b32_e32 v102, v102, v50, vcc
	v_cmp_eq_u32_e32 vcc, 11, v97
	ds_read_b64 v[99:100], v63
	v_cndmask_b32_e32 v101, v101, v55, vcc
	v_cndmask_b32_e64 v102, v102, v52, s[0:1]
	v_cmp_eq_u32_e64 s[0:1], 12, v97
	v_cndmask_b32_e64 v101, v101, v57, s[0:1]
	v_cndmask_b32_e32 v102, v102, v54, vcc
	v_cmp_eq_u32_e32 vcc, 13, v97
	v_cndmask_b32_e32 v101, v101, v59, vcc
	v_cndmask_b32_e64 v103, v102, v56, s[0:1]
	v_cmp_eq_u32_e64 s[0:1], 14, v97
	v_cndmask_b32_e64 v102, v101, v61, s[0:1]
	v_cndmask_b32_e32 v101, v103, v58, vcc
	v_cndmask_b32_e64 v101, v101, v60, s[0:1]
	s_waitcnt lgkmcnt(0)
	v_fma_f64 v[94:95], v[101:102], v[99:100], v[94:95]
	v_add_u32_e32 v62, -1, v62
	v_cmp_eq_u32_e32 vcc, 0, v62
	s_or_b64 s[8:9], vcc, s[8:9]
	v_add_co_u32_e32 v97, vcc, 1, v97
	v_add_u32_e32 v63, 8, v63
	v_addc_co_u32_e32 v98, vcc, 0, v98, vcc
	s_andn2_b64 exec, exec, s[8:9]
	s_cbranch_execnz .LBB14_125
; %bb.126:
	s_or_b64 exec, exec, s[8:9]
.LBB14_127:
	s_or_b64 exec, exec, s[6:7]
.LBB14_128:
	s_or_b64 exec, exec, s[4:5]
	v_mov_b32_e32 v42, 0
	ds_read_b64 v[42:43], v42 offset:40
	s_waitcnt lgkmcnt(0)
	v_mul_f64 v[42:43], v[94:95], v[42:43]
.LBB14_129:
	s_or_b64 exec, exec, s[34:35]
	v_cmp_lt_u32_e64 s[0:1], 4, v0
	ds_write_b64 v96, v[40:41]
	s_waitcnt lgkmcnt(0)
	; wave barrier
	s_and_saveexec_b64 s[34:35], s[0:1]
	s_cbranch_execz .LBB14_145
; %bb.130:
	s_andn2_b64 vcc, exec, s[30:31]
	s_cbranch_vccnz .LBB14_132
; %bb.131:
	v_cmp_eq_u32_e32 vcc, 1, v0
	v_cndmask_b32_e32 v94, v33, v35, vcc
	v_cmp_eq_u32_e64 s[4:5], 2, v0
	v_cndmask_b32_e64 v94, v94, v37, s[4:5]
	v_cmp_eq_u32_e64 s[6:7], 3, v0
	v_cndmask_b32_e64 v94, v94, v39, s[6:7]
	;; [unrolled: 2-line block ×13, first 2 shown]
	v_cndmask_b32_e32 v94, v32, v34, vcc
	v_cndmask_b32_e64 v94, v94, v36, s[4:5]
	v_cndmask_b32_e64 v94, v94, v38, s[6:7]
	;; [unrolled: 1-line block ×9, first 2 shown]
	ds_read_b64 v[97:98], v96
	v_cndmask_b32_e64 v94, v94, v54, s[22:23]
	v_cndmask_b32_e64 v94, v94, v56, s[24:25]
	;; [unrolled: 1-line block ×4, first 2 shown]
	s_waitcnt lgkmcnt(0)
	v_mul_f64 v[94:95], v[94:95], v[97:98]
	s_cbranch_execz .LBB14_133
	s_branch .LBB14_134
.LBB14_132:
                                        ; implicit-def: $vgpr94_vgpr95
.LBB14_133:
	ds_read_b64 v[94:95], v96
.LBB14_134:
	s_and_saveexec_b64 s[4:5], s[2:3]
	s_cbranch_execz .LBB14_144
; %bb.135:
	v_add_u32_e32 v97, -6, v0
	v_add_u32_e32 v98, -5, v0
	v_cmp_lt_u32_e32 vcc, 6, v97
	v_mov_b32_e32 v97, 5
	s_and_saveexec_b64 s[2:3], vcc
	s_cbranch_execz .LBB14_139
; %bb.136:
	v_and_b32_e32 v97, -8, v98
	v_sub_u32_e32 v99, 0, v97
	s_mov_b64 s[6:7], 12
	s_movk_i32 s10, 0xa8
	s_mov_b64 s[8:9], 0
.LBB14_137:                             ; =>This Inner Loop Header: Depth=1
	s_lshl_b32 s11, s6, 1
	s_add_i32 s12, s11, -13
	v_mov_b32_e32 v97, s10
	s_add_i32 s13, s11, -14
	s_set_gpr_idx_on s12, gpr_idx(SRC0)
	v_mov_b32_e32 v105, v32
	s_set_gpr_idx_off
	s_set_gpr_idx_on s13, gpr_idx(SRC0)
	v_mov_b32_e32 v104, v32
	s_set_gpr_idx_off
	ds_read2_b64 v[100:103], v97 offset1:1
	s_add_i32 s12, s11, -11
	s_add_i32 s13, s11, -12
	s_add_i32 s14, s11, -9
	s_add_i32 s15, s11, -10
	s_waitcnt lgkmcnt(0)
	v_fma_f64 v[94:95], v[104:105], v[100:101], v[94:95]
	s_set_gpr_idx_on s12, gpr_idx(SRC0)
	v_mov_b32_e32 v101, v32
	s_set_gpr_idx_off
	s_set_gpr_idx_on s13, gpr_idx(SRC0)
	v_mov_b32_e32 v100, v32
	s_set_gpr_idx_off
	s_add_i32 s12, s11, -7
	s_add_i32 s13, s11, -8
	v_fma_f64 v[94:95], v[100:101], v[102:103], v[94:95]
	s_set_gpr_idx_on s14, gpr_idx(SRC0)
	v_mov_b32_e32 v105, v32
	s_set_gpr_idx_off
	s_set_gpr_idx_on s15, gpr_idx(SRC0)
	v_mov_b32_e32 v104, v32
	s_set_gpr_idx_off
	ds_read2_b64 v[100:103], v97 offset0:2 offset1:3
	s_add_i32 s14, s11, -5
	s_add_i32 s15, s11, -6
	s_waitcnt lgkmcnt(0)
	v_fma_f64 v[94:95], v[104:105], v[100:101], v[94:95]
	s_set_gpr_idx_on s12, gpr_idx(SRC0)
	v_mov_b32_e32 v101, v32
	s_set_gpr_idx_off
	s_set_gpr_idx_on s13, gpr_idx(SRC0)
	v_mov_b32_e32 v100, v32
	s_set_gpr_idx_off
	s_add_i32 s12, s11, -3
	s_add_i32 s13, s11, -4
	v_fma_f64 v[94:95], v[100:101], v[102:103], v[94:95]
	s_set_gpr_idx_on s14, gpr_idx(SRC0)
	v_mov_b32_e32 v105, v32
	s_set_gpr_idx_off
	s_set_gpr_idx_on s15, gpr_idx(SRC0)
	v_mov_b32_e32 v104, v32
	s_set_gpr_idx_off
	ds_read2_b64 v[100:103], v97 offset0:4 offset1:5
	s_add_i32 s14, s11, -1
	s_add_i32 s15, s11, -2
	s_add_u32 s6, s6, 8
	s_addc_u32 s7, s7, 0
	s_waitcnt lgkmcnt(0)
	v_fma_f64 v[94:95], v[104:105], v[100:101], v[94:95]
	s_set_gpr_idx_on s12, gpr_idx(SRC0)
	v_mov_b32_e32 v101, v32
	s_set_gpr_idx_off
	s_set_gpr_idx_on s13, gpr_idx(SRC0)
	v_mov_b32_e32 v100, v32
	s_set_gpr_idx_off
	s_add_i32 s10, s10, 64
	v_fma_f64 v[94:95], v[100:101], v[102:103], v[94:95]
	s_set_gpr_idx_on s14, gpr_idx(SRC0)
	v_mov_b32_e32 v105, v32
	s_set_gpr_idx_off
	s_set_gpr_idx_on s15, gpr_idx(SRC0)
	v_mov_b32_e32 v104, v32
	s_set_gpr_idx_off
	ds_read2_b64 v[100:103], v97 offset0:6 offset1:7
	v_add_u32_e32 v97, s6, v99
	v_cmp_eq_u32_e32 vcc, 12, v97
	s_waitcnt lgkmcnt(0)
	v_fma_f64 v[94:95], v[104:105], v[100:101], v[94:95]
	s_set_gpr_idx_on s11, gpr_idx(SRC0)
	v_mov_b32_e32 v101, v33
	v_mov_b32_e32 v100, v32
	s_set_gpr_idx_off
	s_add_i32 s11, s6, -7
	s_or_b64 s[8:9], vcc, s[8:9]
	v_mov_b32_e32 v97, s11
	v_fma_f64 v[94:95], v[100:101], v[102:103], v[94:95]
	s_andn2_b64 exec, exec, s[8:9]
	s_cbranch_execnz .LBB14_137
; %bb.138:
	s_or_b64 exec, exec, s[8:9]
.LBB14_139:
	s_or_b64 exec, exec, s[2:3]
	v_and_b32_e32 v62, 7, v98
	v_cmp_ne_u32_e32 vcc, 0, v62
	s_and_saveexec_b64 s[6:7], vcc
	s_cbranch_execz .LBB14_143
; %bb.140:
	v_mov_b32_e32 v63, 0x80
	v_lshl_add_u32 v63, v97, 3, v63
	v_mov_b32_e32 v98, 0
	s_mov_b64 s[8:9], 0
.LBB14_141:                             ; =>This Inner Loop Header: Depth=1
	v_cmp_eq_u32_e32 vcc, 1, v97
	v_cndmask_b32_e32 v101, v33, v35, vcc
	v_cmp_eq_u32_e64 s[2:3], 2, v97
	v_cndmask_b32_e64 v101, v101, v37, s[2:3]
	v_cndmask_b32_e32 v102, v32, v34, vcc
	v_cmp_eq_u32_e32 vcc, 3, v97
	v_cndmask_b32_e32 v101, v101, v39, vcc
	v_cndmask_b32_e64 v102, v102, v36, s[2:3]
	v_cmp_eq_u32_e64 s[2:3], 4, v97
	v_cndmask_b32_e64 v101, v101, v41, s[2:3]
	v_cndmask_b32_e32 v102, v102, v38, vcc
	v_cmp_eq_u32_e32 vcc, 5, v97
	v_cndmask_b32_e32 v101, v101, v43, vcc
	v_cndmask_b32_e64 v102, v102, v40, s[2:3]
	;; [unrolled: 6-line block ×4, first 2 shown]
	v_cmp_eq_u32_e64 s[2:3], 10, v97
	v_cndmask_b32_e64 v101, v101, v53, s[2:3]
	v_cndmask_b32_e32 v102, v102, v50, vcc
	v_cmp_eq_u32_e32 vcc, 11, v97
	ds_read_b64 v[99:100], v63
	v_cndmask_b32_e32 v101, v101, v55, vcc
	v_cndmask_b32_e64 v102, v102, v52, s[2:3]
	v_cmp_eq_u32_e64 s[2:3], 12, v97
	v_cndmask_b32_e64 v101, v101, v57, s[2:3]
	v_cndmask_b32_e32 v102, v102, v54, vcc
	v_cmp_eq_u32_e32 vcc, 13, v97
	v_cndmask_b32_e32 v101, v101, v59, vcc
	v_cndmask_b32_e64 v103, v102, v56, s[2:3]
	v_cmp_eq_u32_e64 s[2:3], 14, v97
	v_cndmask_b32_e64 v102, v101, v61, s[2:3]
	v_cndmask_b32_e32 v101, v103, v58, vcc
	v_cndmask_b32_e64 v101, v101, v60, s[2:3]
	s_waitcnt lgkmcnt(0)
	v_fma_f64 v[94:95], v[101:102], v[99:100], v[94:95]
	v_add_u32_e32 v62, -1, v62
	v_cmp_eq_u32_e32 vcc, 0, v62
	s_or_b64 s[8:9], vcc, s[8:9]
	v_add_co_u32_e32 v97, vcc, 1, v97
	v_add_u32_e32 v63, 8, v63
	v_addc_co_u32_e32 v98, vcc, 0, v98, vcc
	s_andn2_b64 exec, exec, s[8:9]
	s_cbranch_execnz .LBB14_141
; %bb.142:
	s_or_b64 exec, exec, s[8:9]
.LBB14_143:
	s_or_b64 exec, exec, s[6:7]
.LBB14_144:
	s_or_b64 exec, exec, s[4:5]
	v_mov_b32_e32 v40, 0
	ds_read_b64 v[40:41], v40 offset:32
	s_waitcnt lgkmcnt(0)
	v_mul_f64 v[40:41], v[94:95], v[40:41]
.LBB14_145:
	s_or_b64 exec, exec, s[34:35]
	v_cmp_lt_u32_e64 s[2:3], 3, v0
	ds_write_b64 v96, v[38:39]
	s_waitcnt lgkmcnt(0)
	; wave barrier
	s_and_saveexec_b64 s[34:35], s[2:3]
	s_cbranch_execz .LBB14_161
; %bb.146:
	s_andn2_b64 vcc, exec, s[30:31]
	s_cbranch_vccnz .LBB14_148
; %bb.147:
	v_cmp_eq_u32_e32 vcc, 1, v0
	v_cndmask_b32_e32 v94, v33, v35, vcc
	v_cmp_eq_u32_e64 s[4:5], 2, v0
	v_cndmask_b32_e64 v94, v94, v37, s[4:5]
	v_cmp_eq_u32_e64 s[6:7], 3, v0
	v_cndmask_b32_e64 v94, v94, v39, s[6:7]
	;; [unrolled: 2-line block ×13, first 2 shown]
	v_cndmask_b32_e32 v94, v32, v34, vcc
	v_cndmask_b32_e64 v94, v94, v36, s[4:5]
	v_cndmask_b32_e64 v94, v94, v38, s[6:7]
	;; [unrolled: 1-line block ×9, first 2 shown]
	ds_read_b64 v[97:98], v96
	v_cndmask_b32_e64 v94, v94, v54, s[22:23]
	v_cndmask_b32_e64 v94, v94, v56, s[24:25]
	;; [unrolled: 1-line block ×4, first 2 shown]
	s_waitcnt lgkmcnt(0)
	v_mul_f64 v[94:95], v[94:95], v[97:98]
	s_cbranch_execz .LBB14_149
	s_branch .LBB14_150
.LBB14_148:
                                        ; implicit-def: $vgpr94_vgpr95
.LBB14_149:
	ds_read_b64 v[94:95], v96
.LBB14_150:
	s_and_saveexec_b64 s[4:5], s[0:1]
	s_cbranch_execz .LBB14_160
; %bb.151:
	v_add_u32_e32 v97, -5, v0
	v_add_u32_e32 v98, -4, v0
	v_cmp_lt_u32_e32 vcc, 6, v97
	v_mov_b32_e32 v97, 4
	s_and_saveexec_b64 s[0:1], vcc
	s_cbranch_execz .LBB14_155
; %bb.152:
	v_and_b32_e32 v97, -8, v98
	v_sub_u32_e32 v99, 0, v97
	s_mov_b64 s[6:7], 5
	s_movk_i32 s10, 0xa0
	s_mov_b64 s[8:9], 0
.LBB14_153:                             ; =>This Inner Loop Header: Depth=1
	s_lshl_b32 s11, s6, 1
	s_add_i32 s12, s11, -1
	v_mov_b32_e32 v97, s10
	s_add_i32 s13, s11, -2
	s_set_gpr_idx_on s12, gpr_idx(SRC0)
	v_mov_b32_e32 v109, v32
	s_set_gpr_idx_off
	s_set_gpr_idx_on s13, gpr_idx(SRC0)
	v_mov_b32_e32 v108, v32
	s_set_gpr_idx_off
	ds_read_b128 v[100:103], v97
	ds_read_b128 v[104:107], v97 offset:16
	s_add_i32 s12, s11, 3
	s_add_i32 s13, s11, 2
	s_waitcnt lgkmcnt(1)
	v_fma_f64 v[94:95], v[108:109], v[100:101], v[94:95]
	ds_read_b128 v[108:111], v97 offset:32
	ds_read_b128 v[112:115], v97 offset:48
	s_set_gpr_idx_on s11, gpr_idx(SRC0)
	v_mov_b32_e32 v101, v33
	v_mov_b32_e32 v100, v32
	s_set_gpr_idx_off
	v_fma_f64 v[94:95], v[100:101], v[102:103], v[94:95]
	s_set_gpr_idx_on s12, gpr_idx(SRC0)
	v_mov_b32_e32 v101, v32
	s_set_gpr_idx_off
	s_set_gpr_idx_on s13, gpr_idx(SRC0)
	v_mov_b32_e32 v100, v32
	s_set_gpr_idx_off
	s_add_i32 s12, s11, 5
	s_add_i32 s13, s11, 4
	s_waitcnt lgkmcnt(2)
	v_fma_f64 v[94:95], v[100:101], v[104:105], v[94:95]
	s_set_gpr_idx_on s12, gpr_idx(SRC0)
	v_mov_b32_e32 v101, v32
	s_set_gpr_idx_off
	s_set_gpr_idx_on s13, gpr_idx(SRC0)
	v_mov_b32_e32 v100, v32
	s_set_gpr_idx_off
	s_add_i32 s12, s11, 7
	s_add_i32 s13, s11, 6
	v_fma_f64 v[94:95], v[100:101], v[106:107], v[94:95]
	s_set_gpr_idx_on s12, gpr_idx(SRC0)
	v_mov_b32_e32 v101, v32
	s_set_gpr_idx_off
	s_set_gpr_idx_on s13, gpr_idx(SRC0)
	v_mov_b32_e32 v100, v32
	s_set_gpr_idx_off
	s_add_i32 s12, s11, 9
	s_add_i32 s13, s11, 8
	s_waitcnt lgkmcnt(1)
	v_fma_f64 v[94:95], v[100:101], v[108:109], v[94:95]
	s_set_gpr_idx_on s12, gpr_idx(SRC0)
	v_mov_b32_e32 v101, v32
	s_set_gpr_idx_off
	s_set_gpr_idx_on s13, gpr_idx(SRC0)
	v_mov_b32_e32 v100, v32
	s_set_gpr_idx_off
	s_add_i32 s12, s11, 11
	s_add_i32 s13, s11, 10
	v_fma_f64 v[94:95], v[100:101], v[110:111], v[94:95]
	s_set_gpr_idx_on s12, gpr_idx(SRC0)
	v_mov_b32_e32 v101, v32
	s_set_gpr_idx_off
	s_set_gpr_idx_on s13, gpr_idx(SRC0)
	v_mov_b32_e32 v100, v32
	s_set_gpr_idx_off
	s_add_i32 s12, s11, 13
	s_add_i32 s11, s11, 12
	s_add_u32 s6, s6, 8
	v_add_u32_e32 v97, s6, v99
	s_addc_u32 s7, s7, 0
	s_waitcnt lgkmcnt(0)
	v_fma_f64 v[94:95], v[100:101], v[112:113], v[94:95]
	s_set_gpr_idx_on s12, gpr_idx(SRC0)
	v_mov_b32_e32 v101, v32
	s_set_gpr_idx_off
	s_set_gpr_idx_on s11, gpr_idx(SRC0)
	v_mov_b32_e32 v100, v32
	s_set_gpr_idx_off
	s_add_i32 s10, s10, 64
	s_add_i32 s11, s6, -1
	v_cmp_eq_u32_e32 vcc, 5, v97
	s_or_b64 s[8:9], vcc, s[8:9]
	v_mov_b32_e32 v97, s11
	v_fma_f64 v[94:95], v[100:101], v[114:115], v[94:95]
	s_andn2_b64 exec, exec, s[8:9]
	s_cbranch_execnz .LBB14_153
; %bb.154:
	s_or_b64 exec, exec, s[8:9]
.LBB14_155:
	s_or_b64 exec, exec, s[0:1]
	v_and_b32_e32 v62, 7, v98
	v_cmp_ne_u32_e32 vcc, 0, v62
	s_and_saveexec_b64 s[6:7], vcc
	s_cbranch_execz .LBB14_159
; %bb.156:
	v_mov_b32_e32 v63, 0x80
	v_lshl_add_u32 v63, v97, 3, v63
	v_mov_b32_e32 v98, 0
	s_mov_b64 s[8:9], 0
.LBB14_157:                             ; =>This Inner Loop Header: Depth=1
	v_cmp_eq_u32_e32 vcc, 1, v97
	v_cndmask_b32_e32 v101, v33, v35, vcc
	v_cmp_eq_u32_e64 s[0:1], 2, v97
	v_cndmask_b32_e64 v101, v101, v37, s[0:1]
	v_cndmask_b32_e32 v102, v32, v34, vcc
	v_cmp_eq_u32_e32 vcc, 3, v97
	v_cndmask_b32_e32 v101, v101, v39, vcc
	v_cndmask_b32_e64 v102, v102, v36, s[0:1]
	v_cmp_eq_u32_e64 s[0:1], 4, v97
	v_cndmask_b32_e64 v101, v101, v41, s[0:1]
	v_cndmask_b32_e32 v102, v102, v38, vcc
	v_cmp_eq_u32_e32 vcc, 5, v97
	v_cndmask_b32_e32 v101, v101, v43, vcc
	v_cndmask_b32_e64 v102, v102, v40, s[0:1]
	v_cmp_eq_u32_e64 s[0:1], 6, v97
	v_cndmask_b32_e64 v101, v101, v45, s[0:1]
	v_cndmask_b32_e32 v102, v102, v42, vcc
	v_cmp_eq_u32_e32 vcc, 7, v97
	v_cndmask_b32_e32 v101, v101, v47, vcc
	v_cndmask_b32_e64 v102, v102, v44, s[0:1]
	v_cmp_eq_u32_e64 s[0:1], 8, v97
	v_cndmask_b32_e64 v101, v101, v49, s[0:1]
	v_cndmask_b32_e32 v102, v102, v46, vcc
	v_cmp_eq_u32_e32 vcc, 9, v97
	v_cndmask_b32_e32 v101, v101, v51, vcc
	v_cndmask_b32_e64 v102, v102, v48, s[0:1]
	v_cmp_eq_u32_e64 s[0:1], 10, v97
	v_cndmask_b32_e64 v101, v101, v53, s[0:1]
	v_cndmask_b32_e32 v102, v102, v50, vcc
	v_cmp_eq_u32_e32 vcc, 11, v97
	ds_read_b64 v[99:100], v63
	v_cndmask_b32_e32 v101, v101, v55, vcc
	v_cndmask_b32_e64 v102, v102, v52, s[0:1]
	v_cmp_eq_u32_e64 s[0:1], 12, v97
	v_cndmask_b32_e64 v101, v101, v57, s[0:1]
	v_cndmask_b32_e32 v102, v102, v54, vcc
	v_cmp_eq_u32_e32 vcc, 13, v97
	v_cndmask_b32_e32 v101, v101, v59, vcc
	v_cndmask_b32_e64 v103, v102, v56, s[0:1]
	v_cmp_eq_u32_e64 s[0:1], 14, v97
	v_cndmask_b32_e64 v102, v101, v61, s[0:1]
	v_cndmask_b32_e32 v101, v103, v58, vcc
	v_cndmask_b32_e64 v101, v101, v60, s[0:1]
	s_waitcnt lgkmcnt(0)
	v_fma_f64 v[94:95], v[101:102], v[99:100], v[94:95]
	v_add_u32_e32 v62, -1, v62
	v_cmp_eq_u32_e32 vcc, 0, v62
	s_or_b64 s[8:9], vcc, s[8:9]
	v_add_co_u32_e32 v97, vcc, 1, v97
	v_add_u32_e32 v63, 8, v63
	v_addc_co_u32_e32 v98, vcc, 0, v98, vcc
	s_andn2_b64 exec, exec, s[8:9]
	s_cbranch_execnz .LBB14_157
; %bb.158:
	s_or_b64 exec, exec, s[8:9]
.LBB14_159:
	s_or_b64 exec, exec, s[6:7]
.LBB14_160:
	s_or_b64 exec, exec, s[4:5]
	v_mov_b32_e32 v38, 0
	ds_read_b64 v[38:39], v38 offset:24
	s_waitcnt lgkmcnt(0)
	v_mul_f64 v[38:39], v[94:95], v[38:39]
.LBB14_161:
	s_or_b64 exec, exec, s[34:35]
	v_cmp_lt_u32_e64 s[0:1], 2, v0
	ds_write_b64 v96, v[36:37]
	s_waitcnt lgkmcnt(0)
	; wave barrier
	s_and_saveexec_b64 s[34:35], s[0:1]
	s_cbranch_execz .LBB14_177
; %bb.162:
	s_andn2_b64 vcc, exec, s[30:31]
	s_cbranch_vccnz .LBB14_164
; %bb.163:
	v_cmp_eq_u32_e32 vcc, 1, v0
	v_cndmask_b32_e32 v94, v33, v35, vcc
	v_cmp_eq_u32_e64 s[4:5], 2, v0
	v_cndmask_b32_e64 v94, v94, v37, s[4:5]
	v_cmp_eq_u32_e64 s[6:7], 3, v0
	v_cndmask_b32_e64 v94, v94, v39, s[6:7]
	;; [unrolled: 2-line block ×13, first 2 shown]
	v_cndmask_b32_e32 v94, v32, v34, vcc
	v_cndmask_b32_e64 v94, v94, v36, s[4:5]
	v_cndmask_b32_e64 v94, v94, v38, s[6:7]
	;; [unrolled: 1-line block ×9, first 2 shown]
	ds_read_b64 v[97:98], v96
	v_cndmask_b32_e64 v94, v94, v54, s[22:23]
	v_cndmask_b32_e64 v94, v94, v56, s[24:25]
	;; [unrolled: 1-line block ×4, first 2 shown]
	s_waitcnt lgkmcnt(0)
	v_mul_f64 v[94:95], v[94:95], v[97:98]
	s_cbranch_execz .LBB14_165
	s_branch .LBB14_166
.LBB14_164:
                                        ; implicit-def: $vgpr94_vgpr95
.LBB14_165:
	ds_read_b64 v[94:95], v96
.LBB14_166:
	s_and_saveexec_b64 s[4:5], s[2:3]
	s_cbranch_execz .LBB14_176
; %bb.167:
	v_add_u32_e32 v97, -4, v0
	v_add_u32_e32 v98, -3, v0
	v_cmp_lt_u32_e32 vcc, 6, v97
	v_mov_b32_e32 v97, 3
	s_and_saveexec_b64 s[2:3], vcc
	s_cbranch_execz .LBB14_171
; %bb.168:
	v_and_b32_e32 v97, -8, v98
	v_sub_u32_e32 v99, 0, v97
	s_mov_b64 s[6:7], 10
	s_movk_i32 s10, 0x98
	s_mov_b64 s[8:9], 0
.LBB14_169:                             ; =>This Inner Loop Header: Depth=1
	s_lshl_b32 s11, s6, 1
	s_add_i32 s12, s11, -13
	v_mov_b32_e32 v97, s10
	s_add_i32 s13, s11, -14
	s_set_gpr_idx_on s12, gpr_idx(SRC0)
	v_mov_b32_e32 v105, v32
	s_set_gpr_idx_off
	s_set_gpr_idx_on s13, gpr_idx(SRC0)
	v_mov_b32_e32 v104, v32
	s_set_gpr_idx_off
	ds_read2_b64 v[100:103], v97 offset1:1
	s_add_i32 s12, s11, -11
	s_add_i32 s13, s11, -12
	;; [unrolled: 1-line block ×4, first 2 shown]
	s_waitcnt lgkmcnt(0)
	v_fma_f64 v[94:95], v[104:105], v[100:101], v[94:95]
	s_set_gpr_idx_on s12, gpr_idx(SRC0)
	v_mov_b32_e32 v101, v32
	s_set_gpr_idx_off
	s_set_gpr_idx_on s13, gpr_idx(SRC0)
	v_mov_b32_e32 v100, v32
	s_set_gpr_idx_off
	s_add_i32 s12, s11, -7
	s_add_i32 s13, s11, -8
	v_fma_f64 v[94:95], v[100:101], v[102:103], v[94:95]
	s_set_gpr_idx_on s14, gpr_idx(SRC0)
	v_mov_b32_e32 v105, v32
	s_set_gpr_idx_off
	s_set_gpr_idx_on s15, gpr_idx(SRC0)
	v_mov_b32_e32 v104, v32
	s_set_gpr_idx_off
	ds_read2_b64 v[100:103], v97 offset0:2 offset1:3
	s_add_i32 s14, s11, -5
	s_add_i32 s15, s11, -6
	s_waitcnt lgkmcnt(0)
	v_fma_f64 v[94:95], v[104:105], v[100:101], v[94:95]
	s_set_gpr_idx_on s12, gpr_idx(SRC0)
	v_mov_b32_e32 v101, v32
	s_set_gpr_idx_off
	s_set_gpr_idx_on s13, gpr_idx(SRC0)
	v_mov_b32_e32 v100, v32
	s_set_gpr_idx_off
	s_add_i32 s12, s11, -3
	s_add_i32 s13, s11, -4
	v_fma_f64 v[94:95], v[100:101], v[102:103], v[94:95]
	s_set_gpr_idx_on s14, gpr_idx(SRC0)
	v_mov_b32_e32 v105, v32
	s_set_gpr_idx_off
	s_set_gpr_idx_on s15, gpr_idx(SRC0)
	v_mov_b32_e32 v104, v32
	s_set_gpr_idx_off
	ds_read2_b64 v[100:103], v97 offset0:4 offset1:5
	s_add_i32 s14, s11, -1
	s_add_i32 s15, s11, -2
	s_add_u32 s6, s6, 8
	s_addc_u32 s7, s7, 0
	s_waitcnt lgkmcnt(0)
	v_fma_f64 v[94:95], v[104:105], v[100:101], v[94:95]
	s_set_gpr_idx_on s12, gpr_idx(SRC0)
	v_mov_b32_e32 v101, v32
	s_set_gpr_idx_off
	s_set_gpr_idx_on s13, gpr_idx(SRC0)
	v_mov_b32_e32 v100, v32
	s_set_gpr_idx_off
	s_add_i32 s10, s10, 64
	v_fma_f64 v[94:95], v[100:101], v[102:103], v[94:95]
	s_set_gpr_idx_on s14, gpr_idx(SRC0)
	v_mov_b32_e32 v105, v32
	s_set_gpr_idx_off
	s_set_gpr_idx_on s15, gpr_idx(SRC0)
	v_mov_b32_e32 v104, v32
	s_set_gpr_idx_off
	ds_read2_b64 v[100:103], v97 offset0:6 offset1:7
	v_add_u32_e32 v97, s6, v99
	v_cmp_eq_u32_e32 vcc, 10, v97
	s_waitcnt lgkmcnt(0)
	v_fma_f64 v[94:95], v[104:105], v[100:101], v[94:95]
	s_set_gpr_idx_on s11, gpr_idx(SRC0)
	v_mov_b32_e32 v101, v33
	v_mov_b32_e32 v100, v32
	s_set_gpr_idx_off
	s_add_i32 s11, s6, -7
	s_or_b64 s[8:9], vcc, s[8:9]
	v_mov_b32_e32 v97, s11
	v_fma_f64 v[94:95], v[100:101], v[102:103], v[94:95]
	s_andn2_b64 exec, exec, s[8:9]
	s_cbranch_execnz .LBB14_169
; %bb.170:
	s_or_b64 exec, exec, s[8:9]
.LBB14_171:
	s_or_b64 exec, exec, s[2:3]
	v_and_b32_e32 v62, 7, v98
	v_cmp_ne_u32_e32 vcc, 0, v62
	s_and_saveexec_b64 s[6:7], vcc
	s_cbranch_execz .LBB14_175
; %bb.172:
	v_mov_b32_e32 v63, 0x80
	v_lshl_add_u32 v63, v97, 3, v63
	v_mov_b32_e32 v98, 0
	s_mov_b64 s[8:9], 0
.LBB14_173:                             ; =>This Inner Loop Header: Depth=1
	v_cmp_eq_u32_e32 vcc, 1, v97
	v_cndmask_b32_e32 v101, v33, v35, vcc
	v_cmp_eq_u32_e64 s[2:3], 2, v97
	v_cndmask_b32_e64 v101, v101, v37, s[2:3]
	v_cndmask_b32_e32 v102, v32, v34, vcc
	v_cmp_eq_u32_e32 vcc, 3, v97
	v_cndmask_b32_e32 v101, v101, v39, vcc
	v_cndmask_b32_e64 v102, v102, v36, s[2:3]
	v_cmp_eq_u32_e64 s[2:3], 4, v97
	v_cndmask_b32_e64 v101, v101, v41, s[2:3]
	v_cndmask_b32_e32 v102, v102, v38, vcc
	v_cmp_eq_u32_e32 vcc, 5, v97
	v_cndmask_b32_e32 v101, v101, v43, vcc
	v_cndmask_b32_e64 v102, v102, v40, s[2:3]
	v_cmp_eq_u32_e64 s[2:3], 6, v97
	v_cndmask_b32_e64 v101, v101, v45, s[2:3]
	v_cndmask_b32_e32 v102, v102, v42, vcc
	v_cmp_eq_u32_e32 vcc, 7, v97
	v_cndmask_b32_e32 v101, v101, v47, vcc
	v_cndmask_b32_e64 v102, v102, v44, s[2:3]
	v_cmp_eq_u32_e64 s[2:3], 8, v97
	v_cndmask_b32_e64 v101, v101, v49, s[2:3]
	v_cndmask_b32_e32 v102, v102, v46, vcc
	v_cmp_eq_u32_e32 vcc, 9, v97
	v_cndmask_b32_e32 v101, v101, v51, vcc
	v_cndmask_b32_e64 v102, v102, v48, s[2:3]
	v_cmp_eq_u32_e64 s[2:3], 10, v97
	v_cndmask_b32_e64 v101, v101, v53, s[2:3]
	v_cndmask_b32_e32 v102, v102, v50, vcc
	v_cmp_eq_u32_e32 vcc, 11, v97
	ds_read_b64 v[99:100], v63
	v_cndmask_b32_e32 v101, v101, v55, vcc
	v_cndmask_b32_e64 v102, v102, v52, s[2:3]
	v_cmp_eq_u32_e64 s[2:3], 12, v97
	v_cndmask_b32_e64 v101, v101, v57, s[2:3]
	v_cndmask_b32_e32 v102, v102, v54, vcc
	v_cmp_eq_u32_e32 vcc, 13, v97
	v_cndmask_b32_e32 v101, v101, v59, vcc
	v_cndmask_b32_e64 v103, v102, v56, s[2:3]
	v_cmp_eq_u32_e64 s[2:3], 14, v97
	v_cndmask_b32_e64 v102, v101, v61, s[2:3]
	v_cndmask_b32_e32 v101, v103, v58, vcc
	v_cndmask_b32_e64 v101, v101, v60, s[2:3]
	s_waitcnt lgkmcnt(0)
	v_fma_f64 v[94:95], v[101:102], v[99:100], v[94:95]
	v_add_u32_e32 v62, -1, v62
	v_cmp_eq_u32_e32 vcc, 0, v62
	s_or_b64 s[8:9], vcc, s[8:9]
	v_add_co_u32_e32 v97, vcc, 1, v97
	v_add_u32_e32 v63, 8, v63
	v_addc_co_u32_e32 v98, vcc, 0, v98, vcc
	s_andn2_b64 exec, exec, s[8:9]
	s_cbranch_execnz .LBB14_173
; %bb.174:
	s_or_b64 exec, exec, s[8:9]
.LBB14_175:
	s_or_b64 exec, exec, s[6:7]
.LBB14_176:
	s_or_b64 exec, exec, s[4:5]
	v_mov_b32_e32 v36, 0
	ds_read_b64 v[36:37], v36 offset:16
	s_waitcnt lgkmcnt(0)
	v_mul_f64 v[36:37], v[94:95], v[36:37]
.LBB14_177:
	s_or_b64 exec, exec, s[34:35]
	v_cmp_lt_u32_e64 s[2:3], 1, v0
	ds_write_b64 v96, v[34:35]
	s_waitcnt lgkmcnt(0)
	; wave barrier
	s_and_saveexec_b64 s[34:35], s[2:3]
	s_cbranch_execz .LBB14_193
; %bb.178:
	s_andn2_b64 vcc, exec, s[30:31]
	s_cbranch_vccnz .LBB14_180
; %bb.179:
	v_cmp_eq_u32_e32 vcc, 1, v0
	v_cndmask_b32_e32 v94, v33, v35, vcc
	v_cmp_eq_u32_e64 s[4:5], 2, v0
	v_cndmask_b32_e64 v94, v94, v37, s[4:5]
	v_cmp_eq_u32_e64 s[6:7], 3, v0
	v_cndmask_b32_e64 v94, v94, v39, s[6:7]
	;; [unrolled: 2-line block ×13, first 2 shown]
	v_cndmask_b32_e32 v94, v32, v34, vcc
	v_cndmask_b32_e64 v94, v94, v36, s[4:5]
	v_cndmask_b32_e64 v94, v94, v38, s[6:7]
	;; [unrolled: 1-line block ×9, first 2 shown]
	ds_read_b64 v[97:98], v96
	v_cndmask_b32_e64 v94, v94, v54, s[22:23]
	v_cndmask_b32_e64 v94, v94, v56, s[24:25]
	;; [unrolled: 1-line block ×4, first 2 shown]
	s_waitcnt lgkmcnt(0)
	v_mul_f64 v[94:95], v[94:95], v[97:98]
	s_cbranch_execz .LBB14_181
	s_branch .LBB14_182
.LBB14_180:
                                        ; implicit-def: $vgpr94_vgpr95
.LBB14_181:
	ds_read_b64 v[94:95], v96
.LBB14_182:
	s_and_saveexec_b64 s[4:5], s[0:1]
	s_cbranch_execz .LBB14_192
; %bb.183:
	v_add_u32_e32 v97, -3, v0
	v_add_u32_e32 v98, -2, v0
	v_cmp_lt_u32_e32 vcc, 6, v97
	v_mov_b32_e32 v97, 2
	s_and_saveexec_b64 s[0:1], vcc
	s_cbranch_execz .LBB14_187
; %bb.184:
	v_and_b32_e32 v97, -8, v98
	v_sub_u32_e32 v99, 0, v97
	s_mov_b64 s[6:7], 9
	s_movk_i32 s10, 0x90
	s_mov_b64 s[8:9], 0
.LBB14_185:                             ; =>This Inner Loop Header: Depth=1
	s_lshl_b32 s11, s6, 1
	s_add_i32 s12, s11, -13
	v_mov_b32_e32 v97, s10
	s_add_i32 s13, s11, -14
	s_set_gpr_idx_on s12, gpr_idx(SRC0)
	v_mov_b32_e32 v109, v32
	s_set_gpr_idx_off
	s_set_gpr_idx_on s13, gpr_idx(SRC0)
	v_mov_b32_e32 v108, v32
	s_set_gpr_idx_off
	ds_read_b128 v[100:103], v97
	ds_read_b128 v[104:107], v97 offset:16
	s_add_i32 s12, s11, -11
	s_add_i32 s13, s11, -12
	s_waitcnt lgkmcnt(1)
	v_fma_f64 v[94:95], v[108:109], v[100:101], v[94:95]
	ds_read_b128 v[108:111], v97 offset:32
	ds_read_b128 v[112:115], v97 offset:48
	s_set_gpr_idx_on s12, gpr_idx(SRC0)
	v_mov_b32_e32 v101, v32
	s_set_gpr_idx_off
	s_set_gpr_idx_on s13, gpr_idx(SRC0)
	v_mov_b32_e32 v100, v32
	s_set_gpr_idx_off
	s_add_i32 s12, s11, -9
	s_add_i32 s13, s11, -10
	v_fma_f64 v[94:95], v[100:101], v[102:103], v[94:95]
	s_set_gpr_idx_on s12, gpr_idx(SRC0)
	v_mov_b32_e32 v101, v32
	s_set_gpr_idx_off
	s_set_gpr_idx_on s13, gpr_idx(SRC0)
	v_mov_b32_e32 v100, v32
	s_set_gpr_idx_off
	s_add_i32 s12, s11, -7
	s_add_i32 s13, s11, -8
	s_waitcnt lgkmcnt(2)
	v_fma_f64 v[94:95], v[100:101], v[104:105], v[94:95]
	s_set_gpr_idx_on s12, gpr_idx(SRC0)
	v_mov_b32_e32 v101, v32
	s_set_gpr_idx_off
	s_set_gpr_idx_on s13, gpr_idx(SRC0)
	v_mov_b32_e32 v100, v32
	s_set_gpr_idx_off
	s_add_i32 s12, s11, -5
	s_add_i32 s13, s11, -6
	v_fma_f64 v[94:95], v[100:101], v[106:107], v[94:95]
	s_set_gpr_idx_on s12, gpr_idx(SRC0)
	v_mov_b32_e32 v101, v32
	s_set_gpr_idx_off
	s_set_gpr_idx_on s13, gpr_idx(SRC0)
	v_mov_b32_e32 v100, v32
	s_set_gpr_idx_off
	s_add_i32 s12, s11, -3
	s_add_i32 s13, s11, -4
	s_waitcnt lgkmcnt(1)
	v_fma_f64 v[94:95], v[100:101], v[108:109], v[94:95]
	s_set_gpr_idx_on s12, gpr_idx(SRC0)
	v_mov_b32_e32 v101, v32
	s_set_gpr_idx_off
	s_set_gpr_idx_on s13, gpr_idx(SRC0)
	v_mov_b32_e32 v100, v32
	s_set_gpr_idx_off
	s_add_i32 s12, s11, -1
	s_add_i32 s13, s11, -2
	s_add_u32 s6, s6, 8
	v_add_u32_e32 v97, s6, v99
	s_addc_u32 s7, s7, 0
	v_fma_f64 v[94:95], v[100:101], v[110:111], v[94:95]
	s_set_gpr_idx_on s12, gpr_idx(SRC0)
	v_mov_b32_e32 v101, v32
	s_set_gpr_idx_off
	s_set_gpr_idx_on s13, gpr_idx(SRC0)
	v_mov_b32_e32 v100, v32
	s_set_gpr_idx_off
	s_add_i32 s10, s10, 64
	v_cmp_eq_u32_e32 vcc, 9, v97
	s_waitcnt lgkmcnt(0)
	v_fma_f64 v[94:95], v[100:101], v[112:113], v[94:95]
	s_set_gpr_idx_on s11, gpr_idx(SRC0)
	v_mov_b32_e32 v101, v33
	v_mov_b32_e32 v100, v32
	s_set_gpr_idx_off
	s_add_i32 s11, s6, -7
	s_or_b64 s[8:9], vcc, s[8:9]
	v_mov_b32_e32 v97, s11
	v_fma_f64 v[94:95], v[100:101], v[114:115], v[94:95]
	s_andn2_b64 exec, exec, s[8:9]
	s_cbranch_execnz .LBB14_185
; %bb.186:
	s_or_b64 exec, exec, s[8:9]
.LBB14_187:
	s_or_b64 exec, exec, s[0:1]
	v_and_b32_e32 v62, 7, v98
	v_cmp_ne_u32_e32 vcc, 0, v62
	s_and_saveexec_b64 s[6:7], vcc
	s_cbranch_execz .LBB14_191
; %bb.188:
	v_mov_b32_e32 v63, 0x80
	v_lshl_add_u32 v63, v97, 3, v63
	v_mov_b32_e32 v98, 0
	s_mov_b64 s[8:9], 0
.LBB14_189:                             ; =>This Inner Loop Header: Depth=1
	v_cmp_eq_u32_e32 vcc, 1, v97
	v_cndmask_b32_e32 v101, v33, v35, vcc
	v_cmp_eq_u32_e64 s[0:1], 2, v97
	v_cndmask_b32_e64 v101, v101, v37, s[0:1]
	v_cndmask_b32_e32 v102, v32, v34, vcc
	v_cmp_eq_u32_e32 vcc, 3, v97
	v_cndmask_b32_e32 v101, v101, v39, vcc
	v_cndmask_b32_e64 v102, v102, v36, s[0:1]
	v_cmp_eq_u32_e64 s[0:1], 4, v97
	v_cndmask_b32_e64 v101, v101, v41, s[0:1]
	v_cndmask_b32_e32 v102, v102, v38, vcc
	v_cmp_eq_u32_e32 vcc, 5, v97
	v_cndmask_b32_e32 v101, v101, v43, vcc
	v_cndmask_b32_e64 v102, v102, v40, s[0:1]
	;; [unrolled: 6-line block ×4, first 2 shown]
	v_cmp_eq_u32_e64 s[0:1], 10, v97
	v_cndmask_b32_e64 v101, v101, v53, s[0:1]
	v_cndmask_b32_e32 v102, v102, v50, vcc
	v_cmp_eq_u32_e32 vcc, 11, v97
	ds_read_b64 v[99:100], v63
	v_cndmask_b32_e32 v101, v101, v55, vcc
	v_cndmask_b32_e64 v102, v102, v52, s[0:1]
	v_cmp_eq_u32_e64 s[0:1], 12, v97
	v_cndmask_b32_e64 v101, v101, v57, s[0:1]
	v_cndmask_b32_e32 v102, v102, v54, vcc
	v_cmp_eq_u32_e32 vcc, 13, v97
	v_cndmask_b32_e32 v101, v101, v59, vcc
	v_cndmask_b32_e64 v103, v102, v56, s[0:1]
	v_cmp_eq_u32_e64 s[0:1], 14, v97
	v_cndmask_b32_e64 v102, v101, v61, s[0:1]
	v_cndmask_b32_e32 v101, v103, v58, vcc
	v_cndmask_b32_e64 v101, v101, v60, s[0:1]
	s_waitcnt lgkmcnt(0)
	v_fma_f64 v[94:95], v[101:102], v[99:100], v[94:95]
	v_add_u32_e32 v62, -1, v62
	v_cmp_eq_u32_e32 vcc, 0, v62
	s_or_b64 s[8:9], vcc, s[8:9]
	v_add_co_u32_e32 v97, vcc, 1, v97
	v_add_u32_e32 v63, 8, v63
	v_addc_co_u32_e32 v98, vcc, 0, v98, vcc
	s_andn2_b64 exec, exec, s[8:9]
	s_cbranch_execnz .LBB14_189
; %bb.190:
	s_or_b64 exec, exec, s[8:9]
.LBB14_191:
	s_or_b64 exec, exec, s[6:7]
.LBB14_192:
	s_or_b64 exec, exec, s[4:5]
	v_mov_b32_e32 v34, 0
	ds_read_b64 v[34:35], v34 offset:8
	s_waitcnt lgkmcnt(0)
	v_mul_f64 v[34:35], v[94:95], v[34:35]
.LBB14_193:
	s_or_b64 exec, exec, s[34:35]
	v_cmp_ne_u32_e32 vcc, 0, v0
	ds_write_b64 v96, v[32:33]
	s_waitcnt lgkmcnt(0)
	; wave barrier
	s_and_saveexec_b64 s[28:29], vcc
	s_cbranch_execz .LBB14_209
; %bb.194:
	s_andn2_b64 vcc, exec, s[30:31]
	s_cbranch_vccnz .LBB14_196
; %bb.195:
	v_cmp_eq_u32_e32 vcc, 1, v0
	v_cndmask_b32_e32 v94, v33, v35, vcc
	v_cmp_eq_u32_e64 s[0:1], 2, v0
	v_cndmask_b32_e64 v94, v94, v37, s[0:1]
	v_cmp_eq_u32_e64 s[4:5], 3, v0
	v_cndmask_b32_e64 v94, v94, v39, s[4:5]
	;; [unrolled: 2-line block ×13, first 2 shown]
	v_cndmask_b32_e32 v94, v32, v34, vcc
	v_cndmask_b32_e64 v94, v94, v36, s[0:1]
	v_cndmask_b32_e64 v94, v94, v38, s[4:5]
	;; [unrolled: 1-line block ×9, first 2 shown]
	ds_read_b64 v[97:98], v96
	v_cndmask_b32_e64 v94, v94, v54, s[20:21]
	v_cndmask_b32_e64 v94, v94, v56, s[22:23]
	;; [unrolled: 1-line block ×4, first 2 shown]
	s_waitcnt lgkmcnt(0)
	v_mul_f64 v[94:95], v[94:95], v[97:98]
	s_cbranch_execz .LBB14_197
	s_branch .LBB14_198
.LBB14_196:
                                        ; implicit-def: $vgpr94_vgpr95
.LBB14_197:
	ds_read_b64 v[94:95], v96
.LBB14_198:
	s_and_saveexec_b64 s[4:5], s[2:3]
	s_cbranch_execz .LBB14_208
; %bb.199:
	v_add_u32_e32 v97, -2, v0
	v_add_u32_e32 v98, -1, v0
	v_cmp_lt_u32_e32 vcc, 6, v97
	v_mov_b32_e32 v97, 1
	s_and_saveexec_b64 s[0:1], vcc
	s_cbranch_execz .LBB14_203
; %bb.200:
	v_and_b32_e32 v97, -8, v98
	v_sub_u32_e32 v99, 0, v97
	s_mov_b64 s[2:3], 8
	s_movk_i32 s8, 0x88
	s_mov_b64 s[6:7], 0
.LBB14_201:                             ; =>This Inner Loop Header: Depth=1
	s_lshl_b32 s9, s2, 1
	s_add_i32 s10, s9, -13
	v_mov_b32_e32 v97, s8
	s_add_i32 s11, s9, -14
	s_set_gpr_idx_on s10, gpr_idx(SRC0)
	v_mov_b32_e32 v105, v32
	s_set_gpr_idx_off
	s_set_gpr_idx_on s11, gpr_idx(SRC0)
	v_mov_b32_e32 v104, v32
	s_set_gpr_idx_off
	ds_read2_b64 v[100:103], v97 offset1:1
	s_add_i32 s10, s9, -11
	s_add_i32 s11, s9, -12
	;; [unrolled: 1-line block ×4, first 2 shown]
	s_waitcnt lgkmcnt(0)
	v_fma_f64 v[94:95], v[104:105], v[100:101], v[94:95]
	s_set_gpr_idx_on s10, gpr_idx(SRC0)
	v_mov_b32_e32 v101, v32
	s_set_gpr_idx_off
	s_set_gpr_idx_on s11, gpr_idx(SRC0)
	v_mov_b32_e32 v100, v32
	s_set_gpr_idx_off
	s_add_i32 s10, s9, -7
	s_add_i32 s11, s9, -8
	v_fma_f64 v[94:95], v[100:101], v[102:103], v[94:95]
	s_set_gpr_idx_on s12, gpr_idx(SRC0)
	v_mov_b32_e32 v105, v32
	s_set_gpr_idx_off
	s_set_gpr_idx_on s13, gpr_idx(SRC0)
	v_mov_b32_e32 v104, v32
	s_set_gpr_idx_off
	ds_read2_b64 v[100:103], v97 offset0:2 offset1:3
	s_add_i32 s12, s9, -5
	s_add_i32 s13, s9, -6
	s_waitcnt lgkmcnt(0)
	v_fma_f64 v[94:95], v[104:105], v[100:101], v[94:95]
	s_set_gpr_idx_on s10, gpr_idx(SRC0)
	v_mov_b32_e32 v101, v32
	s_set_gpr_idx_off
	s_set_gpr_idx_on s11, gpr_idx(SRC0)
	v_mov_b32_e32 v100, v32
	s_set_gpr_idx_off
	s_add_i32 s10, s9, -3
	s_add_i32 s11, s9, -4
	v_fma_f64 v[94:95], v[100:101], v[102:103], v[94:95]
	s_set_gpr_idx_on s12, gpr_idx(SRC0)
	v_mov_b32_e32 v105, v32
	s_set_gpr_idx_off
	s_set_gpr_idx_on s13, gpr_idx(SRC0)
	v_mov_b32_e32 v104, v32
	s_set_gpr_idx_off
	ds_read2_b64 v[100:103], v97 offset0:4 offset1:5
	s_add_i32 s12, s9, -1
	s_add_i32 s13, s9, -2
	s_add_u32 s2, s2, 8
	s_addc_u32 s3, s3, 0
	s_waitcnt lgkmcnt(0)
	v_fma_f64 v[94:95], v[104:105], v[100:101], v[94:95]
	s_set_gpr_idx_on s10, gpr_idx(SRC0)
	v_mov_b32_e32 v101, v32
	s_set_gpr_idx_off
	s_set_gpr_idx_on s11, gpr_idx(SRC0)
	v_mov_b32_e32 v100, v32
	s_set_gpr_idx_off
	s_add_i32 s8, s8, 64
	v_fma_f64 v[94:95], v[100:101], v[102:103], v[94:95]
	s_set_gpr_idx_on s12, gpr_idx(SRC0)
	v_mov_b32_e32 v105, v32
	s_set_gpr_idx_off
	s_set_gpr_idx_on s13, gpr_idx(SRC0)
	v_mov_b32_e32 v104, v32
	s_set_gpr_idx_off
	ds_read2_b64 v[100:103], v97 offset0:6 offset1:7
	v_add_u32_e32 v97, s2, v99
	v_cmp_eq_u32_e32 vcc, 8, v97
	s_waitcnt lgkmcnt(0)
	v_fma_f64 v[94:95], v[104:105], v[100:101], v[94:95]
	s_set_gpr_idx_on s9, gpr_idx(SRC0)
	v_mov_b32_e32 v101, v33
	v_mov_b32_e32 v100, v32
	s_set_gpr_idx_off
	s_add_i32 s9, s2, -7
	s_or_b64 s[6:7], vcc, s[6:7]
	v_mov_b32_e32 v97, s9
	v_fma_f64 v[94:95], v[100:101], v[102:103], v[94:95]
	s_andn2_b64 exec, exec, s[6:7]
	s_cbranch_execnz .LBB14_201
; %bb.202:
	s_or_b64 exec, exec, s[6:7]
.LBB14_203:
	s_or_b64 exec, exec, s[0:1]
	v_and_b32_e32 v62, 7, v98
	v_cmp_ne_u32_e32 vcc, 0, v62
	s_and_saveexec_b64 s[2:3], vcc
	s_cbranch_execz .LBB14_207
; %bb.204:
	v_mov_b32_e32 v63, 0x80
	v_lshl_add_u32 v63, v97, 3, v63
	v_mov_b32_e32 v98, 0
	s_mov_b64 s[6:7], 0
.LBB14_205:                             ; =>This Inner Loop Header: Depth=1
	v_cmp_eq_u32_e32 vcc, 1, v97
	v_cndmask_b32_e32 v101, v33, v35, vcc
	v_cmp_eq_u32_e64 s[0:1], 2, v97
	v_cndmask_b32_e64 v101, v101, v37, s[0:1]
	v_cndmask_b32_e32 v102, v32, v34, vcc
	v_cmp_eq_u32_e32 vcc, 3, v97
	v_cndmask_b32_e32 v101, v101, v39, vcc
	v_cndmask_b32_e64 v102, v102, v36, s[0:1]
	v_cmp_eq_u32_e64 s[0:1], 4, v97
	v_cndmask_b32_e64 v101, v101, v41, s[0:1]
	v_cndmask_b32_e32 v102, v102, v38, vcc
	v_cmp_eq_u32_e32 vcc, 5, v97
	v_cndmask_b32_e32 v101, v101, v43, vcc
	v_cndmask_b32_e64 v102, v102, v40, s[0:1]
	;; [unrolled: 6-line block ×4, first 2 shown]
	v_cmp_eq_u32_e64 s[0:1], 10, v97
	v_cndmask_b32_e64 v101, v101, v53, s[0:1]
	v_cndmask_b32_e32 v102, v102, v50, vcc
	v_cmp_eq_u32_e32 vcc, 11, v97
	ds_read_b64 v[99:100], v63
	v_cndmask_b32_e32 v101, v101, v55, vcc
	v_cndmask_b32_e64 v102, v102, v52, s[0:1]
	v_cmp_eq_u32_e64 s[0:1], 12, v97
	v_cndmask_b32_e64 v101, v101, v57, s[0:1]
	v_cndmask_b32_e32 v102, v102, v54, vcc
	v_cmp_eq_u32_e32 vcc, 13, v97
	v_cndmask_b32_e32 v101, v101, v59, vcc
	v_cndmask_b32_e64 v103, v102, v56, s[0:1]
	v_cmp_eq_u32_e64 s[0:1], 14, v97
	v_cndmask_b32_e64 v102, v101, v61, s[0:1]
	v_cndmask_b32_e32 v101, v103, v58, vcc
	v_cndmask_b32_e64 v101, v101, v60, s[0:1]
	s_waitcnt lgkmcnt(0)
	v_fma_f64 v[94:95], v[101:102], v[99:100], v[94:95]
	v_add_u32_e32 v62, -1, v62
	v_cmp_eq_u32_e32 vcc, 0, v62
	s_or_b64 s[6:7], vcc, s[6:7]
	v_add_co_u32_e32 v97, vcc, 1, v97
	v_add_u32_e32 v63, 8, v63
	v_addc_co_u32_e32 v98, vcc, 0, v98, vcc
	s_andn2_b64 exec, exec, s[6:7]
	s_cbranch_execnz .LBB14_205
; %bb.206:
	s_or_b64 exec, exec, s[6:7]
.LBB14_207:
	s_or_b64 exec, exec, s[2:3]
.LBB14_208:
	s_or_b64 exec, exec, s[4:5]
	v_mov_b32_e32 v32, 0
	ds_read_b64 v[32:33], v32
	s_waitcnt lgkmcnt(0)
	v_mul_f64 v[32:33], v[94:95], v[32:33]
.LBB14_209:
	s_or_b64 exec, exec, s[28:29]
	s_branch .LBB14_353
.LBB14_210:
	v_cmp_eq_u32_e64 s[2:3], 0, v0
	s_waitcnt vmcnt(14)
	ds_write_b64 v96, v[4:5]
	s_waitcnt lgkmcnt(0)
	; wave barrier
	s_and_saveexec_b64 s[28:29], s[2:3]
	s_cbranch_execz .LBB14_216
; %bb.211:
	s_and_b64 vcc, exec, s[30:31]
	s_cbranch_vccz .LBB14_213
; %bb.212:
	v_cmp_eq_u32_e32 vcc, 1, v0
	s_waitcnt vmcnt(2)
	v_cndmask_b32_e32 v5, v3, v5, vcc
	v_cmp_eq_u32_e64 s[0:1], 2, v0
	v_cndmask_b32_e32 v4, v2, v4, vcc
	v_cndmask_b32_e64 v5, v5, v7, s[0:1]
	v_cmp_eq_u32_e64 s[4:5], 3, v0
	v_cndmask_b32_e64 v4, v4, v6, s[0:1]
	v_cndmask_b32_e64 v5, v5, v9, s[4:5]
	v_cmp_eq_u32_e64 s[6:7], 4, v0
	v_cndmask_b32_e64 v4, v4, v8, s[4:5]
	v_cndmask_b32_e64 v5, v5, v11, s[6:7]
	v_cmp_eq_u32_e64 s[8:9], 5, v0
	v_cndmask_b32_e64 v4, v4, v10, s[6:7]
	v_cndmask_b32_e64 v5, v5, v13, s[8:9]
	v_cmp_eq_u32_e64 s[10:11], 6, v0
	v_cndmask_b32_e64 v4, v4, v12, s[8:9]
	v_cndmask_b32_e64 v5, v5, v15, s[10:11]
	v_cmp_eq_u32_e64 s[12:13], 7, v0
	v_cndmask_b32_e64 v4, v4, v14, s[10:11]
	v_cndmask_b32_e64 v5, v5, v17, s[12:13]
	v_cmp_eq_u32_e64 s[14:15], 8, v0
	v_cndmask_b32_e64 v4, v4, v16, s[12:13]
	v_cndmask_b32_e64 v5, v5, v19, s[14:15]
	v_cmp_eq_u32_e64 s[16:17], 9, v0
	v_cndmask_b32_e64 v4, v4, v18, s[14:15]
	v_cndmask_b32_e64 v5, v5, v21, s[16:17]
	v_cmp_eq_u32_e64 s[18:19], 10, v0
	v_cndmask_b32_e64 v4, v4, v20, s[16:17]
	v_cndmask_b32_e64 v5, v5, v23, s[18:19]
	v_cmp_eq_u32_e64 s[20:21], 11, v0
	v_cndmask_b32_e64 v4, v4, v22, s[18:19]
	ds_read_b64 v[32:33], v96
	v_cndmask_b32_e64 v5, v5, v25, s[20:21]
	v_cmp_eq_u32_e64 s[22:23], 12, v0
	v_cndmask_b32_e64 v4, v4, v24, s[20:21]
	v_cndmask_b32_e64 v5, v5, v27, s[22:23]
	v_cmp_eq_u32_e64 s[24:25], 13, v0
	v_cndmask_b32_e64 v4, v4, v26, s[22:23]
	s_waitcnt vmcnt(1)
	v_cndmask_b32_e64 v5, v5, v29, s[24:25]
	v_cmp_eq_u32_e64 s[26:27], 14, v0
	v_cndmask_b32_e64 v4, v4, v28, s[24:25]
	s_waitcnt vmcnt(0)
	v_cndmask_b32_e64 v5, v5, v31, s[26:27]
	v_cndmask_b32_e64 v4, v4, v30, s[26:27]
	s_waitcnt lgkmcnt(0)
	v_mul_f64 v[4:5], v[4:5], v[32:33]
	s_cbranch_execz .LBB14_214
	s_branch .LBB14_215
.LBB14_213:
                                        ; implicit-def: $vgpr4_vgpr5
.LBB14_214:
	ds_read_b64 v[4:5], v96
.LBB14_215:
	v_mov_b32_e32 v32, 0
	ds_read_b64 v[32:33], v32 offset:8
	s_waitcnt lgkmcnt(0)
	v_mul_f64 v[4:5], v[4:5], v[32:33]
.LBB14_216:
	s_or_b64 exec, exec, s[28:29]
	v_cndmask_b32_e64 v32, 0, 1, s[30:31]
	v_cmp_gt_u32_e32 vcc, 2, v0
	v_cmp_ne_u32_e64 s[0:1], 1, v32
	s_waitcnt vmcnt(13)
	ds_write_b64 v96, v[6:7]
	s_waitcnt lgkmcnt(0)
	; wave barrier
	s_and_saveexec_b64 s[30:31], vcc
	s_cbranch_execz .LBB14_222
; %bb.217:
	s_and_b64 vcc, exec, s[0:1]
	s_cbranch_vccnz .LBB14_219
; %bb.218:
	v_cmp_eq_u32_e32 vcc, 1, v0
	s_waitcnt vmcnt(2)
	v_cndmask_b32_e32 v32, v3, v5, vcc
	v_cmp_eq_u32_e64 s[4:5], 2, v0
	v_cndmask_b32_e64 v7, v32, v7, s[4:5]
	v_cndmask_b32_e32 v32, v2, v4, vcc
	v_cmp_eq_u32_e64 s[6:7], 3, v0
	v_cndmask_b32_e64 v6, v32, v6, s[4:5]
	v_cndmask_b32_e64 v7, v7, v9, s[6:7]
	v_cmp_eq_u32_e64 s[8:9], 4, v0
	v_cndmask_b32_e64 v6, v6, v8, s[6:7]
	v_cndmask_b32_e64 v7, v7, v11, s[8:9]
	;; [unrolled: 3-line block ×8, first 2 shown]
	v_cmp_eq_u32_e64 s[22:23], 11, v0
	v_cndmask_b32_e64 v6, v6, v22, s[20:21]
	ds_read_b64 v[32:33], v96
	v_cndmask_b32_e64 v7, v7, v25, s[22:23]
	v_cmp_eq_u32_e64 s[24:25], 12, v0
	v_cndmask_b32_e64 v6, v6, v24, s[22:23]
	v_cndmask_b32_e64 v7, v7, v27, s[24:25]
	v_cmp_eq_u32_e64 s[26:27], 13, v0
	v_cndmask_b32_e64 v6, v6, v26, s[24:25]
	s_waitcnt vmcnt(1)
	v_cndmask_b32_e64 v7, v7, v29, s[26:27]
	v_cmp_eq_u32_e64 s[28:29], 14, v0
	v_cndmask_b32_e64 v6, v6, v28, s[26:27]
	s_waitcnt vmcnt(0)
	v_cndmask_b32_e64 v7, v7, v31, s[28:29]
	v_cndmask_b32_e64 v6, v6, v30, s[28:29]
	s_waitcnt lgkmcnt(0)
	v_mul_f64 v[6:7], v[6:7], v[32:33]
	s_cbranch_execz .LBB14_220
	s_branch .LBB14_221
.LBB14_219:
                                        ; implicit-def: $vgpr6_vgpr7
.LBB14_220:
	ds_read_b64 v[6:7], v96
.LBB14_221:
	v_mov_b32_e32 v32, 0
	ds_read2_b64 v[32:35], v32 offset0:2 offset1:17
	s_waitcnt lgkmcnt(0)
	v_fma_f64 v[34:35], v[4:5], v[34:35], v[6:7]
	v_cndmask_b32_e64 v7, v7, v35, s[2:3]
	v_cndmask_b32_e64 v6, v6, v34, s[2:3]
	v_mul_f64 v[6:7], v[6:7], v[32:33]
.LBB14_222:
	s_or_b64 exec, exec, s[30:31]
	v_add_u32_e32 v36, 1, v0
	v_cmp_gt_u32_e64 s[4:5], 3, v0
	s_waitcnt vmcnt(12)
	ds_write_b64 v96, v[8:9]
	s_waitcnt lgkmcnt(0)
	; wave barrier
	s_and_saveexec_b64 s[34:35], s[4:5]
	s_cbranch_execz .LBB14_230
; %bb.223:
	s_and_b64 vcc, exec, s[0:1]
	s_cbranch_vccnz .LBB14_225
; %bb.224:
	v_cmp_eq_u32_e32 vcc, 1, v0
	s_waitcnt vmcnt(2)
	v_cndmask_b32_e32 v32, v3, v5, vcc
	v_cmp_eq_u32_e64 s[6:7], 2, v0
	v_cndmask_b32_e64 v32, v32, v7, s[6:7]
	v_cmp_eq_u32_e64 s[8:9], 3, v0
	v_cndmask_b32_e64 v32, v32, v9, s[8:9]
	;; [unrolled: 2-line block ×11, first 2 shown]
	v_cmp_eq_u32_e64 s[28:29], 13, v0
	s_waitcnt vmcnt(1)
	v_cndmask_b32_e64 v32, v32, v29, s[28:29]
	v_cmp_eq_u32_e64 s[30:31], 14, v0
	s_waitcnt vmcnt(0)
	v_cndmask_b32_e64 v33, v32, v31, s[30:31]
	v_cndmask_b32_e32 v32, v2, v4, vcc
	v_cndmask_b32_e64 v32, v32, v6, s[6:7]
	v_cndmask_b32_e64 v32, v32, v8, s[8:9]
	;; [unrolled: 1-line block ×9, first 2 shown]
	ds_read_b64 v[34:35], v96
	v_cndmask_b32_e64 v32, v32, v24, s[24:25]
	v_cndmask_b32_e64 v32, v32, v26, s[26:27]
	;; [unrolled: 1-line block ×4, first 2 shown]
	s_waitcnt lgkmcnt(0)
	v_mul_f64 v[32:33], v[32:33], v[34:35]
	s_cbranch_execz .LBB14_226
	s_branch .LBB14_227
.LBB14_225:
                                        ; implicit-def: $vgpr32_vgpr33
.LBB14_226:
	ds_read_b64 v[32:33], v96
.LBB14_227:
	v_cmp_ne_u32_e32 vcc, 2, v0
	s_and_saveexec_b64 s[36:37], vcc
	s_cbranch_execz .LBB14_229
; %bb.228:
	v_cmp_eq_u32_e32 vcc, 1, v36
	s_waitcnt vmcnt(2)
	v_cndmask_b32_e32 v34, v3, v5, vcc
	v_cmp_eq_u32_e64 s[6:7], 2, v36
	v_cndmask_b32_e64 v34, v34, v7, s[6:7]
	v_cmp_eq_u32_e64 s[8:9], 3, v36
	v_cndmask_b32_e64 v9, v34, v9, s[8:9]
	v_cndmask_b32_e32 v34, v2, v4, vcc
	v_cndmask_b32_e64 v34, v34, v6, s[6:7]
	v_cmp_eq_u32_e64 s[10:11], 4, v36
	v_cndmask_b32_e64 v8, v34, v8, s[8:9]
	v_cndmask_b32_e64 v9, v9, v11, s[10:11]
	v_cmp_eq_u32_e64 s[12:13], 5, v36
	v_cndmask_b32_e64 v8, v8, v10, s[10:11]
	;; [unrolled: 3-line block ×8, first 2 shown]
	ds_read_b64 v[34:35], v96 offset:8
	v_cndmask_b32_e64 v9, v9, v25, s[24:25]
	v_cmp_eq_u32_e64 s[26:27], 12, v36
	v_cndmask_b32_e64 v8, v8, v24, s[24:25]
	v_cndmask_b32_e64 v9, v9, v27, s[26:27]
	v_cmp_eq_u32_e64 s[28:29], 13, v36
	v_cndmask_b32_e64 v8, v8, v26, s[26:27]
	s_waitcnt vmcnt(1)
	v_cndmask_b32_e64 v9, v9, v29, s[28:29]
	v_cmp_eq_u32_e64 s[30:31], 14, v36
	v_cndmask_b32_e64 v8, v8, v28, s[28:29]
	s_waitcnt vmcnt(0)
	v_cndmask_b32_e64 v9, v9, v31, s[30:31]
	v_cndmask_b32_e64 v8, v8, v30, s[30:31]
	v_mov_b32_e32 v37, 0
	ds_read_b64 v[37:38], v37 offset:144
	s_waitcnt lgkmcnt(1)
	v_fma_f64 v[8:9], v[8:9], v[34:35], v[32:33]
	s_waitcnt lgkmcnt(0)
	v_fma_f64 v[32:33], v[6:7], v[37:38], v[8:9]
	v_cndmask_b32_e64 v33, v9, v33, s[2:3]
	v_cndmask_b32_e64 v32, v8, v32, s[2:3]
.LBB14_229:
	s_or_b64 exec, exec, s[36:37]
	v_mov_b32_e32 v8, 0
	ds_read_b64 v[8:9], v8 offset:24
	s_waitcnt lgkmcnt(0)
	v_mul_f64 v[8:9], v[32:33], v[8:9]
.LBB14_230:
	s_or_b64 exec, exec, s[34:35]
	v_cmp_gt_u32_e32 vcc, 4, v0
	s_waitcnt vmcnt(11)
	ds_write_b64 v96, v[10:11]
	s_waitcnt lgkmcnt(0)
	; wave barrier
	s_and_saveexec_b64 s[34:35], vcc
	s_cbranch_execz .LBB14_240
; %bb.231:
	s_and_b64 vcc, exec, s[0:1]
	s_cbranch_vccnz .LBB14_233
; %bb.232:
	v_cmp_eq_u32_e32 vcc, 1, v0
	s_waitcnt vmcnt(2)
	v_cndmask_b32_e32 v32, v3, v5, vcc
	v_cmp_eq_u32_e64 s[6:7], 2, v0
	v_cndmask_b32_e64 v32, v32, v7, s[6:7]
	v_cmp_eq_u32_e64 s[8:9], 3, v0
	v_cndmask_b32_e64 v32, v32, v9, s[8:9]
	;; [unrolled: 2-line block ×11, first 2 shown]
	v_cmp_eq_u32_e64 s[28:29], 13, v0
	s_waitcnt vmcnt(1)
	v_cndmask_b32_e64 v32, v32, v29, s[28:29]
	v_cmp_eq_u32_e64 s[30:31], 14, v0
	s_waitcnt vmcnt(0)
	v_cndmask_b32_e64 v33, v32, v31, s[30:31]
	v_cndmask_b32_e32 v32, v2, v4, vcc
	v_cndmask_b32_e64 v32, v32, v6, s[6:7]
	v_cndmask_b32_e64 v32, v32, v8, s[8:9]
	;; [unrolled: 1-line block ×9, first 2 shown]
	ds_read_b64 v[34:35], v96
	v_cndmask_b32_e64 v32, v32, v24, s[24:25]
	v_cndmask_b32_e64 v32, v32, v26, s[26:27]
	;; [unrolled: 1-line block ×4, first 2 shown]
	s_waitcnt lgkmcnt(0)
	v_mul_f64 v[32:33], v[32:33], v[34:35]
	s_cbranch_execz .LBB14_234
	s_branch .LBB14_235
.LBB14_233:
                                        ; implicit-def: $vgpr32_vgpr33
.LBB14_234:
	ds_read_b64 v[32:33], v96
.LBB14_235:
	v_cmp_ne_u32_e32 vcc, 3, v0
	s_and_saveexec_b64 s[8:9], vcc
	s_cbranch_execz .LBB14_239
; %bb.236:
	v_mov_b32_e32 v34, 0x88
	v_lshl_add_u32 v37, v0, 3, v34
	v_mov_b32_e32 v35, v1
	s_mov_b64 s[10:11], 0
	v_mov_b32_e32 v34, v0
.LBB14_237:                             ; =>This Inner Loop Header: Depth=1
	v_add_co_u32_e32 v34, vcc, 1, v34
	v_addc_co_u32_e32 v35, vcc, 0, v35, vcc
	v_cmp_eq_u32_e32 vcc, 1, v34
	s_waitcnt vmcnt(2)
	v_cndmask_b32_e32 v40, v3, v5, vcc
	v_cmp_eq_u32_e64 s[6:7], 2, v34
	v_cndmask_b32_e64 v40, v40, v7, s[6:7]
	v_cndmask_b32_e32 v41, v2, v4, vcc
	v_cmp_eq_u32_e32 vcc, 3, v34
	v_cndmask_b32_e32 v40, v40, v9, vcc
	v_cndmask_b32_e64 v41, v41, v6, s[6:7]
	v_cmp_eq_u32_e64 s[6:7], 4, v34
	v_cndmask_b32_e64 v40, v40, v11, s[6:7]
	v_cndmask_b32_e32 v41, v41, v8, vcc
	v_cmp_eq_u32_e32 vcc, 5, v34
	v_cndmask_b32_e32 v40, v40, v13, vcc
	v_cndmask_b32_e64 v41, v41, v10, s[6:7]
	;; [unrolled: 6-line block ×4, first 2 shown]
	v_cmp_eq_u32_e64 s[6:7], 10, v34
	v_cndmask_b32_e64 v40, v40, v23, s[6:7]
	v_cndmask_b32_e32 v41, v41, v20, vcc
	v_cmp_eq_u32_e32 vcc, 11, v34
	ds_read_b64 v[38:39], v37
	v_cndmask_b32_e32 v40, v40, v25, vcc
	v_cndmask_b32_e64 v41, v41, v22, s[6:7]
	v_cmp_eq_u32_e64 s[6:7], 12, v34
	v_cndmask_b32_e64 v40, v40, v27, s[6:7]
	v_cndmask_b32_e32 v41, v41, v24, vcc
	v_cmp_eq_u32_e32 vcc, 13, v34
	s_waitcnt vmcnt(1)
	v_cndmask_b32_e32 v40, v40, v29, vcc
	v_cndmask_b32_e64 v42, v41, v26, s[6:7]
	v_cmp_eq_u32_e64 s[6:7], 14, v34
	s_waitcnt vmcnt(0)
	v_cndmask_b32_e64 v41, v40, v31, s[6:7]
	v_cndmask_b32_e32 v40, v42, v28, vcc
	v_cndmask_b32_e64 v40, v40, v30, s[6:7]
	s_waitcnt lgkmcnt(0)
	v_fma_f64 v[32:33], v[40:41], v[38:39], v[32:33]
	v_cmp_lt_u32_e32 vcc, 2, v34
	s_or_b64 s[10:11], vcc, s[10:11]
	v_add_u32_e32 v37, 8, v37
	s_andn2_b64 exec, exec, s[10:11]
	s_cbranch_execnz .LBB14_237
; %bb.238:
	s_or_b64 exec, exec, s[10:11]
.LBB14_239:
	s_or_b64 exec, exec, s[8:9]
	v_mov_b32_e32 v10, 0
	ds_read_b64 v[10:11], v10 offset:32
	s_waitcnt lgkmcnt(0)
	v_mul_f64 v[10:11], v[32:33], v[10:11]
.LBB14_240:
	s_or_b64 exec, exec, s[34:35]
	v_cmp_gt_u32_e64 s[6:7], 5, v0
	s_waitcnt vmcnt(10)
	ds_write_b64 v96, v[12:13]
	s_waitcnt lgkmcnt(0)
	; wave barrier
	s_and_saveexec_b64 s[36:37], s[6:7]
	s_cbranch_execz .LBB14_250
; %bb.241:
	s_and_b64 vcc, exec, s[0:1]
	s_cbranch_vccnz .LBB14_243
; %bb.242:
	v_cmp_eq_u32_e32 vcc, 1, v0
	s_waitcnt vmcnt(2)
	v_cndmask_b32_e32 v32, v3, v5, vcc
	v_cmp_eq_u32_e64 s[8:9], 2, v0
	v_cndmask_b32_e64 v32, v32, v7, s[8:9]
	v_cmp_eq_u32_e64 s[10:11], 3, v0
	v_cndmask_b32_e64 v32, v32, v9, s[10:11]
	;; [unrolled: 2-line block ×11, first 2 shown]
	v_cmp_eq_u32_e64 s[30:31], 13, v0
	s_waitcnt vmcnt(1)
	v_cndmask_b32_e64 v32, v32, v29, s[30:31]
	v_cmp_eq_u32_e64 s[34:35], 14, v0
	s_waitcnt vmcnt(0)
	v_cndmask_b32_e64 v33, v32, v31, s[34:35]
	v_cndmask_b32_e32 v32, v2, v4, vcc
	v_cndmask_b32_e64 v32, v32, v6, s[8:9]
	v_cndmask_b32_e64 v32, v32, v8, s[10:11]
	;; [unrolled: 1-line block ×9, first 2 shown]
	ds_read_b64 v[34:35], v96
	v_cndmask_b32_e64 v32, v32, v24, s[26:27]
	v_cndmask_b32_e64 v32, v32, v26, s[28:29]
	;; [unrolled: 1-line block ×4, first 2 shown]
	s_waitcnt lgkmcnt(0)
	v_mul_f64 v[32:33], v[32:33], v[34:35]
	s_cbranch_execz .LBB14_244
	s_branch .LBB14_245
.LBB14_243:
                                        ; implicit-def: $vgpr32_vgpr33
.LBB14_244:
	ds_read_b64 v[32:33], v96
.LBB14_245:
	v_cmp_ne_u32_e32 vcc, 4, v0
	s_and_saveexec_b64 s[10:11], vcc
	s_cbranch_execz .LBB14_249
; %bb.246:
	v_mov_b32_e32 v34, 0x88
	v_lshl_add_u32 v37, v0, 3, v34
	v_mov_b32_e32 v35, v1
	s_mov_b64 s[12:13], 0
	v_mov_b32_e32 v34, v0
.LBB14_247:                             ; =>This Inner Loop Header: Depth=1
	v_add_co_u32_e32 v34, vcc, 1, v34
	v_addc_co_u32_e32 v35, vcc, 0, v35, vcc
	v_cmp_eq_u32_e32 vcc, 1, v34
	s_waitcnt vmcnt(2)
	v_cndmask_b32_e32 v40, v3, v5, vcc
	v_cmp_eq_u32_e64 s[8:9], 2, v34
	v_cndmask_b32_e64 v40, v40, v7, s[8:9]
	v_cndmask_b32_e32 v41, v2, v4, vcc
	v_cmp_eq_u32_e32 vcc, 3, v34
	v_cndmask_b32_e32 v40, v40, v9, vcc
	v_cndmask_b32_e64 v41, v41, v6, s[8:9]
	v_cmp_eq_u32_e64 s[8:9], 4, v34
	v_cndmask_b32_e64 v40, v40, v11, s[8:9]
	v_cndmask_b32_e32 v41, v41, v8, vcc
	v_cmp_eq_u32_e32 vcc, 5, v34
	v_cndmask_b32_e32 v40, v40, v13, vcc
	v_cndmask_b32_e64 v41, v41, v10, s[8:9]
	;; [unrolled: 6-line block ×4, first 2 shown]
	v_cmp_eq_u32_e64 s[8:9], 10, v34
	v_cndmask_b32_e64 v40, v40, v23, s[8:9]
	v_cndmask_b32_e32 v41, v41, v20, vcc
	v_cmp_eq_u32_e32 vcc, 11, v34
	ds_read_b64 v[38:39], v37
	v_cndmask_b32_e32 v40, v40, v25, vcc
	v_cndmask_b32_e64 v41, v41, v22, s[8:9]
	v_cmp_eq_u32_e64 s[8:9], 12, v34
	v_cndmask_b32_e64 v40, v40, v27, s[8:9]
	v_cndmask_b32_e32 v41, v41, v24, vcc
	v_cmp_eq_u32_e32 vcc, 13, v34
	s_waitcnt vmcnt(1)
	v_cndmask_b32_e32 v40, v40, v29, vcc
	v_cndmask_b32_e64 v42, v41, v26, s[8:9]
	v_cmp_eq_u32_e64 s[8:9], 14, v34
	s_waitcnt vmcnt(0)
	v_cndmask_b32_e64 v41, v40, v31, s[8:9]
	v_cndmask_b32_e32 v40, v42, v28, vcc
	v_cndmask_b32_e64 v40, v40, v30, s[8:9]
	s_waitcnt lgkmcnt(0)
	v_fma_f64 v[32:33], v[40:41], v[38:39], v[32:33]
	v_cmp_lt_u32_e32 vcc, 3, v34
	s_or_b64 s[12:13], vcc, s[12:13]
	v_add_u32_e32 v37, 8, v37
	s_andn2_b64 exec, exec, s[12:13]
	s_cbranch_execnz .LBB14_247
; %bb.248:
	s_or_b64 exec, exec, s[12:13]
.LBB14_249:
	s_or_b64 exec, exec, s[10:11]
	v_mov_b32_e32 v12, 0
	ds_read_b64 v[12:13], v12 offset:40
	s_waitcnt lgkmcnt(0)
	v_mul_f64 v[12:13], v[32:33], v[12:13]
.LBB14_250:
	s_or_b64 exec, exec, s[36:37]
	v_cmp_gt_u32_e32 vcc, 6, v0
	s_waitcnt vmcnt(9)
	ds_write_b64 v96, v[14:15]
	s_waitcnt lgkmcnt(0)
	; wave barrier
	s_and_saveexec_b64 s[36:37], vcc
	s_cbranch_execz .LBB14_260
; %bb.251:
	s_and_b64 vcc, exec, s[0:1]
	s_cbranch_vccnz .LBB14_253
; %bb.252:
	v_cmp_eq_u32_e32 vcc, 1, v0
	s_waitcnt vmcnt(2)
	v_cndmask_b32_e32 v32, v3, v5, vcc
	v_cmp_eq_u32_e64 s[8:9], 2, v0
	v_cndmask_b32_e64 v32, v32, v7, s[8:9]
	v_cmp_eq_u32_e64 s[10:11], 3, v0
	v_cndmask_b32_e64 v32, v32, v9, s[10:11]
	;; [unrolled: 2-line block ×11, first 2 shown]
	v_cmp_eq_u32_e64 s[30:31], 13, v0
	s_waitcnt vmcnt(1)
	v_cndmask_b32_e64 v32, v32, v29, s[30:31]
	v_cmp_eq_u32_e64 s[34:35], 14, v0
	s_waitcnt vmcnt(0)
	v_cndmask_b32_e64 v33, v32, v31, s[34:35]
	v_cndmask_b32_e32 v32, v2, v4, vcc
	v_cndmask_b32_e64 v32, v32, v6, s[8:9]
	v_cndmask_b32_e64 v32, v32, v8, s[10:11]
	;; [unrolled: 1-line block ×9, first 2 shown]
	ds_read_b64 v[34:35], v96
	v_cndmask_b32_e64 v32, v32, v24, s[26:27]
	v_cndmask_b32_e64 v32, v32, v26, s[28:29]
	;; [unrolled: 1-line block ×4, first 2 shown]
	s_waitcnt lgkmcnt(0)
	v_mul_f64 v[32:33], v[32:33], v[34:35]
	s_cbranch_execz .LBB14_254
	s_branch .LBB14_255
.LBB14_253:
                                        ; implicit-def: $vgpr32_vgpr33
.LBB14_254:
	ds_read_b64 v[32:33], v96
.LBB14_255:
	v_cmp_ne_u32_e32 vcc, 5, v0
	s_and_saveexec_b64 s[10:11], vcc
	s_cbranch_execz .LBB14_259
; %bb.256:
	v_mov_b32_e32 v34, 0x88
	v_lshl_add_u32 v37, v0, 3, v34
	v_mov_b32_e32 v35, v1
	s_mov_b64 s[12:13], 0
	v_mov_b32_e32 v34, v0
.LBB14_257:                             ; =>This Inner Loop Header: Depth=1
	v_add_co_u32_e32 v34, vcc, 1, v34
	v_addc_co_u32_e32 v35, vcc, 0, v35, vcc
	v_cmp_eq_u32_e32 vcc, 1, v34
	s_waitcnt vmcnt(2)
	v_cndmask_b32_e32 v40, v3, v5, vcc
	v_cmp_eq_u32_e64 s[8:9], 2, v34
	v_cndmask_b32_e64 v40, v40, v7, s[8:9]
	v_cndmask_b32_e32 v41, v2, v4, vcc
	v_cmp_eq_u32_e32 vcc, 3, v34
	v_cndmask_b32_e32 v40, v40, v9, vcc
	v_cndmask_b32_e64 v41, v41, v6, s[8:9]
	v_cmp_eq_u32_e64 s[8:9], 4, v34
	v_cndmask_b32_e64 v40, v40, v11, s[8:9]
	v_cndmask_b32_e32 v41, v41, v8, vcc
	v_cmp_eq_u32_e32 vcc, 5, v34
	v_cndmask_b32_e32 v40, v40, v13, vcc
	v_cndmask_b32_e64 v41, v41, v10, s[8:9]
	;; [unrolled: 6-line block ×4, first 2 shown]
	v_cmp_eq_u32_e64 s[8:9], 10, v34
	v_cndmask_b32_e64 v40, v40, v23, s[8:9]
	v_cndmask_b32_e32 v41, v41, v20, vcc
	v_cmp_eq_u32_e32 vcc, 11, v34
	ds_read_b64 v[38:39], v37
	v_cndmask_b32_e32 v40, v40, v25, vcc
	v_cndmask_b32_e64 v41, v41, v22, s[8:9]
	v_cmp_eq_u32_e64 s[8:9], 12, v34
	v_cndmask_b32_e64 v40, v40, v27, s[8:9]
	v_cndmask_b32_e32 v41, v41, v24, vcc
	v_cmp_eq_u32_e32 vcc, 13, v34
	s_waitcnt vmcnt(1)
	v_cndmask_b32_e32 v40, v40, v29, vcc
	v_cndmask_b32_e64 v42, v41, v26, s[8:9]
	v_cmp_eq_u32_e64 s[8:9], 14, v34
	s_waitcnt vmcnt(0)
	v_cndmask_b32_e64 v41, v40, v31, s[8:9]
	v_cndmask_b32_e32 v40, v42, v28, vcc
	v_cndmask_b32_e64 v40, v40, v30, s[8:9]
	s_waitcnt lgkmcnt(0)
	v_fma_f64 v[32:33], v[40:41], v[38:39], v[32:33]
	v_cmp_lt_u32_e32 vcc, 4, v34
	s_or_b64 s[12:13], vcc, s[12:13]
	v_add_u32_e32 v37, 8, v37
	s_andn2_b64 exec, exec, s[12:13]
	s_cbranch_execnz .LBB14_257
; %bb.258:
	s_or_b64 exec, exec, s[12:13]
.LBB14_259:
	s_or_b64 exec, exec, s[10:11]
	v_mov_b32_e32 v14, 0
	ds_read_b64 v[14:15], v14 offset:48
	s_waitcnt lgkmcnt(0)
	v_mul_f64 v[14:15], v[32:33], v[14:15]
.LBB14_260:
	s_or_b64 exec, exec, s[36:37]
	v_cmp_gt_u32_e64 s[8:9], 7, v0
	s_waitcnt vmcnt(8)
	ds_write_b64 v96, v[16:17]
	s_waitcnt lgkmcnt(0)
	; wave barrier
	s_and_saveexec_b64 s[38:39], s[8:9]
	s_cbranch_execz .LBB14_270
; %bb.261:
	s_and_b64 vcc, exec, s[0:1]
	s_cbranch_vccnz .LBB14_263
; %bb.262:
	v_cmp_eq_u32_e32 vcc, 1, v0
	s_waitcnt vmcnt(2)
	v_cndmask_b32_e32 v32, v3, v5, vcc
	v_cmp_eq_u32_e64 s[10:11], 2, v0
	v_cndmask_b32_e64 v32, v32, v7, s[10:11]
	v_cmp_eq_u32_e64 s[12:13], 3, v0
	v_cndmask_b32_e64 v32, v32, v9, s[12:13]
	;; [unrolled: 2-line block ×11, first 2 shown]
	v_cmp_eq_u32_e64 s[34:35], 13, v0
	s_waitcnt vmcnt(1)
	v_cndmask_b32_e64 v32, v32, v29, s[34:35]
	v_cmp_eq_u32_e64 s[36:37], 14, v0
	s_waitcnt vmcnt(0)
	v_cndmask_b32_e64 v33, v32, v31, s[36:37]
	v_cndmask_b32_e32 v32, v2, v4, vcc
	v_cndmask_b32_e64 v32, v32, v6, s[10:11]
	v_cndmask_b32_e64 v32, v32, v8, s[12:13]
	;; [unrolled: 1-line block ×9, first 2 shown]
	ds_read_b64 v[34:35], v96
	v_cndmask_b32_e64 v32, v32, v24, s[28:29]
	v_cndmask_b32_e64 v32, v32, v26, s[30:31]
	;; [unrolled: 1-line block ×4, first 2 shown]
	s_waitcnt lgkmcnt(0)
	v_mul_f64 v[32:33], v[32:33], v[34:35]
	s_cbranch_execz .LBB14_264
	s_branch .LBB14_265
.LBB14_263:
                                        ; implicit-def: $vgpr32_vgpr33
.LBB14_264:
	ds_read_b64 v[32:33], v96
.LBB14_265:
	v_cmp_ne_u32_e32 vcc, 6, v0
	s_and_saveexec_b64 s[12:13], vcc
	s_cbranch_execz .LBB14_269
; %bb.266:
	v_mov_b32_e32 v34, 0x88
	v_lshl_add_u32 v37, v0, 3, v34
	v_mov_b32_e32 v35, v1
	s_mov_b64 s[14:15], 0
	v_mov_b32_e32 v34, v0
.LBB14_267:                             ; =>This Inner Loop Header: Depth=1
	v_add_co_u32_e32 v34, vcc, 1, v34
	v_addc_co_u32_e32 v35, vcc, 0, v35, vcc
	v_cmp_eq_u32_e32 vcc, 1, v34
	s_waitcnt vmcnt(2)
	v_cndmask_b32_e32 v40, v3, v5, vcc
	v_cmp_eq_u32_e64 s[10:11], 2, v34
	v_cndmask_b32_e64 v40, v40, v7, s[10:11]
	v_cndmask_b32_e32 v41, v2, v4, vcc
	v_cmp_eq_u32_e32 vcc, 3, v34
	v_cndmask_b32_e32 v40, v40, v9, vcc
	v_cndmask_b32_e64 v41, v41, v6, s[10:11]
	v_cmp_eq_u32_e64 s[10:11], 4, v34
	v_cndmask_b32_e64 v40, v40, v11, s[10:11]
	v_cndmask_b32_e32 v41, v41, v8, vcc
	v_cmp_eq_u32_e32 vcc, 5, v34
	v_cndmask_b32_e32 v40, v40, v13, vcc
	v_cndmask_b32_e64 v41, v41, v10, s[10:11]
	v_cmp_eq_u32_e64 s[10:11], 6, v34
	v_cndmask_b32_e64 v40, v40, v15, s[10:11]
	v_cndmask_b32_e32 v41, v41, v12, vcc
	v_cmp_eq_u32_e32 vcc, 7, v34
	v_cndmask_b32_e32 v40, v40, v17, vcc
	v_cndmask_b32_e64 v41, v41, v14, s[10:11]
	v_cmp_eq_u32_e64 s[10:11], 8, v34
	v_cndmask_b32_e64 v40, v40, v19, s[10:11]
	v_cndmask_b32_e32 v41, v41, v16, vcc
	v_cmp_eq_u32_e32 vcc, 9, v34
	v_cndmask_b32_e32 v40, v40, v21, vcc
	v_cndmask_b32_e64 v41, v41, v18, s[10:11]
	v_cmp_eq_u32_e64 s[10:11], 10, v34
	v_cndmask_b32_e64 v40, v40, v23, s[10:11]
	v_cndmask_b32_e32 v41, v41, v20, vcc
	v_cmp_eq_u32_e32 vcc, 11, v34
	ds_read_b64 v[38:39], v37
	v_cndmask_b32_e32 v40, v40, v25, vcc
	v_cndmask_b32_e64 v41, v41, v22, s[10:11]
	v_cmp_eq_u32_e64 s[10:11], 12, v34
	v_cndmask_b32_e64 v40, v40, v27, s[10:11]
	v_cndmask_b32_e32 v41, v41, v24, vcc
	v_cmp_eq_u32_e32 vcc, 13, v34
	s_waitcnt vmcnt(1)
	v_cndmask_b32_e32 v40, v40, v29, vcc
	v_cndmask_b32_e64 v42, v41, v26, s[10:11]
	v_cmp_eq_u32_e64 s[10:11], 14, v34
	s_waitcnt vmcnt(0)
	v_cndmask_b32_e64 v41, v40, v31, s[10:11]
	v_cndmask_b32_e32 v40, v42, v28, vcc
	v_cndmask_b32_e64 v40, v40, v30, s[10:11]
	s_waitcnt lgkmcnt(0)
	v_fma_f64 v[32:33], v[40:41], v[38:39], v[32:33]
	v_cmp_lt_u32_e32 vcc, 5, v34
	s_or_b64 s[14:15], vcc, s[14:15]
	v_add_u32_e32 v37, 8, v37
	s_andn2_b64 exec, exec, s[14:15]
	s_cbranch_execnz .LBB14_267
; %bb.268:
	s_or_b64 exec, exec, s[14:15]
.LBB14_269:
	s_or_b64 exec, exec, s[12:13]
	v_mov_b32_e32 v16, 0
	ds_read_b64 v[16:17], v16 offset:56
	s_waitcnt lgkmcnt(0)
	v_mul_f64 v[16:17], v[32:33], v[16:17]
.LBB14_270:
	s_or_b64 exec, exec, s[38:39]
	v_cmp_gt_u32_e32 vcc, 8, v0
	s_waitcnt vmcnt(7)
	ds_write_b64 v96, v[18:19]
	s_waitcnt lgkmcnt(0)
	; wave barrier
	s_and_saveexec_b64 s[38:39], vcc
	s_cbranch_execz .LBB14_280
; %bb.271:
	s_and_b64 vcc, exec, s[0:1]
	s_cbranch_vccnz .LBB14_273
; %bb.272:
	v_cmp_eq_u32_e32 vcc, 1, v0
	s_waitcnt vmcnt(2)
	v_cndmask_b32_e32 v32, v3, v5, vcc
	v_cmp_eq_u32_e64 s[10:11], 2, v0
	v_cndmask_b32_e64 v32, v32, v7, s[10:11]
	v_cmp_eq_u32_e64 s[12:13], 3, v0
	v_cndmask_b32_e64 v32, v32, v9, s[12:13]
	;; [unrolled: 2-line block ×11, first 2 shown]
	v_cmp_eq_u32_e64 s[34:35], 13, v0
	s_waitcnt vmcnt(1)
	v_cndmask_b32_e64 v32, v32, v29, s[34:35]
	v_cmp_eq_u32_e64 s[36:37], 14, v0
	s_waitcnt vmcnt(0)
	v_cndmask_b32_e64 v33, v32, v31, s[36:37]
	v_cndmask_b32_e32 v32, v2, v4, vcc
	v_cndmask_b32_e64 v32, v32, v6, s[10:11]
	v_cndmask_b32_e64 v32, v32, v8, s[12:13]
	;; [unrolled: 1-line block ×9, first 2 shown]
	ds_read_b64 v[34:35], v96
	v_cndmask_b32_e64 v32, v32, v24, s[28:29]
	v_cndmask_b32_e64 v32, v32, v26, s[30:31]
	;; [unrolled: 1-line block ×4, first 2 shown]
	s_waitcnt lgkmcnt(0)
	v_mul_f64 v[32:33], v[32:33], v[34:35]
	s_cbranch_execz .LBB14_274
	s_branch .LBB14_275
.LBB14_273:
                                        ; implicit-def: $vgpr32_vgpr33
.LBB14_274:
	ds_read_b64 v[32:33], v96
.LBB14_275:
	v_cmp_ne_u32_e32 vcc, 7, v0
	s_and_saveexec_b64 s[12:13], vcc
	s_cbranch_execz .LBB14_279
; %bb.276:
	v_mov_b32_e32 v34, 0x88
	v_lshl_add_u32 v37, v0, 3, v34
	v_mov_b32_e32 v35, v1
	s_mov_b64 s[14:15], 0
	v_mov_b32_e32 v34, v0
.LBB14_277:                             ; =>This Inner Loop Header: Depth=1
	v_add_co_u32_e32 v34, vcc, 1, v34
	v_addc_co_u32_e32 v35, vcc, 0, v35, vcc
	v_cmp_eq_u32_e32 vcc, 1, v34
	s_waitcnt vmcnt(2)
	v_cndmask_b32_e32 v40, v3, v5, vcc
	v_cmp_eq_u32_e64 s[10:11], 2, v34
	v_cndmask_b32_e64 v40, v40, v7, s[10:11]
	v_cndmask_b32_e32 v41, v2, v4, vcc
	v_cmp_eq_u32_e32 vcc, 3, v34
	v_cndmask_b32_e32 v40, v40, v9, vcc
	v_cndmask_b32_e64 v41, v41, v6, s[10:11]
	v_cmp_eq_u32_e64 s[10:11], 4, v34
	v_cndmask_b32_e64 v40, v40, v11, s[10:11]
	v_cndmask_b32_e32 v41, v41, v8, vcc
	v_cmp_eq_u32_e32 vcc, 5, v34
	v_cndmask_b32_e32 v40, v40, v13, vcc
	v_cndmask_b32_e64 v41, v41, v10, s[10:11]
	;; [unrolled: 6-line block ×4, first 2 shown]
	v_cmp_eq_u32_e64 s[10:11], 10, v34
	v_cndmask_b32_e64 v40, v40, v23, s[10:11]
	v_cndmask_b32_e32 v41, v41, v20, vcc
	v_cmp_eq_u32_e32 vcc, 11, v34
	ds_read_b64 v[38:39], v37
	v_cndmask_b32_e32 v40, v40, v25, vcc
	v_cndmask_b32_e64 v41, v41, v22, s[10:11]
	v_cmp_eq_u32_e64 s[10:11], 12, v34
	v_cndmask_b32_e64 v40, v40, v27, s[10:11]
	v_cndmask_b32_e32 v41, v41, v24, vcc
	v_cmp_eq_u32_e32 vcc, 13, v34
	s_waitcnt vmcnt(1)
	v_cndmask_b32_e32 v40, v40, v29, vcc
	v_cndmask_b32_e64 v42, v41, v26, s[10:11]
	v_cmp_eq_u32_e64 s[10:11], 14, v34
	s_waitcnt vmcnt(0)
	v_cndmask_b32_e64 v41, v40, v31, s[10:11]
	v_cndmask_b32_e32 v40, v42, v28, vcc
	v_cndmask_b32_e64 v40, v40, v30, s[10:11]
	s_waitcnt lgkmcnt(0)
	v_fma_f64 v[32:33], v[40:41], v[38:39], v[32:33]
	v_cmp_lt_u32_e32 vcc, 6, v34
	s_or_b64 s[14:15], vcc, s[14:15]
	v_add_u32_e32 v37, 8, v37
	s_andn2_b64 exec, exec, s[14:15]
	s_cbranch_execnz .LBB14_277
; %bb.278:
	s_or_b64 exec, exec, s[14:15]
.LBB14_279:
	s_or_b64 exec, exec, s[12:13]
	v_mov_b32_e32 v18, 0
	ds_read_b64 v[18:19], v18 offset:64
	s_waitcnt lgkmcnt(0)
	v_mul_f64 v[18:19], v[32:33], v[18:19]
.LBB14_280:
	s_or_b64 exec, exec, s[38:39]
	v_cmp_gt_u32_e32 vcc, 9, v0
	s_waitcnt vmcnt(6)
	ds_write_b64 v96, v[20:21]
	s_waitcnt lgkmcnt(0)
	; wave barrier
	s_and_saveexec_b64 s[38:39], vcc
	s_cbranch_execz .LBB14_302
; %bb.281:
	s_and_b64 vcc, exec, s[0:1]
	s_cbranch_vccnz .LBB14_283
; %bb.282:
	v_cmp_eq_u32_e32 vcc, 1, v0
	s_waitcnt vmcnt(2)
	v_cndmask_b32_e32 v32, v3, v5, vcc
	v_cmp_eq_u32_e64 s[10:11], 2, v0
	v_cndmask_b32_e64 v32, v32, v7, s[10:11]
	v_cmp_eq_u32_e64 s[12:13], 3, v0
	v_cndmask_b32_e64 v32, v32, v9, s[12:13]
	;; [unrolled: 2-line block ×11, first 2 shown]
	v_cmp_eq_u32_e64 s[34:35], 13, v0
	s_waitcnt vmcnt(1)
	v_cndmask_b32_e64 v32, v32, v29, s[34:35]
	v_cmp_eq_u32_e64 s[36:37], 14, v0
	s_waitcnt vmcnt(0)
	v_cndmask_b32_e64 v33, v32, v31, s[36:37]
	v_cndmask_b32_e32 v32, v2, v4, vcc
	v_cndmask_b32_e64 v32, v32, v6, s[10:11]
	v_cndmask_b32_e64 v32, v32, v8, s[12:13]
	;; [unrolled: 1-line block ×9, first 2 shown]
	ds_read_b64 v[34:35], v96
	v_cndmask_b32_e64 v32, v32, v24, s[28:29]
	v_cndmask_b32_e64 v32, v32, v26, s[30:31]
	;; [unrolled: 1-line block ×4, first 2 shown]
	s_waitcnt lgkmcnt(0)
	v_mul_f64 v[32:33], v[32:33], v[34:35]
	s_cbranch_execz .LBB14_284
	s_branch .LBB14_285
.LBB14_283:
                                        ; implicit-def: $vgpr32_vgpr33
.LBB14_284:
	ds_read_b64 v[32:33], v96
.LBB14_285:
	v_cmp_ne_u32_e32 vcc, 8, v0
	s_and_saveexec_b64 s[40:41], vcc
	s_cbranch_execz .LBB14_301
; %bb.286:
	v_cmp_eq_u32_e32 vcc, 1, v36
	s_waitcnt vmcnt(2)
	v_cndmask_b32_e32 v34, v3, v5, vcc
	v_cmp_eq_u32_e64 s[10:11], 2, v36
	v_cndmask_b32_e64 v34, v34, v7, s[10:11]
	v_cmp_eq_u32_e64 s[12:13], 3, v36
	v_cndmask_b32_e64 v34, v34, v9, s[12:13]
	;; [unrolled: 2-line block ×11, first 2 shown]
	v_cmp_eq_u32_e64 s[34:35], 13, v36
	s_waitcnt vmcnt(1)
	v_cndmask_b32_e64 v34, v34, v29, s[34:35]
	v_cmp_eq_u32_e64 s[36:37], 14, v36
	s_waitcnt vmcnt(0)
	v_cndmask_b32_e64 v35, v34, v31, s[36:37]
	v_cndmask_b32_e32 v34, v2, v4, vcc
	v_cndmask_b32_e64 v34, v34, v6, s[10:11]
	v_cndmask_b32_e64 v34, v34, v8, s[12:13]
	v_cndmask_b32_e64 v34, v34, v10, s[14:15]
	v_cndmask_b32_e64 v34, v34, v12, s[16:17]
	v_cndmask_b32_e64 v34, v34, v14, s[18:19]
	v_cndmask_b32_e64 v34, v34, v16, s[20:21]
	v_cndmask_b32_e64 v34, v34, v18, s[22:23]
	v_cndmask_b32_e64 v34, v34, v20, s[24:25]
	v_cndmask_b32_e64 v34, v34, v22, s[26:27]
	ds_read_b64 v[36:37], v96 offset:8
	v_cndmask_b32_e64 v34, v34, v24, s[28:29]
	v_cndmask_b32_e64 v34, v34, v26, s[30:31]
	;; [unrolled: 1-line block ×4, first 2 shown]
	s_waitcnt lgkmcnt(0)
	v_fma_f64 v[32:33], v[34:35], v[36:37], v[32:33]
	s_and_saveexec_b64 s[36:37], s[8:9]
	s_cbranch_execz .LBB14_300
; %bb.287:
	v_add_u32_e32 v34, 2, v0
	v_cmp_eq_u32_e32 vcc, 1, v34
	v_cndmask_b32_e32 v35, v3, v5, vcc
	v_cmp_eq_u32_e64 s[8:9], 2, v34
	v_cmp_eq_u32_e64 s[10:11], 3, v34
	;; [unrolled: 1-line block ×13, first 2 shown]
	v_cndmask_b32_e32 v34, v2, v4, vcc
	v_cndmask_b32_e64 v35, v35, v7, s[8:9]
	v_cndmask_b32_e64 v34, v34, v6, s[8:9]
	;; [unrolled: 1-line block ×18, first 2 shown]
	ds_read_b64 v[36:37], v96 offset:16
	v_cndmask_b32_e64 v35, v35, v25, s[26:27]
	v_cndmask_b32_e64 v34, v34, v24, s[26:27]
	;; [unrolled: 1-line block ×8, first 2 shown]
	s_waitcnt lgkmcnt(0)
	v_fma_f64 v[32:33], v[34:35], v[36:37], v[32:33]
	v_cmp_ne_u32_e32 vcc, 6, v0
	s_and_saveexec_b64 s[42:43], vcc
	s_cbranch_execz .LBB14_299
; %bb.288:
	v_add_u32_e32 v34, 3, v0
	v_cmp_eq_u32_e32 vcc, 1, v34
	v_cndmask_b32_e32 v35, v3, v5, vcc
	v_cmp_eq_u32_e64 s[8:9], 2, v34
	v_cmp_eq_u32_e64 s[10:11], 3, v34
	;; [unrolled: 1-line block ×13, first 2 shown]
	v_cndmask_b32_e32 v34, v2, v4, vcc
	v_cndmask_b32_e64 v35, v35, v7, s[8:9]
	v_cndmask_b32_e64 v34, v34, v6, s[8:9]
	;; [unrolled: 1-line block ×18, first 2 shown]
	ds_read_b64 v[36:37], v96 offset:24
	v_cndmask_b32_e64 v35, v35, v25, s[26:27]
	v_cndmask_b32_e64 v34, v34, v24, s[26:27]
	v_cndmask_b32_e64 v35, v35, v27, s[28:29]
	v_cndmask_b32_e64 v34, v34, v26, s[28:29]
	v_cndmask_b32_e64 v35, v35, v29, s[30:31]
	v_cndmask_b32_e64 v34, v34, v28, s[30:31]
	v_cndmask_b32_e64 v35, v35, v31, s[34:35]
	v_cndmask_b32_e64 v34, v34, v30, s[34:35]
	s_waitcnt lgkmcnt(0)
	v_fma_f64 v[32:33], v[34:35], v[36:37], v[32:33]
	s_and_saveexec_b64 s[34:35], s[6:7]
	s_cbranch_execz .LBB14_298
; %bb.289:
	v_add_u32_e32 v34, 4, v0
	v_cmp_eq_u32_e32 vcc, 1, v34
	v_cndmask_b32_e32 v35, v3, v5, vcc
	v_cmp_eq_u32_e64 s[6:7], 2, v34
	v_cmp_eq_u32_e64 s[8:9], 3, v34
	;; [unrolled: 1-line block ×13, first 2 shown]
	v_cndmask_b32_e32 v34, v2, v4, vcc
	v_cndmask_b32_e64 v35, v35, v7, s[6:7]
	v_cndmask_b32_e64 v34, v34, v6, s[6:7]
	;; [unrolled: 1-line block ×18, first 2 shown]
	ds_read_b64 v[36:37], v96 offset:32
	v_cndmask_b32_e64 v35, v35, v25, s[24:25]
	v_cndmask_b32_e64 v34, v34, v24, s[24:25]
	;; [unrolled: 1-line block ×8, first 2 shown]
	s_waitcnt lgkmcnt(0)
	v_fma_f64 v[32:33], v[34:35], v[36:37], v[32:33]
	v_cmp_ne_u32_e32 vcc, 4, v0
	s_and_saveexec_b64 s[44:45], vcc
	s_cbranch_execz .LBB14_297
; %bb.290:
	v_add_u32_e32 v34, 5, v0
	v_cmp_eq_u32_e32 vcc, 1, v34
	v_cndmask_b32_e32 v35, v3, v5, vcc
	v_cmp_eq_u32_e64 s[6:7], 2, v34
	v_cmp_eq_u32_e64 s[8:9], 3, v34
	;; [unrolled: 1-line block ×13, first 2 shown]
	v_cndmask_b32_e32 v34, v2, v4, vcc
	v_cndmask_b32_e64 v35, v35, v7, s[6:7]
	v_cndmask_b32_e64 v34, v34, v6, s[6:7]
	;; [unrolled: 1-line block ×18, first 2 shown]
	ds_read_b64 v[36:37], v96 offset:40
	v_cndmask_b32_e64 v35, v35, v25, s[24:25]
	v_cndmask_b32_e64 v34, v34, v24, s[24:25]
	;; [unrolled: 1-line block ×8, first 2 shown]
	s_waitcnt lgkmcnt(0)
	v_fma_f64 v[32:33], v[34:35], v[36:37], v[32:33]
	s_and_saveexec_b64 s[30:31], s[4:5]
	s_cbranch_execz .LBB14_296
; %bb.291:
	v_add_u32_e32 v34, 6, v0
	v_cmp_eq_u32_e32 vcc, 1, v34
	v_cndmask_b32_e32 v35, v3, v5, vcc
	v_cmp_eq_u32_e64 s[4:5], 2, v34
	v_cmp_eq_u32_e64 s[6:7], 3, v34
	;; [unrolled: 1-line block ×13, first 2 shown]
	v_cndmask_b32_e32 v34, v2, v4, vcc
	v_cndmask_b32_e64 v35, v35, v7, s[4:5]
	v_cndmask_b32_e64 v34, v34, v6, s[4:5]
	;; [unrolled: 1-line block ×18, first 2 shown]
	ds_read_b64 v[36:37], v96 offset:48
	v_cndmask_b32_e64 v35, v35, v25, s[22:23]
	v_cndmask_b32_e64 v34, v34, v24, s[22:23]
	v_cndmask_b32_e64 v35, v35, v27, s[24:25]
	v_cndmask_b32_e64 v34, v34, v26, s[24:25]
	v_cndmask_b32_e64 v35, v35, v29, s[26:27]
	v_cndmask_b32_e64 v34, v34, v28, s[26:27]
	v_cndmask_b32_e64 v35, v35, v31, s[28:29]
	v_cndmask_b32_e64 v34, v34, v30, s[28:29]
	s_waitcnt lgkmcnt(0)
	v_fma_f64 v[32:33], v[34:35], v[36:37], v[32:33]
	v_cmp_ne_u32_e32 vcc, 2, v0
	s_and_saveexec_b64 s[46:47], vcc
	s_cbranch_execz .LBB14_295
; %bb.292:
	v_add_u32_e32 v34, 7, v0
	v_cmp_eq_u32_e32 vcc, 1, v34
	v_cndmask_b32_e32 v35, v3, v5, vcc
	v_cmp_eq_u32_e64 s[4:5], 2, v34
	v_cmp_eq_u32_e64 s[6:7], 3, v34
	;; [unrolled: 1-line block ×13, first 2 shown]
	v_cndmask_b32_e32 v34, v2, v4, vcc
	v_cndmask_b32_e64 v35, v35, v7, s[4:5]
	v_cndmask_b32_e64 v34, v34, v6, s[4:5]
	;; [unrolled: 1-line block ×18, first 2 shown]
	ds_read_b64 v[34:35], v96 offset:56
	v_cndmask_b32_e64 v21, v21, v25, s[22:23]
	v_cndmask_b32_e64 v20, v20, v24, s[22:23]
	;; [unrolled: 1-line block ×8, first 2 shown]
	s_waitcnt lgkmcnt(0)
	v_fma_f64 v[32:33], v[20:21], v[34:35], v[32:33]
	s_and_saveexec_b64 s[4:5], s[2:3]
	s_cbranch_execz .LBB14_294
; %bb.293:
	ds_read_b64 v[20:21], v96 offset:64
	s_waitcnt lgkmcnt(0)
	v_fma_f64 v[32:33], v[18:19], v[20:21], v[32:33]
.LBB14_294:
	s_or_b64 exec, exec, s[4:5]
.LBB14_295:
	s_or_b64 exec, exec, s[46:47]
.LBB14_296:
	s_or_b64 exec, exec, s[30:31]
.LBB14_297:
	s_or_b64 exec, exec, s[44:45]
.LBB14_298:
	s_or_b64 exec, exec, s[34:35]
.LBB14_299:
	s_or_b64 exec, exec, s[42:43]
.LBB14_300:
	s_or_b64 exec, exec, s[36:37]
.LBB14_301:
	s_or_b64 exec, exec, s[40:41]
	v_mov_b32_e32 v20, 0
	ds_read_b64 v[20:21], v20 offset:72
	s_waitcnt lgkmcnt(0)
	v_mul_f64 v[20:21], v[32:33], v[20:21]
.LBB14_302:
	s_or_b64 exec, exec, s[38:39]
	v_cmp_gt_u32_e32 vcc, 10, v0
	s_waitcnt vmcnt(5)
	ds_write_b64 v96, v[22:23]
	s_waitcnt lgkmcnt(0)
	; wave barrier
	s_and_saveexec_b64 s[28:29], vcc
	s_cbranch_execz .LBB14_312
; %bb.303:
	s_and_b64 vcc, exec, s[0:1]
	s_cbranch_vccnz .LBB14_305
; %bb.304:
	v_cmp_eq_u32_e32 vcc, 1, v0
	s_waitcnt vmcnt(2)
	v_cndmask_b32_e32 v32, v3, v5, vcc
	v_cmp_eq_u32_e64 s[2:3], 2, v0
	v_cndmask_b32_e64 v32, v32, v7, s[2:3]
	v_cmp_eq_u32_e64 s[4:5], 3, v0
	v_cndmask_b32_e64 v32, v32, v9, s[4:5]
	;; [unrolled: 2-line block ×11, first 2 shown]
	v_cmp_eq_u32_e64 s[24:25], 13, v0
	s_waitcnt vmcnt(1)
	v_cndmask_b32_e64 v32, v32, v29, s[24:25]
	v_cmp_eq_u32_e64 s[26:27], 14, v0
	s_waitcnt vmcnt(0)
	v_cndmask_b32_e64 v33, v32, v31, s[26:27]
	v_cndmask_b32_e32 v32, v2, v4, vcc
	v_cndmask_b32_e64 v32, v32, v6, s[2:3]
	v_cndmask_b32_e64 v32, v32, v8, s[4:5]
	;; [unrolled: 1-line block ×9, first 2 shown]
	ds_read_b64 v[34:35], v96
	v_cndmask_b32_e64 v32, v32, v24, s[20:21]
	v_cndmask_b32_e64 v32, v32, v26, s[22:23]
	;; [unrolled: 1-line block ×4, first 2 shown]
	s_waitcnt lgkmcnt(0)
	v_mul_f64 v[32:33], v[32:33], v[34:35]
	s_cbranch_execz .LBB14_306
	s_branch .LBB14_307
.LBB14_305:
                                        ; implicit-def: $vgpr32_vgpr33
.LBB14_306:
	ds_read_b64 v[32:33], v96
.LBB14_307:
	v_cmp_ne_u32_e32 vcc, 9, v0
	s_and_saveexec_b64 s[4:5], vcc
	s_cbranch_execz .LBB14_311
; %bb.308:
	v_mov_b32_e32 v34, 0x88
	v_lshl_add_u32 v36, v0, 3, v34
	v_mov_b32_e32 v35, v1
	s_mov_b64 s[6:7], 0
	v_mov_b32_e32 v34, v0
.LBB14_309:                             ; =>This Inner Loop Header: Depth=1
	v_add_co_u32_e32 v34, vcc, 1, v34
	v_addc_co_u32_e32 v35, vcc, 0, v35, vcc
	v_cmp_eq_u32_e32 vcc, 1, v34
	s_waitcnt vmcnt(2)
	v_cndmask_b32_e32 v39, v3, v5, vcc
	v_cmp_eq_u32_e64 s[2:3], 2, v34
	v_cndmask_b32_e64 v39, v39, v7, s[2:3]
	v_cndmask_b32_e32 v40, v2, v4, vcc
	v_cmp_eq_u32_e32 vcc, 3, v34
	v_cndmask_b32_e32 v39, v39, v9, vcc
	v_cndmask_b32_e64 v40, v40, v6, s[2:3]
	v_cmp_eq_u32_e64 s[2:3], 4, v34
	v_cndmask_b32_e64 v39, v39, v11, s[2:3]
	v_cndmask_b32_e32 v40, v40, v8, vcc
	v_cmp_eq_u32_e32 vcc, 5, v34
	v_cndmask_b32_e32 v39, v39, v13, vcc
	v_cndmask_b32_e64 v40, v40, v10, s[2:3]
	;; [unrolled: 6-line block ×4, first 2 shown]
	v_cmp_eq_u32_e64 s[2:3], 10, v34
	v_cndmask_b32_e64 v39, v39, v23, s[2:3]
	v_cndmask_b32_e32 v40, v40, v20, vcc
	v_cmp_eq_u32_e32 vcc, 11, v34
	ds_read_b64 v[37:38], v36
	v_cndmask_b32_e32 v39, v39, v25, vcc
	v_cndmask_b32_e64 v40, v40, v22, s[2:3]
	v_cmp_eq_u32_e64 s[2:3], 12, v34
	v_cndmask_b32_e64 v39, v39, v27, s[2:3]
	v_cndmask_b32_e32 v40, v40, v24, vcc
	v_cmp_eq_u32_e32 vcc, 13, v34
	s_waitcnt vmcnt(1)
	v_cndmask_b32_e32 v39, v39, v29, vcc
	v_cndmask_b32_e64 v41, v40, v26, s[2:3]
	v_cmp_eq_u32_e64 s[2:3], 14, v34
	s_waitcnt vmcnt(0)
	v_cndmask_b32_e64 v40, v39, v31, s[2:3]
	v_cndmask_b32_e32 v39, v41, v28, vcc
	v_cndmask_b32_e64 v39, v39, v30, s[2:3]
	s_waitcnt lgkmcnt(0)
	v_fma_f64 v[32:33], v[39:40], v[37:38], v[32:33]
	v_cmp_lt_u32_e32 vcc, 8, v34
	s_or_b64 s[6:7], vcc, s[6:7]
	v_add_u32_e32 v36, 8, v36
	s_andn2_b64 exec, exec, s[6:7]
	s_cbranch_execnz .LBB14_309
; %bb.310:
	s_or_b64 exec, exec, s[6:7]
.LBB14_311:
	s_or_b64 exec, exec, s[4:5]
	v_mov_b32_e32 v22, 0
	ds_read_b64 v[22:23], v22 offset:80
	s_waitcnt lgkmcnt(0)
	v_mul_f64 v[22:23], v[32:33], v[22:23]
.LBB14_312:
	s_or_b64 exec, exec, s[28:29]
	v_cmp_gt_u32_e32 vcc, 11, v0
	s_waitcnt vmcnt(4)
	ds_write_b64 v96, v[24:25]
	s_waitcnt lgkmcnt(0)
	; wave barrier
	s_and_saveexec_b64 s[28:29], vcc
	s_cbranch_execz .LBB14_322
; %bb.313:
	s_and_b64 vcc, exec, s[0:1]
	s_cbranch_vccnz .LBB14_315
; %bb.314:
	v_cmp_eq_u32_e32 vcc, 1, v0
	s_waitcnt vmcnt(2)
	v_cndmask_b32_e32 v32, v3, v5, vcc
	v_cmp_eq_u32_e64 s[2:3], 2, v0
	v_cndmask_b32_e64 v32, v32, v7, s[2:3]
	v_cmp_eq_u32_e64 s[4:5], 3, v0
	v_cndmask_b32_e64 v32, v32, v9, s[4:5]
	;; [unrolled: 2-line block ×11, first 2 shown]
	v_cmp_eq_u32_e64 s[24:25], 13, v0
	s_waitcnt vmcnt(1)
	v_cndmask_b32_e64 v32, v32, v29, s[24:25]
	v_cmp_eq_u32_e64 s[26:27], 14, v0
	s_waitcnt vmcnt(0)
	v_cndmask_b32_e64 v33, v32, v31, s[26:27]
	v_cndmask_b32_e32 v32, v2, v4, vcc
	v_cndmask_b32_e64 v32, v32, v6, s[2:3]
	v_cndmask_b32_e64 v32, v32, v8, s[4:5]
	;; [unrolled: 1-line block ×9, first 2 shown]
	ds_read_b64 v[34:35], v96
	v_cndmask_b32_e64 v32, v32, v24, s[20:21]
	v_cndmask_b32_e64 v32, v32, v26, s[22:23]
	;; [unrolled: 1-line block ×4, first 2 shown]
	s_waitcnt lgkmcnt(0)
	v_mul_f64 v[32:33], v[32:33], v[34:35]
	s_cbranch_execz .LBB14_316
	s_branch .LBB14_317
.LBB14_315:
                                        ; implicit-def: $vgpr32_vgpr33
.LBB14_316:
	ds_read_b64 v[32:33], v96
.LBB14_317:
	v_cmp_ne_u32_e32 vcc, 10, v0
	s_and_saveexec_b64 s[4:5], vcc
	s_cbranch_execz .LBB14_321
; %bb.318:
	v_mov_b32_e32 v34, 0x88
	v_lshl_add_u32 v36, v0, 3, v34
	v_mov_b32_e32 v35, v1
	s_mov_b64 s[6:7], 0
	v_mov_b32_e32 v34, v0
.LBB14_319:                             ; =>This Inner Loop Header: Depth=1
	v_add_co_u32_e32 v34, vcc, 1, v34
	v_addc_co_u32_e32 v35, vcc, 0, v35, vcc
	v_cmp_eq_u32_e32 vcc, 1, v34
	s_waitcnt vmcnt(2)
	v_cndmask_b32_e32 v39, v3, v5, vcc
	v_cmp_eq_u32_e64 s[2:3], 2, v34
	v_cndmask_b32_e64 v39, v39, v7, s[2:3]
	v_cndmask_b32_e32 v40, v2, v4, vcc
	v_cmp_eq_u32_e32 vcc, 3, v34
	v_cndmask_b32_e32 v39, v39, v9, vcc
	v_cndmask_b32_e64 v40, v40, v6, s[2:3]
	v_cmp_eq_u32_e64 s[2:3], 4, v34
	v_cndmask_b32_e64 v39, v39, v11, s[2:3]
	v_cndmask_b32_e32 v40, v40, v8, vcc
	v_cmp_eq_u32_e32 vcc, 5, v34
	v_cndmask_b32_e32 v39, v39, v13, vcc
	v_cndmask_b32_e64 v40, v40, v10, s[2:3]
	;; [unrolled: 6-line block ×4, first 2 shown]
	v_cmp_eq_u32_e64 s[2:3], 10, v34
	v_cndmask_b32_e64 v39, v39, v23, s[2:3]
	v_cndmask_b32_e32 v40, v40, v20, vcc
	v_cmp_eq_u32_e32 vcc, 11, v34
	ds_read_b64 v[37:38], v36
	v_cndmask_b32_e32 v39, v39, v25, vcc
	v_cndmask_b32_e64 v40, v40, v22, s[2:3]
	v_cmp_eq_u32_e64 s[2:3], 12, v34
	v_cndmask_b32_e64 v39, v39, v27, s[2:3]
	v_cndmask_b32_e32 v40, v40, v24, vcc
	v_cmp_eq_u32_e32 vcc, 13, v34
	s_waitcnt vmcnt(1)
	v_cndmask_b32_e32 v39, v39, v29, vcc
	v_cndmask_b32_e64 v41, v40, v26, s[2:3]
	v_cmp_eq_u32_e64 s[2:3], 14, v34
	s_waitcnt vmcnt(0)
	v_cndmask_b32_e64 v40, v39, v31, s[2:3]
	v_cndmask_b32_e32 v39, v41, v28, vcc
	v_cndmask_b32_e64 v39, v39, v30, s[2:3]
	s_waitcnt lgkmcnt(0)
	v_fma_f64 v[32:33], v[39:40], v[37:38], v[32:33]
	v_cmp_lt_u32_e32 vcc, 9, v34
	s_or_b64 s[6:7], vcc, s[6:7]
	v_add_u32_e32 v36, 8, v36
	s_andn2_b64 exec, exec, s[6:7]
	s_cbranch_execnz .LBB14_319
; %bb.320:
	s_or_b64 exec, exec, s[6:7]
.LBB14_321:
	s_or_b64 exec, exec, s[4:5]
	v_mov_b32_e32 v24, 0
	ds_read_b64 v[24:25], v24 offset:88
	s_waitcnt lgkmcnt(0)
	v_mul_f64 v[24:25], v[32:33], v[24:25]
.LBB14_322:
	s_or_b64 exec, exec, s[28:29]
	v_cmp_gt_u32_e32 vcc, 12, v0
	s_waitcnt vmcnt(3)
	ds_write_b64 v96, v[26:27]
	s_waitcnt lgkmcnt(0)
	; wave barrier
	s_and_saveexec_b64 s[28:29], vcc
	s_cbranch_execz .LBB14_332
; %bb.323:
	s_and_b64 vcc, exec, s[0:1]
	s_cbranch_vccnz .LBB14_325
; %bb.324:
	v_cmp_eq_u32_e32 vcc, 1, v0
	s_waitcnt vmcnt(2)
	v_cndmask_b32_e32 v32, v3, v5, vcc
	v_cmp_eq_u32_e64 s[2:3], 2, v0
	v_cndmask_b32_e64 v32, v32, v7, s[2:3]
	v_cmp_eq_u32_e64 s[4:5], 3, v0
	v_cndmask_b32_e64 v32, v32, v9, s[4:5]
	;; [unrolled: 2-line block ×11, first 2 shown]
	v_cmp_eq_u32_e64 s[24:25], 13, v0
	s_waitcnt vmcnt(1)
	v_cndmask_b32_e64 v32, v32, v29, s[24:25]
	v_cmp_eq_u32_e64 s[26:27], 14, v0
	s_waitcnt vmcnt(0)
	v_cndmask_b32_e64 v33, v32, v31, s[26:27]
	v_cndmask_b32_e32 v32, v2, v4, vcc
	v_cndmask_b32_e64 v32, v32, v6, s[2:3]
	v_cndmask_b32_e64 v32, v32, v8, s[4:5]
	;; [unrolled: 1-line block ×9, first 2 shown]
	ds_read_b64 v[34:35], v96
	v_cndmask_b32_e64 v32, v32, v24, s[20:21]
	v_cndmask_b32_e64 v32, v32, v26, s[22:23]
	;; [unrolled: 1-line block ×4, first 2 shown]
	s_waitcnt lgkmcnt(0)
	v_mul_f64 v[32:33], v[32:33], v[34:35]
	s_cbranch_execz .LBB14_326
	s_branch .LBB14_327
.LBB14_325:
                                        ; implicit-def: $vgpr32_vgpr33
.LBB14_326:
	ds_read_b64 v[32:33], v96
.LBB14_327:
	v_cmp_ne_u32_e32 vcc, 11, v0
	s_and_saveexec_b64 s[4:5], vcc
	s_cbranch_execz .LBB14_331
; %bb.328:
	v_mov_b32_e32 v34, 0x88
	v_lshl_add_u32 v36, v0, 3, v34
	v_mov_b32_e32 v35, v1
	s_mov_b64 s[6:7], 0
	v_mov_b32_e32 v34, v0
.LBB14_329:                             ; =>This Inner Loop Header: Depth=1
	v_add_co_u32_e32 v34, vcc, 1, v34
	v_addc_co_u32_e32 v35, vcc, 0, v35, vcc
	v_cmp_eq_u32_e32 vcc, 1, v34
	s_waitcnt vmcnt(2)
	v_cndmask_b32_e32 v39, v3, v5, vcc
	v_cmp_eq_u32_e64 s[2:3], 2, v34
	v_cndmask_b32_e64 v39, v39, v7, s[2:3]
	v_cndmask_b32_e32 v40, v2, v4, vcc
	v_cmp_eq_u32_e32 vcc, 3, v34
	v_cndmask_b32_e32 v39, v39, v9, vcc
	v_cndmask_b32_e64 v40, v40, v6, s[2:3]
	v_cmp_eq_u32_e64 s[2:3], 4, v34
	v_cndmask_b32_e64 v39, v39, v11, s[2:3]
	v_cndmask_b32_e32 v40, v40, v8, vcc
	v_cmp_eq_u32_e32 vcc, 5, v34
	v_cndmask_b32_e32 v39, v39, v13, vcc
	v_cndmask_b32_e64 v40, v40, v10, s[2:3]
	;; [unrolled: 6-line block ×4, first 2 shown]
	v_cmp_eq_u32_e64 s[2:3], 10, v34
	v_cndmask_b32_e64 v39, v39, v23, s[2:3]
	v_cndmask_b32_e32 v40, v40, v20, vcc
	v_cmp_eq_u32_e32 vcc, 11, v34
	ds_read_b64 v[37:38], v36
	v_cndmask_b32_e32 v39, v39, v25, vcc
	v_cndmask_b32_e64 v40, v40, v22, s[2:3]
	v_cmp_eq_u32_e64 s[2:3], 12, v34
	v_cndmask_b32_e64 v39, v39, v27, s[2:3]
	v_cndmask_b32_e32 v40, v40, v24, vcc
	v_cmp_eq_u32_e32 vcc, 13, v34
	s_waitcnt vmcnt(1)
	v_cndmask_b32_e32 v39, v39, v29, vcc
	v_cndmask_b32_e64 v41, v40, v26, s[2:3]
	v_cmp_eq_u32_e64 s[2:3], 14, v34
	s_waitcnt vmcnt(0)
	v_cndmask_b32_e64 v40, v39, v31, s[2:3]
	v_cndmask_b32_e32 v39, v41, v28, vcc
	v_cndmask_b32_e64 v39, v39, v30, s[2:3]
	s_waitcnt lgkmcnt(0)
	v_fma_f64 v[32:33], v[39:40], v[37:38], v[32:33]
	v_cmp_lt_u32_e32 vcc, 10, v34
	s_or_b64 s[6:7], vcc, s[6:7]
	v_add_u32_e32 v36, 8, v36
	s_andn2_b64 exec, exec, s[6:7]
	s_cbranch_execnz .LBB14_329
; %bb.330:
	s_or_b64 exec, exec, s[6:7]
.LBB14_331:
	s_or_b64 exec, exec, s[4:5]
	v_mov_b32_e32 v26, 0
	ds_read_b64 v[26:27], v26 offset:96
	s_waitcnt lgkmcnt(0)
	v_mul_f64 v[26:27], v[32:33], v[26:27]
.LBB14_332:
	s_or_b64 exec, exec, s[28:29]
	v_cmp_gt_u32_e64 s[2:3], 13, v0
	s_waitcnt vmcnt(1)
	ds_write_b64 v96, v[28:29]
	s_waitcnt lgkmcnt(0)
	; wave barrier
	s_and_saveexec_b64 s[30:31], s[2:3]
	s_cbranch_execz .LBB14_342
; %bb.333:
	s_and_b64 vcc, exec, s[0:1]
	s_cbranch_vccnz .LBB14_335
; %bb.334:
	v_cmp_eq_u32_e32 vcc, 1, v0
	v_cndmask_b32_e32 v32, v3, v5, vcc
	v_cmp_eq_u32_e64 s[4:5], 2, v0
	v_cndmask_b32_e64 v32, v32, v7, s[4:5]
	v_cmp_eq_u32_e64 s[6:7], 3, v0
	v_cndmask_b32_e64 v32, v32, v9, s[6:7]
	;; [unrolled: 2-line block ×12, first 2 shown]
	v_cmp_eq_u32_e64 s[28:29], 14, v0
	s_waitcnt vmcnt(0)
	v_cndmask_b32_e64 v33, v32, v31, s[28:29]
	v_cndmask_b32_e32 v32, v2, v4, vcc
	v_cndmask_b32_e64 v32, v32, v6, s[4:5]
	v_cndmask_b32_e64 v32, v32, v8, s[6:7]
	;; [unrolled: 1-line block ×9, first 2 shown]
	ds_read_b64 v[34:35], v96
	v_cndmask_b32_e64 v32, v32, v24, s[22:23]
	v_cndmask_b32_e64 v32, v32, v26, s[24:25]
	;; [unrolled: 1-line block ×4, first 2 shown]
	s_waitcnt lgkmcnt(0)
	v_mul_f64 v[32:33], v[32:33], v[34:35]
	s_cbranch_execz .LBB14_336
	s_branch .LBB14_337
.LBB14_335:
                                        ; implicit-def: $vgpr32_vgpr33
.LBB14_336:
	ds_read_b64 v[32:33], v96
.LBB14_337:
	v_cmp_ne_u32_e32 vcc, 12, v0
	s_and_saveexec_b64 s[6:7], vcc
	s_cbranch_execz .LBB14_341
; %bb.338:
	v_mov_b32_e32 v34, 0x88
	v_lshl_add_u32 v36, v0, 3, v34
	v_mov_b32_e32 v35, v1
	s_mov_b64 s[8:9], 0
	v_mov_b32_e32 v34, v0
.LBB14_339:                             ; =>This Inner Loop Header: Depth=1
	v_add_co_u32_e32 v34, vcc, 1, v34
	v_addc_co_u32_e32 v35, vcc, 0, v35, vcc
	v_cmp_eq_u32_e32 vcc, 1, v34
	v_cndmask_b32_e32 v39, v3, v5, vcc
	v_cmp_eq_u32_e64 s[4:5], 2, v34
	v_cndmask_b32_e64 v39, v39, v7, s[4:5]
	v_cndmask_b32_e32 v40, v2, v4, vcc
	v_cmp_eq_u32_e32 vcc, 3, v34
	v_cndmask_b32_e32 v39, v39, v9, vcc
	v_cndmask_b32_e64 v40, v40, v6, s[4:5]
	v_cmp_eq_u32_e64 s[4:5], 4, v34
	v_cndmask_b32_e64 v39, v39, v11, s[4:5]
	v_cndmask_b32_e32 v40, v40, v8, vcc
	v_cmp_eq_u32_e32 vcc, 5, v34
	v_cndmask_b32_e32 v39, v39, v13, vcc
	v_cndmask_b32_e64 v40, v40, v10, s[4:5]
	v_cmp_eq_u32_e64 s[4:5], 6, v34
	v_cndmask_b32_e64 v39, v39, v15, s[4:5]
	v_cndmask_b32_e32 v40, v40, v12, vcc
	v_cmp_eq_u32_e32 vcc, 7, v34
	v_cndmask_b32_e32 v39, v39, v17, vcc
	v_cndmask_b32_e64 v40, v40, v14, s[4:5]
	v_cmp_eq_u32_e64 s[4:5], 8, v34
	v_cndmask_b32_e64 v39, v39, v19, s[4:5]
	v_cndmask_b32_e32 v40, v40, v16, vcc
	v_cmp_eq_u32_e32 vcc, 9, v34
	v_cndmask_b32_e32 v39, v39, v21, vcc
	v_cndmask_b32_e64 v40, v40, v18, s[4:5]
	v_cmp_eq_u32_e64 s[4:5], 10, v34
	v_cndmask_b32_e64 v39, v39, v23, s[4:5]
	v_cndmask_b32_e32 v40, v40, v20, vcc
	v_cmp_eq_u32_e32 vcc, 11, v34
	ds_read_b64 v[37:38], v36
	v_cndmask_b32_e32 v39, v39, v25, vcc
	v_cndmask_b32_e64 v40, v40, v22, s[4:5]
	v_cmp_eq_u32_e64 s[4:5], 12, v34
	v_cndmask_b32_e64 v39, v39, v27, s[4:5]
	v_cndmask_b32_e32 v40, v40, v24, vcc
	v_cmp_eq_u32_e32 vcc, 13, v34
	v_cndmask_b32_e32 v39, v39, v29, vcc
	v_cndmask_b32_e64 v41, v40, v26, s[4:5]
	v_cmp_eq_u32_e64 s[4:5], 14, v34
	s_waitcnt vmcnt(0)
	v_cndmask_b32_e64 v40, v39, v31, s[4:5]
	v_cndmask_b32_e32 v39, v41, v28, vcc
	v_cndmask_b32_e64 v39, v39, v30, s[4:5]
	s_waitcnt lgkmcnt(0)
	v_fma_f64 v[32:33], v[39:40], v[37:38], v[32:33]
	v_cmp_lt_u32_e32 vcc, 11, v34
	s_or_b64 s[8:9], vcc, s[8:9]
	v_add_u32_e32 v36, 8, v36
	s_andn2_b64 exec, exec, s[8:9]
	s_cbranch_execnz .LBB14_339
; %bb.340:
	s_or_b64 exec, exec, s[8:9]
.LBB14_341:
	s_or_b64 exec, exec, s[6:7]
	v_mov_b32_e32 v28, 0
	ds_read_b64 v[28:29], v28 offset:104
	s_waitcnt lgkmcnt(0)
	v_mul_f64 v[28:29], v[32:33], v[28:29]
.LBB14_342:
	s_or_b64 exec, exec, s[30:31]
	v_cmp_ne_u32_e32 vcc, 14, v0
	s_waitcnt vmcnt(0)
	ds_write_b64 v96, v[30:31]
	s_waitcnt lgkmcnt(0)
	; wave barrier
	s_and_saveexec_b64 s[28:29], vcc
	s_cbranch_execz .LBB14_352
; %bb.343:
	s_and_b64 vcc, exec, s[0:1]
	s_cbranch_vccnz .LBB14_345
; %bb.344:
	v_cmp_eq_u32_e32 vcc, 1, v0
	v_cndmask_b32_e32 v32, v3, v5, vcc
	v_cmp_eq_u32_e64 s[0:1], 2, v0
	v_cndmask_b32_e64 v32, v32, v7, s[0:1]
	v_cmp_eq_u32_e64 s[4:5], 3, v0
	v_cndmask_b32_e64 v32, v32, v9, s[4:5]
	;; [unrolled: 2-line block ×13, first 2 shown]
	v_cndmask_b32_e32 v32, v2, v4, vcc
	v_cndmask_b32_e64 v32, v32, v6, s[0:1]
	v_cndmask_b32_e64 v32, v32, v8, s[4:5]
	;; [unrolled: 1-line block ×9, first 2 shown]
	ds_read_b64 v[34:35], v96
	v_cndmask_b32_e64 v32, v32, v24, s[20:21]
	v_cndmask_b32_e64 v32, v32, v26, s[22:23]
	;; [unrolled: 1-line block ×4, first 2 shown]
	s_waitcnt lgkmcnt(0)
	v_mul_f64 v[32:33], v[32:33], v[34:35]
	s_cbranch_execz .LBB14_346
	s_branch .LBB14_347
.LBB14_345:
                                        ; implicit-def: $vgpr32_vgpr33
.LBB14_346:
	ds_read_b64 v[32:33], v96
.LBB14_347:
	s_and_saveexec_b64 s[4:5], s[2:3]
	s_cbranch_execz .LBB14_351
; %bb.348:
	v_mov_b32_e32 v34, 0x88
	v_lshl_add_u32 v34, v0, 3, v34
	s_mov_b64 s[2:3], 0
.LBB14_349:                             ; =>This Inner Loop Header: Depth=1
	v_add_co_u32_e32 v0, vcc, 1, v0
	v_addc_co_u32_e32 v1, vcc, 0, v1, vcc
	v_cmp_eq_u32_e32 vcc, 1, v0
	v_cndmask_b32_e32 v37, v3, v5, vcc
	v_cmp_eq_u32_e64 s[0:1], 2, v0
	v_cndmask_b32_e64 v37, v37, v7, s[0:1]
	v_cndmask_b32_e32 v38, v2, v4, vcc
	v_cmp_eq_u32_e32 vcc, 3, v0
	v_cndmask_b32_e32 v37, v37, v9, vcc
	v_cndmask_b32_e64 v38, v38, v6, s[0:1]
	v_cmp_eq_u32_e64 s[0:1], 4, v0
	v_cndmask_b32_e64 v37, v37, v11, s[0:1]
	v_cndmask_b32_e32 v38, v38, v8, vcc
	v_cmp_eq_u32_e32 vcc, 5, v0
	v_cndmask_b32_e32 v37, v37, v13, vcc
	v_cndmask_b32_e64 v38, v38, v10, s[0:1]
	v_cmp_eq_u32_e64 s[0:1], 6, v0
	v_cndmask_b32_e64 v37, v37, v15, s[0:1]
	v_cndmask_b32_e32 v38, v38, v12, vcc
	v_cmp_eq_u32_e32 vcc, 7, v0
	v_cndmask_b32_e32 v37, v37, v17, vcc
	v_cndmask_b32_e64 v38, v38, v14, s[0:1]
	v_cmp_eq_u32_e64 s[0:1], 8, v0
	v_cndmask_b32_e64 v37, v37, v19, s[0:1]
	v_cndmask_b32_e32 v38, v38, v16, vcc
	v_cmp_eq_u32_e32 vcc, 9, v0
	v_cndmask_b32_e32 v37, v37, v21, vcc
	v_cndmask_b32_e64 v38, v38, v18, s[0:1]
	v_cmp_eq_u32_e64 s[0:1], 10, v0
	v_cndmask_b32_e64 v37, v37, v23, s[0:1]
	v_cndmask_b32_e32 v38, v38, v20, vcc
	v_cmp_eq_u32_e32 vcc, 11, v0
	ds_read_b64 v[35:36], v34
	v_cndmask_b32_e32 v37, v37, v25, vcc
	v_cndmask_b32_e64 v38, v38, v22, s[0:1]
	v_cmp_eq_u32_e64 s[0:1], 12, v0
	v_cndmask_b32_e64 v37, v37, v27, s[0:1]
	v_cndmask_b32_e32 v38, v38, v24, vcc
	v_cmp_eq_u32_e32 vcc, 13, v0
	v_cndmask_b32_e32 v37, v37, v29, vcc
	v_cndmask_b32_e64 v39, v38, v26, s[0:1]
	v_cmp_eq_u32_e64 s[0:1], 14, v0
	v_cndmask_b32_e64 v38, v37, v31, s[0:1]
	v_cndmask_b32_e32 v37, v39, v28, vcc
	v_cndmask_b32_e64 v37, v37, v30, s[0:1]
	s_waitcnt lgkmcnt(0)
	v_fma_f64 v[32:33], v[37:38], v[35:36], v[32:33]
	v_cmp_lt_u32_e32 vcc, 12, v0
	s_or_b64 s[2:3], vcc, s[2:3]
	v_add_u32_e32 v34, 8, v34
	s_andn2_b64 exec, exec, s[2:3]
	s_cbranch_execnz .LBB14_349
; %bb.350:
	s_or_b64 exec, exec, s[2:3]
.LBB14_351:
	s_or_b64 exec, exec, s[4:5]
	v_mov_b32_e32 v0, 0
	ds_read_b64 v[0:1], v0 offset:112
	s_waitcnt lgkmcnt(0)
	v_mul_f64 v[30:31], v[32:33], v[0:1]
.LBB14_352:
	s_or_b64 exec, exec, s[28:29]
	v_mov_b32_e32 v63, v33
	v_mov_b32_e32 v62, v32
	;; [unrolled: 1-line block ×32, first 2 shown]
.LBB14_353:
	global_store_dwordx2 v[90:91], v[32:33], off
	global_store_dwordx2 v[92:93], v[34:35], off
	;; [unrolled: 1-line block ×15, first 2 shown]
.LBB14_354:
	s_endpgm
	.section	.rodata,"a",@progbits
	.p2align	6, 0x0
	.amdhsa_kernel _ZN9rocsolver6v33100L18trti2_kernel_smallILi15EdPdEEv13rocblas_fill_17rocblas_diagonal_T1_iil
		.amdhsa_group_segment_fixed_size 248
		.amdhsa_private_segment_fixed_size 0
		.amdhsa_kernarg_size 32
		.amdhsa_user_sgpr_count 6
		.amdhsa_user_sgpr_private_segment_buffer 1
		.amdhsa_user_sgpr_dispatch_ptr 0
		.amdhsa_user_sgpr_queue_ptr 0
		.amdhsa_user_sgpr_kernarg_segment_ptr 1
		.amdhsa_user_sgpr_dispatch_id 0
		.amdhsa_user_sgpr_flat_scratch_init 0
		.amdhsa_user_sgpr_private_segment_size 0
		.amdhsa_uses_dynamic_stack 0
		.amdhsa_system_sgpr_private_segment_wavefront_offset 0
		.amdhsa_system_sgpr_workgroup_id_x 1
		.amdhsa_system_sgpr_workgroup_id_y 0
		.amdhsa_system_sgpr_workgroup_id_z 0
		.amdhsa_system_sgpr_workgroup_info 0
		.amdhsa_system_vgpr_workitem_id 0
		.amdhsa_next_free_vgpr 116
		.amdhsa_next_free_sgpr 48
		.amdhsa_reserve_vcc 1
		.amdhsa_reserve_flat_scratch 0
		.amdhsa_float_round_mode_32 0
		.amdhsa_float_round_mode_16_64 0
		.amdhsa_float_denorm_mode_32 3
		.amdhsa_float_denorm_mode_16_64 3
		.amdhsa_dx10_clamp 1
		.amdhsa_ieee_mode 1
		.amdhsa_fp16_overflow 0
		.amdhsa_exception_fp_ieee_invalid_op 0
		.amdhsa_exception_fp_denorm_src 0
		.amdhsa_exception_fp_ieee_div_zero 0
		.amdhsa_exception_fp_ieee_overflow 0
		.amdhsa_exception_fp_ieee_underflow 0
		.amdhsa_exception_fp_ieee_inexact 0
		.amdhsa_exception_int_div_zero 0
	.end_amdhsa_kernel
	.section	.text._ZN9rocsolver6v33100L18trti2_kernel_smallILi15EdPdEEv13rocblas_fill_17rocblas_diagonal_T1_iil,"axG",@progbits,_ZN9rocsolver6v33100L18trti2_kernel_smallILi15EdPdEEv13rocblas_fill_17rocblas_diagonal_T1_iil,comdat
.Lfunc_end14:
	.size	_ZN9rocsolver6v33100L18trti2_kernel_smallILi15EdPdEEv13rocblas_fill_17rocblas_diagonal_T1_iil, .Lfunc_end14-_ZN9rocsolver6v33100L18trti2_kernel_smallILi15EdPdEEv13rocblas_fill_17rocblas_diagonal_T1_iil
                                        ; -- End function
	.set _ZN9rocsolver6v33100L18trti2_kernel_smallILi15EdPdEEv13rocblas_fill_17rocblas_diagonal_T1_iil.num_vgpr, 116
	.set _ZN9rocsolver6v33100L18trti2_kernel_smallILi15EdPdEEv13rocblas_fill_17rocblas_diagonal_T1_iil.num_agpr, 0
	.set _ZN9rocsolver6v33100L18trti2_kernel_smallILi15EdPdEEv13rocblas_fill_17rocblas_diagonal_T1_iil.numbered_sgpr, 48
	.set _ZN9rocsolver6v33100L18trti2_kernel_smallILi15EdPdEEv13rocblas_fill_17rocblas_diagonal_T1_iil.num_named_barrier, 0
	.set _ZN9rocsolver6v33100L18trti2_kernel_smallILi15EdPdEEv13rocblas_fill_17rocblas_diagonal_T1_iil.private_seg_size, 0
	.set _ZN9rocsolver6v33100L18trti2_kernel_smallILi15EdPdEEv13rocblas_fill_17rocblas_diagonal_T1_iil.uses_vcc, 1
	.set _ZN9rocsolver6v33100L18trti2_kernel_smallILi15EdPdEEv13rocblas_fill_17rocblas_diagonal_T1_iil.uses_flat_scratch, 0
	.set _ZN9rocsolver6v33100L18trti2_kernel_smallILi15EdPdEEv13rocblas_fill_17rocblas_diagonal_T1_iil.has_dyn_sized_stack, 0
	.set _ZN9rocsolver6v33100L18trti2_kernel_smallILi15EdPdEEv13rocblas_fill_17rocblas_diagonal_T1_iil.has_recursion, 0
	.set _ZN9rocsolver6v33100L18trti2_kernel_smallILi15EdPdEEv13rocblas_fill_17rocblas_diagonal_T1_iil.has_indirect_call, 0
	.section	.AMDGPU.csdata,"",@progbits
; Kernel info:
; codeLenInByte = 30256
; TotalNumSgprs: 52
; NumVgprs: 116
; ScratchSize: 0
; MemoryBound: 0
; FloatMode: 240
; IeeeMode: 1
; LDSByteSize: 248 bytes/workgroup (compile time only)
; SGPRBlocks: 6
; VGPRBlocks: 28
; NumSGPRsForWavesPerEU: 52
; NumVGPRsForWavesPerEU: 116
; Occupancy: 2
; WaveLimiterHint : 0
; COMPUTE_PGM_RSRC2:SCRATCH_EN: 0
; COMPUTE_PGM_RSRC2:USER_SGPR: 6
; COMPUTE_PGM_RSRC2:TRAP_HANDLER: 0
; COMPUTE_PGM_RSRC2:TGID_X_EN: 1
; COMPUTE_PGM_RSRC2:TGID_Y_EN: 0
; COMPUTE_PGM_RSRC2:TGID_Z_EN: 0
; COMPUTE_PGM_RSRC2:TIDIG_COMP_CNT: 0
	.section	.text._ZN9rocsolver6v33100L18trti2_kernel_smallILi16EdPdEEv13rocblas_fill_17rocblas_diagonal_T1_iil,"axG",@progbits,_ZN9rocsolver6v33100L18trti2_kernel_smallILi16EdPdEEv13rocblas_fill_17rocblas_diagonal_T1_iil,comdat
	.globl	_ZN9rocsolver6v33100L18trti2_kernel_smallILi16EdPdEEv13rocblas_fill_17rocblas_diagonal_T1_iil ; -- Begin function _ZN9rocsolver6v33100L18trti2_kernel_smallILi16EdPdEEv13rocblas_fill_17rocblas_diagonal_T1_iil
	.p2align	8
	.type	_ZN9rocsolver6v33100L18trti2_kernel_smallILi16EdPdEEv13rocblas_fill_17rocblas_diagonal_T1_iil,@function
_ZN9rocsolver6v33100L18trti2_kernel_smallILi16EdPdEEv13rocblas_fill_17rocblas_diagonal_T1_iil: ; @_ZN9rocsolver6v33100L18trti2_kernel_smallILi16EdPdEEv13rocblas_fill_17rocblas_diagonal_T1_iil
; %bb.0:
	v_cmp_gt_u32_e32 vcc, 16, v0
	s_and_saveexec_b64 s[0:1], vcc
	s_cbranch_execz .LBB15_380
; %bb.1:
	s_load_dwordx8 s[36:43], s[4:5], 0x0
	s_ashr_i32 s2, s6, 31
	v_lshlrev_b32_e32 v36, 3, v0
	v_mov_b32_e32 v34, 0
	v_mov_b32_e32 v35, 0xbff00000
	s_waitcnt lgkmcnt(0)
	s_mul_hi_u32 s3, s42, s6
	s_mul_i32 s2, s42, s2
	s_add_i32 s2, s3, s2
	s_mul_i32 s3, s43, s6
	s_add_i32 s3, s2, s3
	s_mul_i32 s2, s42, s6
	s_ashr_i32 s1, s40, 31
	s_lshl_b64 s[2:3], s[2:3], 3
	s_mov_b32 s0, s40
	s_add_u32 s2, s38, s2
	s_addc_u32 s3, s39, s3
	s_lshl_b64 s[0:1], s[0:1], 3
	s_add_u32 s0, s2, s0
	s_addc_u32 s1, s3, s1
	s_add_i32 s2, s41, s41
	v_add_u32_e32 v1, s2, v0
	v_ashrrev_i32_e32 v2, 31, v1
	v_lshlrev_b64 v[2:3], 3, v[1:2]
	v_add_u32_e32 v1, s41, v1
	v_mov_b32_e32 v4, s1
	v_add_co_u32_e32 v66, vcc, s0, v2
	v_ashrrev_i32_e32 v2, 31, v1
	v_addc_co_u32_e32 v67, vcc, v4, v3, vcc
	v_lshlrev_b64 v[2:3], 3, v[1:2]
	v_add_u32_e32 v1, s41, v1
	v_add_co_u32_e32 v68, vcc, s0, v2
	v_ashrrev_i32_e32 v2, 31, v1
	v_addc_co_u32_e32 v69, vcc, v4, v3, vcc
	v_lshlrev_b64 v[2:3], 3, v[1:2]
	v_add_u32_e32 v1, s41, v1
	;; [unrolled: 5-line block ×12, first 2 shown]
	v_add_co_u32_e32 v90, vcc, s0, v2
	v_ashrrev_i32_e32 v2, 31, v1
	v_lshlrev_b64 v[1:2], 3, v[1:2]
	v_addc_co_u32_e32 v91, vcc, v4, v3, vcc
	v_mov_b32_e32 v3, s1
	v_add_co_u32_e32 v92, vcc, s0, v1
	v_addc_co_u32_e32 v93, vcc, v3, v2, vcc
	v_mov_b32_e32 v1, s1
	v_add_co_u32_e32 v94, vcc, s0, v36
	s_ashr_i32 s3, s41, 31
	s_mov_b32 s2, s41
	v_addc_co_u32_e32 v95, vcc, 0, v1, vcc
	s_lshl_b64 s[2:3], s[2:3], 3
	v_mov_b32_e32 v1, s3
	v_add_co_u32_e32 v96, vcc, s2, v94
	v_addc_co_u32_e32 v97, vcc, v95, v1, vcc
	global_load_dwordx2 v[4:5], v[96:97], off
	global_load_dwordx2 v[6:7], v[66:67], off
	;; [unrolled: 1-line block ×12, first 2 shown]
	global_load_dwordx2 v[2:3], v36, s[0:1]
	global_load_dwordx2 v[28:29], v[88:89], off
	global_load_dwordx2 v[30:31], v[90:91], off
                                        ; kill: killed $sgpr0 killed $sgpr1
	global_load_dwordx2 v[32:33], v[92:93], off
	s_cmpk_lg_i32 s37, 0x84
	s_cselect_b64 s[34:35], -1, 0
	s_cmpk_eq_i32 s37, 0x84
	v_mov_b32_e32 v1, 0
	s_cbranch_scc1 .LBB15_3
; %bb.2:
	v_cmp_eq_u32_e64 s[0:1], 1, v0
	s_waitcnt vmcnt(3)
	v_cndmask_b32_e64 v34, v3, v5, s[0:1]
	v_cmp_eq_u32_e64 s[2:3], 2, v0
	v_cndmask_b32_e64 v34, v34, v7, s[2:3]
	v_cmp_eq_u32_e64 s[4:5], 3, v0
	;; [unrolled: 2-line block ×12, first 2 shown]
	s_waitcnt vmcnt(2)
	v_cndmask_b32_e64 v34, v34, v29, s[24:25]
	v_cmp_eq_u32_e64 s[26:27], 14, v0
	s_waitcnt vmcnt(1)
	v_cndmask_b32_e64 v34, v34, v31, s[26:27]
	v_cmp_eq_u32_e64 s[28:29], 15, v0
	s_waitcnt vmcnt(0)
	v_cndmask_b32_e64 v35, v34, v33, s[28:29]
	v_cndmask_b32_e64 v34, v2, v4, s[0:1]
	;; [unrolled: 1-line block ×16, first 2 shown]
	v_div_scale_f64 v[37:38], s[30:31], v[34:35], v[34:35], 1.0
	v_rcp_f64_e32 v[39:40], v[37:38]
	v_fma_f64 v[41:42], -v[37:38], v[39:40], 1.0
	v_fma_f64 v[39:40], v[39:40], v[41:42], v[39:40]
	v_div_scale_f64 v[41:42], vcc, 1.0, v[34:35], 1.0
	v_fma_f64 v[43:44], -v[37:38], v[39:40], 1.0
	v_fma_f64 v[39:40], v[39:40], v[43:44], v[39:40]
	v_mul_f64 v[43:44], v[41:42], v[39:40]
	v_fma_f64 v[37:38], -v[37:38], v[43:44], v[41:42]
	v_div_fmas_f64 v[37:38], v[37:38], v[39:40], v[43:44]
	v_cmp_eq_u32_e32 vcc, 0, v0
	v_div_fixup_f64 v[34:35], v[37:38], v[34:35], 1.0
	v_cndmask_b32_e64 v33, v33, v35, s[28:29]
	v_cndmask_b32_e64 v32, v32, v34, s[28:29]
	;; [unrolled: 1-line block ×30, first 2 shown]
	v_cndmask_b32_e32 v3, v3, v35, vcc
	v_cndmask_b32_e32 v2, v2, v34, vcc
	v_xor_b32_e32 v35, 0x80000000, v35
.LBB15_3:
	s_cmpk_eq_i32 s36, 0x79
	v_add_u32_e32 v100, 0x80, v36
	ds_write_b64 v36, v[34:35]
	s_cbranch_scc1 .LBB15_7
; %bb.4:
	s_waitcnt vmcnt(0)
	v_mov_b32_e32 v65, v33
	v_mov_b32_e32 v64, v32
	;; [unrolled: 1-line block ×32, first 2 shown]
	v_cmp_eq_u32_e64 s[0:1], 15, v0
	ds_write_b64 v100, v[30:31]
	s_waitcnt lgkmcnt(0)
	; wave barrier
	s_and_saveexec_b64 s[30:31], s[0:1]
	s_cbranch_execz .LBB15_11
; %bb.5:
	s_and_b64 vcc, exec, s[34:35]
	s_cbranch_vccz .LBB15_8
; %bb.6:
	v_cmp_eq_u32_e32 vcc, 1, v0
	v_cndmask_b32_e32 v34, v3, v5, vcc
	v_cmp_eq_u32_e64 s[2:3], 2, v0
	v_cndmask_b32_e64 v34, v34, v7, s[2:3]
	v_cmp_eq_u32_e64 s[4:5], 3, v0
	v_cndmask_b32_e64 v34, v34, v9, s[4:5]
	;; [unrolled: 2-line block ×14, first 2 shown]
	v_cndmask_b32_e32 v34, v2, v4, vcc
	v_cndmask_b32_e64 v34, v34, v6, s[2:3]
	v_cndmask_b32_e64 v34, v34, v8, s[4:5]
	;; [unrolled: 1-line block ×10, first 2 shown]
	ds_read_b64 v[36:37], v100
	v_cndmask_b32_e64 v34, v34, v26, s[22:23]
	v_cndmask_b32_e64 v34, v34, v28, s[24:25]
	;; [unrolled: 1-line block ×4, first 2 shown]
	s_waitcnt lgkmcnt(0)
	v_mul_f64 v[34:35], v[34:35], v[36:37]
	s_cbranch_execz .LBB15_9
	s_branch .LBB15_10
.LBB15_7:
                                        ; implicit-def: $vgpr34_vgpr35_vgpr36_vgpr37_vgpr38_vgpr39_vgpr40_vgpr41_vgpr42_vgpr43_vgpr44_vgpr45_vgpr46_vgpr47_vgpr48_vgpr49_vgpr50_vgpr51_vgpr52_vgpr53_vgpr54_vgpr55_vgpr56_vgpr57_vgpr58_vgpr59_vgpr60_vgpr61_vgpr62_vgpr63_vgpr64_vgpr65
	s_cbranch_execnz .LBB15_226
	s_branch .LBB15_379
.LBB15_8:
                                        ; implicit-def: $vgpr34_vgpr35
.LBB15_9:
	ds_read_b64 v[34:35], v100
.LBB15_10:
	v_mov_b32_e32 v36, 0
	ds_read_b64 v[36:37], v36 offset:112
	s_waitcnt lgkmcnt(0)
	v_mul_f64 v[98:99], v[34:35], v[36:37]
	v_mov_b32_e32 v65, v33
	v_mov_b32_e32 v63, v31
	;; [unrolled: 1-line block ×34, first 2 shown]
.LBB15_11:
	s_or_b64 exec, exec, s[30:31]
	v_cmp_lt_u32_e64 s[2:3], 13, v0
	ds_write_b64 v100, v[60:61]
	s_waitcnt lgkmcnt(0)
	; wave barrier
	s_and_saveexec_b64 s[36:37], s[2:3]
	s_cbranch_execz .LBB15_17
; %bb.12:
	s_andn2_b64 vcc, exec, s[34:35]
	s_cbranch_vccnz .LBB15_14
; %bb.13:
	v_cmp_eq_u32_e32 vcc, 1, v0
	v_cndmask_b32_e32 v98, v35, v37, vcc
	v_cmp_eq_u32_e64 s[4:5], 2, v0
	v_cndmask_b32_e64 v98, v98, v39, s[4:5]
	v_cmp_eq_u32_e64 s[6:7], 3, v0
	v_cndmask_b32_e64 v98, v98, v41, s[6:7]
	;; [unrolled: 2-line block ×12, first 2 shown]
	v_cndmask_b32_e32 v98, v34, v36, vcc
	v_cndmask_b32_e64 v98, v98, v38, s[4:5]
	v_cndmask_b32_e64 v98, v98, v40, s[6:7]
	;; [unrolled: 1-line block ×10, first 2 shown]
	ds_read_b64 v[98:99], v100
	v_cndmask_b32_e64 v101, v101, v58, s[24:25]
	v_cmp_eq_u32_e64 s[28:29], 14, v0
	v_cndmask_b32_e64 v60, v101, v60, s[26:27]
	v_cndmask_b32_e64 v61, v61, v63, s[28:29]
	v_cmp_eq_u32_e64 s[30:31], 15, v0
	v_cndmask_b32_e64 v60, v60, v62, s[28:29]
	v_cndmask_b32_e64 v61, v61, v65, s[30:31]
	;; [unrolled: 1-line block ×3, first 2 shown]
	s_waitcnt lgkmcnt(0)
	v_mul_f64 v[60:61], v[60:61], v[98:99]
	s_cbranch_execz .LBB15_15
	s_branch .LBB15_16
.LBB15_14:
                                        ; implicit-def: $vgpr60_vgpr61
.LBB15_15:
	ds_read_b64 v[60:61], v100
.LBB15_16:
	v_mov_b32_e32 v98, 0
	ds_read2_b64 v[101:104], v98 offset0:13 offset1:30
	s_waitcnt lgkmcnt(0)
	v_fma_f64 v[98:99], v[62:63], v[103:104], v[60:61]
	v_cndmask_b32_e64 v61, v61, v99, s[0:1]
	v_cndmask_b32_e64 v60, v60, v98, s[0:1]
	v_mul_f64 v[60:61], v[60:61], v[101:102]
.LBB15_17:
	s_or_b64 exec, exec, s[36:37]
	v_cmp_lt_u32_e64 s[0:1], 12, v0
	ds_write_b64 v100, v[58:59]
	s_waitcnt lgkmcnt(0)
	; wave barrier
	s_and_saveexec_b64 s[36:37], s[0:1]
	s_cbranch_execz .LBB15_33
; %bb.18:
	s_andn2_b64 vcc, exec, s[34:35]
	s_cbranch_vccnz .LBB15_20
; %bb.19:
	v_cmp_eq_u32_e32 vcc, 1, v0
	v_cndmask_b32_e32 v98, v35, v37, vcc
	v_cmp_eq_u32_e64 s[4:5], 2, v0
	v_cndmask_b32_e64 v98, v98, v39, s[4:5]
	v_cmp_eq_u32_e64 s[6:7], 3, v0
	v_cndmask_b32_e64 v98, v98, v41, s[6:7]
	;; [unrolled: 2-line block ×14, first 2 shown]
	v_cndmask_b32_e32 v98, v34, v36, vcc
	v_cndmask_b32_e64 v98, v98, v38, s[4:5]
	v_cndmask_b32_e64 v98, v98, v40, s[6:7]
	;; [unrolled: 1-line block ×10, first 2 shown]
	ds_read_b64 v[101:102], v100
	v_cndmask_b32_e64 v98, v98, v58, s[24:25]
	v_cndmask_b32_e64 v98, v98, v60, s[26:27]
	;; [unrolled: 1-line block ×4, first 2 shown]
	s_waitcnt lgkmcnt(0)
	v_mul_f64 v[98:99], v[98:99], v[101:102]
	s_cbranch_execz .LBB15_21
	s_branch .LBB15_22
.LBB15_20:
                                        ; implicit-def: $vgpr98_vgpr99
.LBB15_21:
	ds_read_b64 v[98:99], v100
.LBB15_22:
	s_and_saveexec_b64 s[4:5], s[2:3]
	s_cbranch_execz .LBB15_32
; %bb.23:
	v_add_u32_e32 v101, -14, v0
	v_add_u32_e32 v102, -13, v0
	v_cmp_lt_u32_e32 vcc, 6, v101
	v_mov_b32_e32 v101, 13
	s_and_saveexec_b64 s[2:3], vcc
	s_cbranch_execz .LBB15_27
; %bb.24:
	v_and_b32_e32 v101, -8, v102
	v_sub_u32_e32 v103, 0, v101
	s_mov_b64 s[6:7], 20
	s_movk_i32 s10, 0xe8
	s_mov_b64 s[8:9], 0
.LBB15_25:                              ; =>This Inner Loop Header: Depth=1
	s_lshl_b32 s11, s6, 1
	s_add_i32 s12, s11, -13
	v_mov_b32_e32 v101, s10
	s_add_i32 s13, s11, -14
	s_set_gpr_idx_on s12, gpr_idx(SRC0)
	v_mov_b32_e32 v109, v34
	s_set_gpr_idx_off
	s_set_gpr_idx_on s13, gpr_idx(SRC0)
	v_mov_b32_e32 v108, v34
	s_set_gpr_idx_off
	ds_read2_b64 v[104:107], v101 offset1:1
	s_add_i32 s12, s11, -11
	s_add_i32 s13, s11, -12
	;; [unrolled: 1-line block ×4, first 2 shown]
	s_waitcnt lgkmcnt(0)
	v_fma_f64 v[98:99], v[108:109], v[104:105], v[98:99]
	s_set_gpr_idx_on s12, gpr_idx(SRC0)
	v_mov_b32_e32 v105, v34
	s_set_gpr_idx_off
	s_set_gpr_idx_on s13, gpr_idx(SRC0)
	v_mov_b32_e32 v104, v34
	s_set_gpr_idx_off
	s_add_i32 s12, s11, -7
	s_add_i32 s13, s11, -8
	v_fma_f64 v[98:99], v[104:105], v[106:107], v[98:99]
	s_set_gpr_idx_on s14, gpr_idx(SRC0)
	v_mov_b32_e32 v109, v34
	s_set_gpr_idx_off
	s_set_gpr_idx_on s15, gpr_idx(SRC0)
	v_mov_b32_e32 v108, v34
	s_set_gpr_idx_off
	ds_read2_b64 v[104:107], v101 offset0:2 offset1:3
	s_add_i32 s14, s11, -5
	s_add_i32 s15, s11, -6
	s_waitcnt lgkmcnt(0)
	v_fma_f64 v[98:99], v[108:109], v[104:105], v[98:99]
	s_set_gpr_idx_on s12, gpr_idx(SRC0)
	v_mov_b32_e32 v105, v34
	s_set_gpr_idx_off
	s_set_gpr_idx_on s13, gpr_idx(SRC0)
	v_mov_b32_e32 v104, v34
	s_set_gpr_idx_off
	s_add_i32 s12, s11, -3
	s_add_i32 s13, s11, -4
	v_fma_f64 v[98:99], v[104:105], v[106:107], v[98:99]
	s_set_gpr_idx_on s14, gpr_idx(SRC0)
	v_mov_b32_e32 v109, v34
	s_set_gpr_idx_off
	s_set_gpr_idx_on s15, gpr_idx(SRC0)
	v_mov_b32_e32 v108, v34
	s_set_gpr_idx_off
	ds_read2_b64 v[104:107], v101 offset0:4 offset1:5
	s_add_i32 s14, s11, -1
	s_add_i32 s15, s11, -2
	s_add_u32 s6, s6, 8
	s_addc_u32 s7, s7, 0
	s_waitcnt lgkmcnt(0)
	v_fma_f64 v[98:99], v[108:109], v[104:105], v[98:99]
	s_set_gpr_idx_on s12, gpr_idx(SRC0)
	v_mov_b32_e32 v105, v34
	s_set_gpr_idx_off
	s_set_gpr_idx_on s13, gpr_idx(SRC0)
	v_mov_b32_e32 v104, v34
	s_set_gpr_idx_off
	s_add_i32 s10, s10, 64
	v_fma_f64 v[98:99], v[104:105], v[106:107], v[98:99]
	s_set_gpr_idx_on s14, gpr_idx(SRC0)
	v_mov_b32_e32 v109, v34
	s_set_gpr_idx_off
	s_set_gpr_idx_on s15, gpr_idx(SRC0)
	v_mov_b32_e32 v108, v34
	s_set_gpr_idx_off
	ds_read2_b64 v[104:107], v101 offset0:6 offset1:7
	v_add_u32_e32 v101, s6, v103
	v_cmp_eq_u32_e32 vcc, 20, v101
	s_waitcnt lgkmcnt(0)
	v_fma_f64 v[98:99], v[108:109], v[104:105], v[98:99]
	s_set_gpr_idx_on s11, gpr_idx(SRC0)
	v_mov_b32_e32 v105, v35
	v_mov_b32_e32 v104, v34
	s_set_gpr_idx_off
	s_add_i32 s11, s6, -7
	s_or_b64 s[8:9], vcc, s[8:9]
	v_mov_b32_e32 v101, s11
	v_fma_f64 v[98:99], v[104:105], v[106:107], v[98:99]
	s_andn2_b64 exec, exec, s[8:9]
	s_cbranch_execnz .LBB15_25
; %bb.26:
	s_or_b64 exec, exec, s[8:9]
.LBB15_27:
	s_or_b64 exec, exec, s[2:3]
	v_and_b32_e32 v102, 7, v102
	v_cmp_ne_u32_e32 vcc, 0, v102
	s_and_saveexec_b64 s[6:7], vcc
	s_cbranch_execz .LBB15_31
; %bb.28:
	v_mov_b32_e32 v103, 0x80
	v_lshl_add_u32 v103, v101, 3, v103
	v_mov_b32_e32 v104, 0
	s_mov_b64 s[8:9], 0
.LBB15_29:                              ; =>This Inner Loop Header: Depth=1
	v_cmp_eq_u32_e32 vcc, 1, v101
	v_cndmask_b32_e32 v107, v35, v37, vcc
	v_cmp_eq_u32_e64 s[2:3], 2, v101
	v_cndmask_b32_e64 v107, v107, v39, s[2:3]
	v_cndmask_b32_e32 v108, v34, v36, vcc
	v_cmp_eq_u32_e32 vcc, 3, v101
	v_cndmask_b32_e32 v107, v107, v41, vcc
	v_cndmask_b32_e64 v108, v108, v38, s[2:3]
	v_cmp_eq_u32_e64 s[2:3], 4, v101
	v_cndmask_b32_e64 v107, v107, v43, s[2:3]
	v_cndmask_b32_e32 v108, v108, v40, vcc
	v_cmp_eq_u32_e32 vcc, 5, v101
	v_cndmask_b32_e32 v107, v107, v45, vcc
	v_cndmask_b32_e64 v108, v108, v42, s[2:3]
	;; [unrolled: 6-line block ×5, first 2 shown]
	v_cmp_eq_u32_e64 s[2:3], 12, v101
	ds_read_b64 v[105:106], v103
	v_cndmask_b32_e64 v107, v107, v59, s[2:3]
	v_cndmask_b32_e32 v108, v108, v56, vcc
	v_cmp_eq_u32_e32 vcc, 13, v101
	v_cndmask_b32_e32 v107, v107, v61, vcc
	v_cndmask_b32_e64 v108, v108, v58, s[2:3]
	v_cmp_eq_u32_e64 s[2:3], 14, v101
	v_cndmask_b32_e64 v107, v107, v63, s[2:3]
	v_cndmask_b32_e32 v109, v108, v60, vcc
	v_cmp_eq_u32_e32 vcc, 15, v101
	v_cndmask_b32_e32 v108, v107, v65, vcc
	v_cndmask_b32_e64 v107, v109, v62, s[2:3]
	v_cndmask_b32_e32 v107, v107, v64, vcc
	s_waitcnt lgkmcnt(0)
	v_fma_f64 v[98:99], v[107:108], v[105:106], v[98:99]
	v_add_u32_e32 v102, -1, v102
	v_cmp_eq_u32_e32 vcc, 0, v102
	s_or_b64 s[8:9], vcc, s[8:9]
	v_add_co_u32_e32 v101, vcc, 1, v101
	v_add_u32_e32 v103, 8, v103
	v_addc_co_u32_e32 v104, vcc, 0, v104, vcc
	s_andn2_b64 exec, exec, s[8:9]
	s_cbranch_execnz .LBB15_29
; %bb.30:
	s_or_b64 exec, exec, s[8:9]
.LBB15_31:
	s_or_b64 exec, exec, s[6:7]
.LBB15_32:
	s_or_b64 exec, exec, s[4:5]
	v_mov_b32_e32 v58, 0
	ds_read_b64 v[58:59], v58 offset:96
	s_waitcnt lgkmcnt(0)
	v_mul_f64 v[58:59], v[98:99], v[58:59]
.LBB15_33:
	s_or_b64 exec, exec, s[36:37]
	v_cmp_lt_u32_e64 s[2:3], 11, v0
	ds_write_b64 v100, v[56:57]
	s_waitcnt lgkmcnt(0)
	; wave barrier
	s_and_saveexec_b64 s[36:37], s[2:3]
	s_cbranch_execz .LBB15_49
; %bb.34:
	s_andn2_b64 vcc, exec, s[34:35]
	s_cbranch_vccnz .LBB15_36
; %bb.35:
	v_cmp_eq_u32_e32 vcc, 1, v0
	v_cndmask_b32_e32 v98, v35, v37, vcc
	v_cmp_eq_u32_e64 s[4:5], 2, v0
	v_cndmask_b32_e64 v98, v98, v39, s[4:5]
	v_cmp_eq_u32_e64 s[6:7], 3, v0
	v_cndmask_b32_e64 v98, v98, v41, s[6:7]
	;; [unrolled: 2-line block ×14, first 2 shown]
	v_cndmask_b32_e32 v98, v34, v36, vcc
	v_cndmask_b32_e64 v98, v98, v38, s[4:5]
	v_cndmask_b32_e64 v98, v98, v40, s[6:7]
	;; [unrolled: 1-line block ×10, first 2 shown]
	ds_read_b64 v[101:102], v100
	v_cndmask_b32_e64 v98, v98, v58, s[24:25]
	v_cndmask_b32_e64 v98, v98, v60, s[26:27]
	;; [unrolled: 1-line block ×4, first 2 shown]
	s_waitcnt lgkmcnt(0)
	v_mul_f64 v[98:99], v[98:99], v[101:102]
	s_cbranch_execz .LBB15_37
	s_branch .LBB15_38
.LBB15_36:
                                        ; implicit-def: $vgpr98_vgpr99
.LBB15_37:
	ds_read_b64 v[98:99], v100
.LBB15_38:
	s_and_saveexec_b64 s[4:5], s[0:1]
	s_cbranch_execz .LBB15_48
; %bb.39:
	v_add_u32_e32 v101, -13, v0
	v_add_u32_e32 v102, -12, v0
	v_cmp_lt_u32_e32 vcc, 6, v101
	v_mov_b32_e32 v101, 12
	s_and_saveexec_b64 s[0:1], vcc
	s_cbranch_execz .LBB15_43
; %bb.40:
	v_and_b32_e32 v101, -8, v102
	v_sub_u32_e32 v103, 0, v101
	s_mov_b64 s[6:7], 19
	s_movk_i32 s10, 0xe0
	s_mov_b64 s[8:9], 0
.LBB15_41:                              ; =>This Inner Loop Header: Depth=1
	s_lshl_b32 s11, s6, 1
	s_add_i32 s12, s11, -13
	v_mov_b32_e32 v101, s10
	s_add_i32 s13, s11, -14
	s_set_gpr_idx_on s12, gpr_idx(SRC0)
	v_mov_b32_e32 v113, v34
	s_set_gpr_idx_off
	s_set_gpr_idx_on s13, gpr_idx(SRC0)
	v_mov_b32_e32 v112, v34
	s_set_gpr_idx_off
	ds_read_b128 v[104:107], v101
	ds_read_b128 v[108:111], v101 offset:16
	s_add_i32 s12, s11, -11
	s_add_i32 s13, s11, -12
	s_waitcnt lgkmcnt(1)
	v_fma_f64 v[98:99], v[112:113], v[104:105], v[98:99]
	ds_read_b128 v[112:115], v101 offset:32
	ds_read_b128 v[116:119], v101 offset:48
	s_set_gpr_idx_on s12, gpr_idx(SRC0)
	v_mov_b32_e32 v105, v34
	s_set_gpr_idx_off
	s_set_gpr_idx_on s13, gpr_idx(SRC0)
	v_mov_b32_e32 v104, v34
	s_set_gpr_idx_off
	s_add_i32 s12, s11, -9
	s_add_i32 s13, s11, -10
	v_fma_f64 v[98:99], v[104:105], v[106:107], v[98:99]
	s_set_gpr_idx_on s12, gpr_idx(SRC0)
	v_mov_b32_e32 v105, v34
	s_set_gpr_idx_off
	s_set_gpr_idx_on s13, gpr_idx(SRC0)
	v_mov_b32_e32 v104, v34
	s_set_gpr_idx_off
	s_add_i32 s12, s11, -7
	s_add_i32 s13, s11, -8
	s_waitcnt lgkmcnt(2)
	v_fma_f64 v[98:99], v[104:105], v[108:109], v[98:99]
	s_set_gpr_idx_on s12, gpr_idx(SRC0)
	v_mov_b32_e32 v105, v34
	s_set_gpr_idx_off
	s_set_gpr_idx_on s13, gpr_idx(SRC0)
	v_mov_b32_e32 v104, v34
	s_set_gpr_idx_off
	s_add_i32 s12, s11, -5
	s_add_i32 s13, s11, -6
	v_fma_f64 v[98:99], v[104:105], v[110:111], v[98:99]
	s_set_gpr_idx_on s12, gpr_idx(SRC0)
	v_mov_b32_e32 v105, v34
	s_set_gpr_idx_off
	s_set_gpr_idx_on s13, gpr_idx(SRC0)
	v_mov_b32_e32 v104, v34
	s_set_gpr_idx_off
	s_add_i32 s12, s11, -3
	s_add_i32 s13, s11, -4
	s_waitcnt lgkmcnt(1)
	v_fma_f64 v[98:99], v[104:105], v[112:113], v[98:99]
	s_set_gpr_idx_on s12, gpr_idx(SRC0)
	v_mov_b32_e32 v105, v34
	s_set_gpr_idx_off
	s_set_gpr_idx_on s13, gpr_idx(SRC0)
	v_mov_b32_e32 v104, v34
	s_set_gpr_idx_off
	s_add_i32 s12, s11, -1
	s_add_i32 s13, s11, -2
	s_add_u32 s6, s6, 8
	v_add_u32_e32 v101, s6, v103
	s_addc_u32 s7, s7, 0
	v_fma_f64 v[98:99], v[104:105], v[114:115], v[98:99]
	s_set_gpr_idx_on s12, gpr_idx(SRC0)
	v_mov_b32_e32 v105, v34
	s_set_gpr_idx_off
	s_set_gpr_idx_on s13, gpr_idx(SRC0)
	v_mov_b32_e32 v104, v34
	s_set_gpr_idx_off
	s_add_i32 s10, s10, 64
	v_cmp_eq_u32_e32 vcc, 19, v101
	s_waitcnt lgkmcnt(0)
	v_fma_f64 v[98:99], v[104:105], v[116:117], v[98:99]
	s_set_gpr_idx_on s11, gpr_idx(SRC0)
	v_mov_b32_e32 v105, v35
	v_mov_b32_e32 v104, v34
	s_set_gpr_idx_off
	s_add_i32 s11, s6, -7
	s_or_b64 s[8:9], vcc, s[8:9]
	v_mov_b32_e32 v101, s11
	v_fma_f64 v[98:99], v[104:105], v[118:119], v[98:99]
	s_andn2_b64 exec, exec, s[8:9]
	s_cbranch_execnz .LBB15_41
; %bb.42:
	s_or_b64 exec, exec, s[8:9]
.LBB15_43:
	s_or_b64 exec, exec, s[0:1]
	v_and_b32_e32 v102, 7, v102
	v_cmp_ne_u32_e32 vcc, 0, v102
	s_and_saveexec_b64 s[6:7], vcc
	s_cbranch_execz .LBB15_47
; %bb.44:
	v_mov_b32_e32 v103, 0x80
	v_lshl_add_u32 v103, v101, 3, v103
	v_mov_b32_e32 v104, 0
	s_mov_b64 s[8:9], 0
.LBB15_45:                              ; =>This Inner Loop Header: Depth=1
	v_cmp_eq_u32_e32 vcc, 1, v101
	v_cndmask_b32_e32 v107, v35, v37, vcc
	v_cmp_eq_u32_e64 s[0:1], 2, v101
	v_cndmask_b32_e64 v107, v107, v39, s[0:1]
	v_cndmask_b32_e32 v108, v34, v36, vcc
	v_cmp_eq_u32_e32 vcc, 3, v101
	v_cndmask_b32_e32 v107, v107, v41, vcc
	v_cndmask_b32_e64 v108, v108, v38, s[0:1]
	v_cmp_eq_u32_e64 s[0:1], 4, v101
	v_cndmask_b32_e64 v107, v107, v43, s[0:1]
	v_cndmask_b32_e32 v108, v108, v40, vcc
	v_cmp_eq_u32_e32 vcc, 5, v101
	v_cndmask_b32_e32 v107, v107, v45, vcc
	v_cndmask_b32_e64 v108, v108, v42, s[0:1]
	;; [unrolled: 6-line block ×5, first 2 shown]
	v_cmp_eq_u32_e64 s[0:1], 12, v101
	ds_read_b64 v[105:106], v103
	v_cndmask_b32_e64 v107, v107, v59, s[0:1]
	v_cndmask_b32_e32 v108, v108, v56, vcc
	v_cmp_eq_u32_e32 vcc, 13, v101
	v_cndmask_b32_e32 v107, v107, v61, vcc
	v_cndmask_b32_e64 v108, v108, v58, s[0:1]
	v_cmp_eq_u32_e64 s[0:1], 14, v101
	v_cndmask_b32_e64 v107, v107, v63, s[0:1]
	v_cndmask_b32_e32 v109, v108, v60, vcc
	v_cmp_eq_u32_e32 vcc, 15, v101
	v_cndmask_b32_e32 v108, v107, v65, vcc
	v_cndmask_b32_e64 v107, v109, v62, s[0:1]
	v_cndmask_b32_e32 v107, v107, v64, vcc
	s_waitcnt lgkmcnt(0)
	v_fma_f64 v[98:99], v[107:108], v[105:106], v[98:99]
	v_add_u32_e32 v102, -1, v102
	v_cmp_eq_u32_e32 vcc, 0, v102
	s_or_b64 s[8:9], vcc, s[8:9]
	v_add_co_u32_e32 v101, vcc, 1, v101
	v_add_u32_e32 v103, 8, v103
	v_addc_co_u32_e32 v104, vcc, 0, v104, vcc
	s_andn2_b64 exec, exec, s[8:9]
	s_cbranch_execnz .LBB15_45
; %bb.46:
	s_or_b64 exec, exec, s[8:9]
.LBB15_47:
	s_or_b64 exec, exec, s[6:7]
.LBB15_48:
	s_or_b64 exec, exec, s[4:5]
	v_mov_b32_e32 v56, 0
	ds_read_b64 v[56:57], v56 offset:88
	s_waitcnt lgkmcnt(0)
	v_mul_f64 v[56:57], v[98:99], v[56:57]
.LBB15_49:
	s_or_b64 exec, exec, s[36:37]
	v_cmp_lt_u32_e64 s[0:1], 10, v0
	ds_write_b64 v100, v[54:55]
	s_waitcnt lgkmcnt(0)
	; wave barrier
	s_and_saveexec_b64 s[36:37], s[0:1]
	s_cbranch_execz .LBB15_65
; %bb.50:
	s_andn2_b64 vcc, exec, s[34:35]
	s_cbranch_vccnz .LBB15_52
; %bb.51:
	v_cmp_eq_u32_e32 vcc, 1, v0
	v_cndmask_b32_e32 v98, v35, v37, vcc
	v_cmp_eq_u32_e64 s[4:5], 2, v0
	v_cndmask_b32_e64 v98, v98, v39, s[4:5]
	v_cmp_eq_u32_e64 s[6:7], 3, v0
	v_cndmask_b32_e64 v98, v98, v41, s[6:7]
	v_cmp_eq_u32_e64 s[8:9], 4, v0
	v_cndmask_b32_e64 v98, v98, v43, s[8:9]
	v_cmp_eq_u32_e64 s[10:11], 5, v0
	v_cndmask_b32_e64 v98, v98, v45, s[10:11]
	v_cmp_eq_u32_e64 s[12:13], 6, v0
	v_cndmask_b32_e64 v98, v98, v47, s[12:13]
	v_cmp_eq_u32_e64 s[14:15], 7, v0
	v_cndmask_b32_e64 v98, v98, v49, s[14:15]
	v_cmp_eq_u32_e64 s[16:17], 8, v0
	v_cndmask_b32_e64 v98, v98, v51, s[16:17]
	v_cmp_eq_u32_e64 s[18:19], 9, v0
	v_cndmask_b32_e64 v98, v98, v53, s[18:19]
	v_cmp_eq_u32_e64 s[20:21], 10, v0
	v_cndmask_b32_e64 v98, v98, v55, s[20:21]
	v_cmp_eq_u32_e64 s[22:23], 11, v0
	v_cndmask_b32_e64 v98, v98, v57, s[22:23]
	v_cmp_eq_u32_e64 s[24:25], 12, v0
	v_cndmask_b32_e64 v98, v98, v59, s[24:25]
	v_cmp_eq_u32_e64 s[26:27], 13, v0
	v_cndmask_b32_e64 v98, v98, v61, s[26:27]
	v_cmp_eq_u32_e64 s[28:29], 14, v0
	v_cndmask_b32_e64 v98, v98, v63, s[28:29]
	v_cmp_eq_u32_e64 s[30:31], 15, v0
	v_cndmask_b32_e64 v99, v98, v65, s[30:31]
	v_cndmask_b32_e32 v98, v34, v36, vcc
	v_cndmask_b32_e64 v98, v98, v38, s[4:5]
	v_cndmask_b32_e64 v98, v98, v40, s[6:7]
	;; [unrolled: 1-line block ×10, first 2 shown]
	ds_read_b64 v[101:102], v100
	v_cndmask_b32_e64 v98, v98, v58, s[24:25]
	v_cndmask_b32_e64 v98, v98, v60, s[26:27]
	;; [unrolled: 1-line block ×4, first 2 shown]
	s_waitcnt lgkmcnt(0)
	v_mul_f64 v[98:99], v[98:99], v[101:102]
	s_cbranch_execz .LBB15_53
	s_branch .LBB15_54
.LBB15_52:
                                        ; implicit-def: $vgpr98_vgpr99
.LBB15_53:
	ds_read_b64 v[98:99], v100
.LBB15_54:
	s_and_saveexec_b64 s[4:5], s[2:3]
	s_cbranch_execz .LBB15_64
; %bb.55:
	v_add_u32_e32 v101, -12, v0
	v_add_u32_e32 v102, -11, v0
	v_cmp_lt_u32_e32 vcc, 6, v101
	v_mov_b32_e32 v101, 11
	s_and_saveexec_b64 s[2:3], vcc
	s_cbranch_execz .LBB15_59
; %bb.56:
	v_and_b32_e32 v101, -8, v102
	v_sub_u32_e32 v103, 0, v101
	s_mov_b64 s[6:7], 18
	s_movk_i32 s10, 0xd8
	s_mov_b64 s[8:9], 0
.LBB15_57:                              ; =>This Inner Loop Header: Depth=1
	s_lshl_b32 s11, s6, 1
	s_add_i32 s12, s11, -13
	v_mov_b32_e32 v101, s10
	s_add_i32 s13, s11, -14
	s_set_gpr_idx_on s12, gpr_idx(SRC0)
	v_mov_b32_e32 v109, v34
	s_set_gpr_idx_off
	s_set_gpr_idx_on s13, gpr_idx(SRC0)
	v_mov_b32_e32 v108, v34
	s_set_gpr_idx_off
	ds_read2_b64 v[104:107], v101 offset1:1
	s_add_i32 s12, s11, -11
	s_add_i32 s13, s11, -12
	;; [unrolled: 1-line block ×4, first 2 shown]
	s_waitcnt lgkmcnt(0)
	v_fma_f64 v[98:99], v[108:109], v[104:105], v[98:99]
	s_set_gpr_idx_on s12, gpr_idx(SRC0)
	v_mov_b32_e32 v105, v34
	s_set_gpr_idx_off
	s_set_gpr_idx_on s13, gpr_idx(SRC0)
	v_mov_b32_e32 v104, v34
	s_set_gpr_idx_off
	s_add_i32 s12, s11, -7
	s_add_i32 s13, s11, -8
	v_fma_f64 v[98:99], v[104:105], v[106:107], v[98:99]
	s_set_gpr_idx_on s14, gpr_idx(SRC0)
	v_mov_b32_e32 v109, v34
	s_set_gpr_idx_off
	s_set_gpr_idx_on s15, gpr_idx(SRC0)
	v_mov_b32_e32 v108, v34
	s_set_gpr_idx_off
	ds_read2_b64 v[104:107], v101 offset0:2 offset1:3
	s_add_i32 s14, s11, -5
	s_add_i32 s15, s11, -6
	s_waitcnt lgkmcnt(0)
	v_fma_f64 v[98:99], v[108:109], v[104:105], v[98:99]
	s_set_gpr_idx_on s12, gpr_idx(SRC0)
	v_mov_b32_e32 v105, v34
	s_set_gpr_idx_off
	s_set_gpr_idx_on s13, gpr_idx(SRC0)
	v_mov_b32_e32 v104, v34
	s_set_gpr_idx_off
	s_add_i32 s12, s11, -3
	s_add_i32 s13, s11, -4
	v_fma_f64 v[98:99], v[104:105], v[106:107], v[98:99]
	s_set_gpr_idx_on s14, gpr_idx(SRC0)
	v_mov_b32_e32 v109, v34
	s_set_gpr_idx_off
	s_set_gpr_idx_on s15, gpr_idx(SRC0)
	v_mov_b32_e32 v108, v34
	s_set_gpr_idx_off
	ds_read2_b64 v[104:107], v101 offset0:4 offset1:5
	s_add_i32 s14, s11, -1
	s_add_i32 s15, s11, -2
	s_add_u32 s6, s6, 8
	s_addc_u32 s7, s7, 0
	s_waitcnt lgkmcnt(0)
	v_fma_f64 v[98:99], v[108:109], v[104:105], v[98:99]
	s_set_gpr_idx_on s12, gpr_idx(SRC0)
	v_mov_b32_e32 v105, v34
	s_set_gpr_idx_off
	s_set_gpr_idx_on s13, gpr_idx(SRC0)
	v_mov_b32_e32 v104, v34
	s_set_gpr_idx_off
	s_add_i32 s10, s10, 64
	v_fma_f64 v[98:99], v[104:105], v[106:107], v[98:99]
	s_set_gpr_idx_on s14, gpr_idx(SRC0)
	v_mov_b32_e32 v109, v34
	s_set_gpr_idx_off
	s_set_gpr_idx_on s15, gpr_idx(SRC0)
	v_mov_b32_e32 v108, v34
	s_set_gpr_idx_off
	ds_read2_b64 v[104:107], v101 offset0:6 offset1:7
	v_add_u32_e32 v101, s6, v103
	v_cmp_eq_u32_e32 vcc, 18, v101
	s_waitcnt lgkmcnt(0)
	v_fma_f64 v[98:99], v[108:109], v[104:105], v[98:99]
	s_set_gpr_idx_on s11, gpr_idx(SRC0)
	v_mov_b32_e32 v105, v35
	v_mov_b32_e32 v104, v34
	s_set_gpr_idx_off
	s_add_i32 s11, s6, -7
	s_or_b64 s[8:9], vcc, s[8:9]
	v_mov_b32_e32 v101, s11
	v_fma_f64 v[98:99], v[104:105], v[106:107], v[98:99]
	s_andn2_b64 exec, exec, s[8:9]
	s_cbranch_execnz .LBB15_57
; %bb.58:
	s_or_b64 exec, exec, s[8:9]
.LBB15_59:
	s_or_b64 exec, exec, s[2:3]
	v_and_b32_e32 v102, 7, v102
	v_cmp_ne_u32_e32 vcc, 0, v102
	s_and_saveexec_b64 s[6:7], vcc
	s_cbranch_execz .LBB15_63
; %bb.60:
	v_mov_b32_e32 v103, 0x80
	v_lshl_add_u32 v103, v101, 3, v103
	v_mov_b32_e32 v104, 0
	s_mov_b64 s[8:9], 0
.LBB15_61:                              ; =>This Inner Loop Header: Depth=1
	v_cmp_eq_u32_e32 vcc, 1, v101
	v_cndmask_b32_e32 v107, v35, v37, vcc
	v_cmp_eq_u32_e64 s[2:3], 2, v101
	v_cndmask_b32_e64 v107, v107, v39, s[2:3]
	v_cndmask_b32_e32 v108, v34, v36, vcc
	v_cmp_eq_u32_e32 vcc, 3, v101
	v_cndmask_b32_e32 v107, v107, v41, vcc
	v_cndmask_b32_e64 v108, v108, v38, s[2:3]
	v_cmp_eq_u32_e64 s[2:3], 4, v101
	v_cndmask_b32_e64 v107, v107, v43, s[2:3]
	v_cndmask_b32_e32 v108, v108, v40, vcc
	v_cmp_eq_u32_e32 vcc, 5, v101
	v_cndmask_b32_e32 v107, v107, v45, vcc
	v_cndmask_b32_e64 v108, v108, v42, s[2:3]
	;; [unrolled: 6-line block ×5, first 2 shown]
	v_cmp_eq_u32_e64 s[2:3], 12, v101
	ds_read_b64 v[105:106], v103
	v_cndmask_b32_e64 v107, v107, v59, s[2:3]
	v_cndmask_b32_e32 v108, v108, v56, vcc
	v_cmp_eq_u32_e32 vcc, 13, v101
	v_cndmask_b32_e32 v107, v107, v61, vcc
	v_cndmask_b32_e64 v108, v108, v58, s[2:3]
	v_cmp_eq_u32_e64 s[2:3], 14, v101
	v_cndmask_b32_e64 v107, v107, v63, s[2:3]
	v_cndmask_b32_e32 v109, v108, v60, vcc
	v_cmp_eq_u32_e32 vcc, 15, v101
	v_cndmask_b32_e32 v108, v107, v65, vcc
	v_cndmask_b32_e64 v107, v109, v62, s[2:3]
	v_cndmask_b32_e32 v107, v107, v64, vcc
	s_waitcnt lgkmcnt(0)
	v_fma_f64 v[98:99], v[107:108], v[105:106], v[98:99]
	v_add_u32_e32 v102, -1, v102
	v_cmp_eq_u32_e32 vcc, 0, v102
	s_or_b64 s[8:9], vcc, s[8:9]
	v_add_co_u32_e32 v101, vcc, 1, v101
	v_add_u32_e32 v103, 8, v103
	v_addc_co_u32_e32 v104, vcc, 0, v104, vcc
	s_andn2_b64 exec, exec, s[8:9]
	s_cbranch_execnz .LBB15_61
; %bb.62:
	s_or_b64 exec, exec, s[8:9]
.LBB15_63:
	s_or_b64 exec, exec, s[6:7]
.LBB15_64:
	s_or_b64 exec, exec, s[4:5]
	v_mov_b32_e32 v54, 0
	ds_read_b64 v[54:55], v54 offset:80
	s_waitcnt lgkmcnt(0)
	v_mul_f64 v[54:55], v[98:99], v[54:55]
.LBB15_65:
	s_or_b64 exec, exec, s[36:37]
	v_cmp_lt_u32_e64 s[2:3], 9, v0
	ds_write_b64 v100, v[52:53]
	s_waitcnt lgkmcnt(0)
	; wave barrier
	s_and_saveexec_b64 s[36:37], s[2:3]
	s_cbranch_execz .LBB15_81
; %bb.66:
	s_andn2_b64 vcc, exec, s[34:35]
	s_cbranch_vccnz .LBB15_68
; %bb.67:
	v_cmp_eq_u32_e32 vcc, 1, v0
	v_cndmask_b32_e32 v98, v35, v37, vcc
	v_cmp_eq_u32_e64 s[4:5], 2, v0
	v_cndmask_b32_e64 v98, v98, v39, s[4:5]
	v_cmp_eq_u32_e64 s[6:7], 3, v0
	v_cndmask_b32_e64 v98, v98, v41, s[6:7]
	;; [unrolled: 2-line block ×14, first 2 shown]
	v_cndmask_b32_e32 v98, v34, v36, vcc
	v_cndmask_b32_e64 v98, v98, v38, s[4:5]
	v_cndmask_b32_e64 v98, v98, v40, s[6:7]
	;; [unrolled: 1-line block ×10, first 2 shown]
	ds_read_b64 v[101:102], v100
	v_cndmask_b32_e64 v98, v98, v58, s[24:25]
	v_cndmask_b32_e64 v98, v98, v60, s[26:27]
	;; [unrolled: 1-line block ×4, first 2 shown]
	s_waitcnt lgkmcnt(0)
	v_mul_f64 v[98:99], v[98:99], v[101:102]
	s_cbranch_execz .LBB15_69
	s_branch .LBB15_70
.LBB15_68:
                                        ; implicit-def: $vgpr98_vgpr99
.LBB15_69:
	ds_read_b64 v[98:99], v100
.LBB15_70:
	s_and_saveexec_b64 s[4:5], s[0:1]
	s_cbranch_execz .LBB15_80
; %bb.71:
	v_add_u32_e32 v101, -11, v0
	v_add_u32_e32 v102, -10, v0
	v_cmp_lt_u32_e32 vcc, 6, v101
	v_mov_b32_e32 v101, 10
	s_and_saveexec_b64 s[0:1], vcc
	s_cbranch_execz .LBB15_75
; %bb.72:
	v_and_b32_e32 v101, -8, v102
	v_sub_u32_e32 v103, 0, v101
	s_mov_b64 s[6:7], 17
	s_movk_i32 s10, 0xd0
	s_mov_b64 s[8:9], 0
.LBB15_73:                              ; =>This Inner Loop Header: Depth=1
	s_lshl_b32 s11, s6, 1
	s_add_i32 s12, s11, -13
	v_mov_b32_e32 v101, s10
	s_add_i32 s13, s11, -14
	s_set_gpr_idx_on s12, gpr_idx(SRC0)
	v_mov_b32_e32 v113, v34
	s_set_gpr_idx_off
	s_set_gpr_idx_on s13, gpr_idx(SRC0)
	v_mov_b32_e32 v112, v34
	s_set_gpr_idx_off
	ds_read_b128 v[104:107], v101
	ds_read_b128 v[108:111], v101 offset:16
	s_add_i32 s12, s11, -11
	s_add_i32 s13, s11, -12
	s_waitcnt lgkmcnt(1)
	v_fma_f64 v[98:99], v[112:113], v[104:105], v[98:99]
	ds_read_b128 v[112:115], v101 offset:32
	ds_read_b128 v[116:119], v101 offset:48
	s_set_gpr_idx_on s12, gpr_idx(SRC0)
	v_mov_b32_e32 v105, v34
	s_set_gpr_idx_off
	s_set_gpr_idx_on s13, gpr_idx(SRC0)
	v_mov_b32_e32 v104, v34
	s_set_gpr_idx_off
	s_add_i32 s12, s11, -9
	s_add_i32 s13, s11, -10
	v_fma_f64 v[98:99], v[104:105], v[106:107], v[98:99]
	s_set_gpr_idx_on s12, gpr_idx(SRC0)
	v_mov_b32_e32 v105, v34
	s_set_gpr_idx_off
	s_set_gpr_idx_on s13, gpr_idx(SRC0)
	v_mov_b32_e32 v104, v34
	s_set_gpr_idx_off
	s_add_i32 s12, s11, -7
	s_add_i32 s13, s11, -8
	s_waitcnt lgkmcnt(2)
	v_fma_f64 v[98:99], v[104:105], v[108:109], v[98:99]
	s_set_gpr_idx_on s12, gpr_idx(SRC0)
	v_mov_b32_e32 v105, v34
	s_set_gpr_idx_off
	s_set_gpr_idx_on s13, gpr_idx(SRC0)
	v_mov_b32_e32 v104, v34
	s_set_gpr_idx_off
	s_add_i32 s12, s11, -5
	s_add_i32 s13, s11, -6
	v_fma_f64 v[98:99], v[104:105], v[110:111], v[98:99]
	s_set_gpr_idx_on s12, gpr_idx(SRC0)
	v_mov_b32_e32 v105, v34
	s_set_gpr_idx_off
	s_set_gpr_idx_on s13, gpr_idx(SRC0)
	v_mov_b32_e32 v104, v34
	s_set_gpr_idx_off
	s_add_i32 s12, s11, -3
	s_add_i32 s13, s11, -4
	s_waitcnt lgkmcnt(1)
	v_fma_f64 v[98:99], v[104:105], v[112:113], v[98:99]
	s_set_gpr_idx_on s12, gpr_idx(SRC0)
	v_mov_b32_e32 v105, v34
	s_set_gpr_idx_off
	s_set_gpr_idx_on s13, gpr_idx(SRC0)
	v_mov_b32_e32 v104, v34
	s_set_gpr_idx_off
	s_add_i32 s12, s11, -1
	s_add_i32 s13, s11, -2
	s_add_u32 s6, s6, 8
	v_add_u32_e32 v101, s6, v103
	s_addc_u32 s7, s7, 0
	v_fma_f64 v[98:99], v[104:105], v[114:115], v[98:99]
	s_set_gpr_idx_on s12, gpr_idx(SRC0)
	v_mov_b32_e32 v105, v34
	s_set_gpr_idx_off
	s_set_gpr_idx_on s13, gpr_idx(SRC0)
	v_mov_b32_e32 v104, v34
	s_set_gpr_idx_off
	s_add_i32 s10, s10, 64
	v_cmp_eq_u32_e32 vcc, 17, v101
	s_waitcnt lgkmcnt(0)
	v_fma_f64 v[98:99], v[104:105], v[116:117], v[98:99]
	s_set_gpr_idx_on s11, gpr_idx(SRC0)
	v_mov_b32_e32 v105, v35
	v_mov_b32_e32 v104, v34
	s_set_gpr_idx_off
	s_add_i32 s11, s6, -7
	s_or_b64 s[8:9], vcc, s[8:9]
	v_mov_b32_e32 v101, s11
	v_fma_f64 v[98:99], v[104:105], v[118:119], v[98:99]
	s_andn2_b64 exec, exec, s[8:9]
	s_cbranch_execnz .LBB15_73
; %bb.74:
	s_or_b64 exec, exec, s[8:9]
.LBB15_75:
	s_or_b64 exec, exec, s[0:1]
	v_and_b32_e32 v102, 7, v102
	v_cmp_ne_u32_e32 vcc, 0, v102
	s_and_saveexec_b64 s[6:7], vcc
	s_cbranch_execz .LBB15_79
; %bb.76:
	v_mov_b32_e32 v103, 0x80
	v_lshl_add_u32 v103, v101, 3, v103
	v_mov_b32_e32 v104, 0
	s_mov_b64 s[8:9], 0
.LBB15_77:                              ; =>This Inner Loop Header: Depth=1
	v_cmp_eq_u32_e32 vcc, 1, v101
	v_cndmask_b32_e32 v107, v35, v37, vcc
	v_cmp_eq_u32_e64 s[0:1], 2, v101
	v_cndmask_b32_e64 v107, v107, v39, s[0:1]
	v_cndmask_b32_e32 v108, v34, v36, vcc
	v_cmp_eq_u32_e32 vcc, 3, v101
	v_cndmask_b32_e32 v107, v107, v41, vcc
	v_cndmask_b32_e64 v108, v108, v38, s[0:1]
	v_cmp_eq_u32_e64 s[0:1], 4, v101
	v_cndmask_b32_e64 v107, v107, v43, s[0:1]
	v_cndmask_b32_e32 v108, v108, v40, vcc
	v_cmp_eq_u32_e32 vcc, 5, v101
	v_cndmask_b32_e32 v107, v107, v45, vcc
	v_cndmask_b32_e64 v108, v108, v42, s[0:1]
	;; [unrolled: 6-line block ×5, first 2 shown]
	v_cmp_eq_u32_e64 s[0:1], 12, v101
	ds_read_b64 v[105:106], v103
	v_cndmask_b32_e64 v107, v107, v59, s[0:1]
	v_cndmask_b32_e32 v108, v108, v56, vcc
	v_cmp_eq_u32_e32 vcc, 13, v101
	v_cndmask_b32_e32 v107, v107, v61, vcc
	v_cndmask_b32_e64 v108, v108, v58, s[0:1]
	v_cmp_eq_u32_e64 s[0:1], 14, v101
	v_cndmask_b32_e64 v107, v107, v63, s[0:1]
	v_cndmask_b32_e32 v109, v108, v60, vcc
	v_cmp_eq_u32_e32 vcc, 15, v101
	v_cndmask_b32_e32 v108, v107, v65, vcc
	v_cndmask_b32_e64 v107, v109, v62, s[0:1]
	v_cndmask_b32_e32 v107, v107, v64, vcc
	s_waitcnt lgkmcnt(0)
	v_fma_f64 v[98:99], v[107:108], v[105:106], v[98:99]
	v_add_u32_e32 v102, -1, v102
	v_cmp_eq_u32_e32 vcc, 0, v102
	s_or_b64 s[8:9], vcc, s[8:9]
	v_add_co_u32_e32 v101, vcc, 1, v101
	v_add_u32_e32 v103, 8, v103
	v_addc_co_u32_e32 v104, vcc, 0, v104, vcc
	s_andn2_b64 exec, exec, s[8:9]
	s_cbranch_execnz .LBB15_77
; %bb.78:
	s_or_b64 exec, exec, s[8:9]
.LBB15_79:
	s_or_b64 exec, exec, s[6:7]
.LBB15_80:
	s_or_b64 exec, exec, s[4:5]
	v_mov_b32_e32 v52, 0
	ds_read_b64 v[52:53], v52 offset:72
	s_waitcnt lgkmcnt(0)
	v_mul_f64 v[52:53], v[98:99], v[52:53]
.LBB15_81:
	s_or_b64 exec, exec, s[36:37]
	v_cmp_lt_u32_e64 s[0:1], 8, v0
	ds_write_b64 v100, v[50:51]
	s_waitcnt lgkmcnt(0)
	; wave barrier
	s_and_saveexec_b64 s[36:37], s[0:1]
	s_cbranch_execz .LBB15_97
; %bb.82:
	s_andn2_b64 vcc, exec, s[34:35]
	s_cbranch_vccnz .LBB15_84
; %bb.83:
	v_cmp_eq_u32_e32 vcc, 1, v0
	v_cndmask_b32_e32 v98, v35, v37, vcc
	v_cmp_eq_u32_e64 s[4:5], 2, v0
	v_cndmask_b32_e64 v98, v98, v39, s[4:5]
	v_cmp_eq_u32_e64 s[6:7], 3, v0
	v_cndmask_b32_e64 v98, v98, v41, s[6:7]
	;; [unrolled: 2-line block ×14, first 2 shown]
	v_cndmask_b32_e32 v98, v34, v36, vcc
	v_cndmask_b32_e64 v98, v98, v38, s[4:5]
	v_cndmask_b32_e64 v98, v98, v40, s[6:7]
	;; [unrolled: 1-line block ×10, first 2 shown]
	ds_read_b64 v[101:102], v100
	v_cndmask_b32_e64 v98, v98, v58, s[24:25]
	v_cndmask_b32_e64 v98, v98, v60, s[26:27]
	;; [unrolled: 1-line block ×4, first 2 shown]
	s_waitcnt lgkmcnt(0)
	v_mul_f64 v[98:99], v[98:99], v[101:102]
	s_cbranch_execz .LBB15_85
	s_branch .LBB15_86
.LBB15_84:
                                        ; implicit-def: $vgpr98_vgpr99
.LBB15_85:
	ds_read_b64 v[98:99], v100
.LBB15_86:
	s_and_saveexec_b64 s[4:5], s[2:3]
	s_cbranch_execz .LBB15_96
; %bb.87:
	v_add_u32_e32 v101, -10, v0
	v_add_u32_e32 v102, -9, v0
	v_cmp_lt_u32_e32 vcc, 6, v101
	v_mov_b32_e32 v101, 9
	s_and_saveexec_b64 s[2:3], vcc
	s_cbranch_execz .LBB15_91
; %bb.88:
	v_and_b32_e32 v101, -8, v102
	v_sub_u32_e32 v103, 0, v101
	s_mov_b64 s[6:7], 16
	s_movk_i32 s10, 0xc8
	s_mov_b64 s[8:9], 0
.LBB15_89:                              ; =>This Inner Loop Header: Depth=1
	s_lshl_b32 s11, s6, 1
	s_add_i32 s12, s11, -13
	v_mov_b32_e32 v101, s10
	s_add_i32 s13, s11, -14
	s_set_gpr_idx_on s12, gpr_idx(SRC0)
	v_mov_b32_e32 v109, v34
	s_set_gpr_idx_off
	s_set_gpr_idx_on s13, gpr_idx(SRC0)
	v_mov_b32_e32 v108, v34
	s_set_gpr_idx_off
	ds_read2_b64 v[104:107], v101 offset1:1
	s_add_i32 s12, s11, -11
	s_add_i32 s13, s11, -12
	;; [unrolled: 1-line block ×4, first 2 shown]
	s_waitcnt lgkmcnt(0)
	v_fma_f64 v[98:99], v[108:109], v[104:105], v[98:99]
	s_set_gpr_idx_on s12, gpr_idx(SRC0)
	v_mov_b32_e32 v105, v34
	s_set_gpr_idx_off
	s_set_gpr_idx_on s13, gpr_idx(SRC0)
	v_mov_b32_e32 v104, v34
	s_set_gpr_idx_off
	s_add_i32 s12, s11, -7
	s_add_i32 s13, s11, -8
	v_fma_f64 v[98:99], v[104:105], v[106:107], v[98:99]
	s_set_gpr_idx_on s14, gpr_idx(SRC0)
	v_mov_b32_e32 v109, v34
	s_set_gpr_idx_off
	s_set_gpr_idx_on s15, gpr_idx(SRC0)
	v_mov_b32_e32 v108, v34
	s_set_gpr_idx_off
	ds_read2_b64 v[104:107], v101 offset0:2 offset1:3
	s_add_i32 s14, s11, -5
	s_add_i32 s15, s11, -6
	s_waitcnt lgkmcnt(0)
	v_fma_f64 v[98:99], v[108:109], v[104:105], v[98:99]
	s_set_gpr_idx_on s12, gpr_idx(SRC0)
	v_mov_b32_e32 v105, v34
	s_set_gpr_idx_off
	s_set_gpr_idx_on s13, gpr_idx(SRC0)
	v_mov_b32_e32 v104, v34
	s_set_gpr_idx_off
	s_add_i32 s12, s11, -3
	s_add_i32 s13, s11, -4
	v_fma_f64 v[98:99], v[104:105], v[106:107], v[98:99]
	s_set_gpr_idx_on s14, gpr_idx(SRC0)
	v_mov_b32_e32 v109, v34
	s_set_gpr_idx_off
	s_set_gpr_idx_on s15, gpr_idx(SRC0)
	v_mov_b32_e32 v108, v34
	s_set_gpr_idx_off
	ds_read2_b64 v[104:107], v101 offset0:4 offset1:5
	s_add_i32 s14, s11, -1
	s_add_i32 s15, s11, -2
	s_add_u32 s6, s6, 8
	s_addc_u32 s7, s7, 0
	s_waitcnt lgkmcnt(0)
	v_fma_f64 v[98:99], v[108:109], v[104:105], v[98:99]
	s_set_gpr_idx_on s12, gpr_idx(SRC0)
	v_mov_b32_e32 v105, v34
	s_set_gpr_idx_off
	s_set_gpr_idx_on s13, gpr_idx(SRC0)
	v_mov_b32_e32 v104, v34
	s_set_gpr_idx_off
	s_add_i32 s10, s10, 64
	v_fma_f64 v[98:99], v[104:105], v[106:107], v[98:99]
	s_set_gpr_idx_on s14, gpr_idx(SRC0)
	v_mov_b32_e32 v109, v34
	s_set_gpr_idx_off
	s_set_gpr_idx_on s15, gpr_idx(SRC0)
	v_mov_b32_e32 v108, v34
	s_set_gpr_idx_off
	ds_read2_b64 v[104:107], v101 offset0:6 offset1:7
	v_add_u32_e32 v101, s6, v103
	v_cmp_eq_u32_e32 vcc, 16, v101
	s_waitcnt lgkmcnt(0)
	v_fma_f64 v[98:99], v[108:109], v[104:105], v[98:99]
	s_set_gpr_idx_on s11, gpr_idx(SRC0)
	v_mov_b32_e32 v105, v35
	v_mov_b32_e32 v104, v34
	s_set_gpr_idx_off
	s_add_i32 s11, s6, -7
	s_or_b64 s[8:9], vcc, s[8:9]
	v_mov_b32_e32 v101, s11
	v_fma_f64 v[98:99], v[104:105], v[106:107], v[98:99]
	s_andn2_b64 exec, exec, s[8:9]
	s_cbranch_execnz .LBB15_89
; %bb.90:
	s_or_b64 exec, exec, s[8:9]
.LBB15_91:
	s_or_b64 exec, exec, s[2:3]
	v_and_b32_e32 v102, 7, v102
	v_cmp_ne_u32_e32 vcc, 0, v102
	s_and_saveexec_b64 s[6:7], vcc
	s_cbranch_execz .LBB15_95
; %bb.92:
	v_mov_b32_e32 v103, 0x80
	v_lshl_add_u32 v103, v101, 3, v103
	v_mov_b32_e32 v104, 0
	s_mov_b64 s[8:9], 0
.LBB15_93:                              ; =>This Inner Loop Header: Depth=1
	v_cmp_eq_u32_e32 vcc, 1, v101
	v_cndmask_b32_e32 v107, v35, v37, vcc
	v_cmp_eq_u32_e64 s[2:3], 2, v101
	v_cndmask_b32_e64 v107, v107, v39, s[2:3]
	v_cndmask_b32_e32 v108, v34, v36, vcc
	v_cmp_eq_u32_e32 vcc, 3, v101
	v_cndmask_b32_e32 v107, v107, v41, vcc
	v_cndmask_b32_e64 v108, v108, v38, s[2:3]
	v_cmp_eq_u32_e64 s[2:3], 4, v101
	v_cndmask_b32_e64 v107, v107, v43, s[2:3]
	v_cndmask_b32_e32 v108, v108, v40, vcc
	v_cmp_eq_u32_e32 vcc, 5, v101
	v_cndmask_b32_e32 v107, v107, v45, vcc
	v_cndmask_b32_e64 v108, v108, v42, s[2:3]
	v_cmp_eq_u32_e64 s[2:3], 6, v101
	v_cndmask_b32_e64 v107, v107, v47, s[2:3]
	v_cndmask_b32_e32 v108, v108, v44, vcc
	v_cmp_eq_u32_e32 vcc, 7, v101
	v_cndmask_b32_e32 v107, v107, v49, vcc
	v_cndmask_b32_e64 v108, v108, v46, s[2:3]
	v_cmp_eq_u32_e64 s[2:3], 8, v101
	v_cndmask_b32_e64 v107, v107, v51, s[2:3]
	v_cndmask_b32_e32 v108, v108, v48, vcc
	v_cmp_eq_u32_e32 vcc, 9, v101
	v_cndmask_b32_e32 v107, v107, v53, vcc
	v_cndmask_b32_e64 v108, v108, v50, s[2:3]
	v_cmp_eq_u32_e64 s[2:3], 10, v101
	v_cndmask_b32_e64 v107, v107, v55, s[2:3]
	v_cndmask_b32_e32 v108, v108, v52, vcc
	v_cmp_eq_u32_e32 vcc, 11, v101
	v_cndmask_b32_e32 v107, v107, v57, vcc
	v_cndmask_b32_e64 v108, v108, v54, s[2:3]
	v_cmp_eq_u32_e64 s[2:3], 12, v101
	ds_read_b64 v[105:106], v103
	v_cndmask_b32_e64 v107, v107, v59, s[2:3]
	v_cndmask_b32_e32 v108, v108, v56, vcc
	v_cmp_eq_u32_e32 vcc, 13, v101
	v_cndmask_b32_e32 v107, v107, v61, vcc
	v_cndmask_b32_e64 v108, v108, v58, s[2:3]
	v_cmp_eq_u32_e64 s[2:3], 14, v101
	v_cndmask_b32_e64 v107, v107, v63, s[2:3]
	v_cndmask_b32_e32 v109, v108, v60, vcc
	v_cmp_eq_u32_e32 vcc, 15, v101
	v_cndmask_b32_e32 v108, v107, v65, vcc
	v_cndmask_b32_e64 v107, v109, v62, s[2:3]
	v_cndmask_b32_e32 v107, v107, v64, vcc
	s_waitcnt lgkmcnt(0)
	v_fma_f64 v[98:99], v[107:108], v[105:106], v[98:99]
	v_add_u32_e32 v102, -1, v102
	v_cmp_eq_u32_e32 vcc, 0, v102
	s_or_b64 s[8:9], vcc, s[8:9]
	v_add_co_u32_e32 v101, vcc, 1, v101
	v_add_u32_e32 v103, 8, v103
	v_addc_co_u32_e32 v104, vcc, 0, v104, vcc
	s_andn2_b64 exec, exec, s[8:9]
	s_cbranch_execnz .LBB15_93
; %bb.94:
	s_or_b64 exec, exec, s[8:9]
.LBB15_95:
	s_or_b64 exec, exec, s[6:7]
.LBB15_96:
	s_or_b64 exec, exec, s[4:5]
	v_mov_b32_e32 v50, 0
	ds_read_b64 v[50:51], v50 offset:64
	s_waitcnt lgkmcnt(0)
	v_mul_f64 v[50:51], v[98:99], v[50:51]
.LBB15_97:
	s_or_b64 exec, exec, s[36:37]
	v_cmp_lt_u32_e64 s[2:3], 7, v0
	ds_write_b64 v100, v[48:49]
	s_waitcnt lgkmcnt(0)
	; wave barrier
	s_and_saveexec_b64 s[36:37], s[2:3]
	s_cbranch_execz .LBB15_113
; %bb.98:
	s_andn2_b64 vcc, exec, s[34:35]
	s_cbranch_vccnz .LBB15_100
; %bb.99:
	v_cmp_eq_u32_e32 vcc, 1, v0
	v_cndmask_b32_e32 v98, v35, v37, vcc
	v_cmp_eq_u32_e64 s[4:5], 2, v0
	v_cndmask_b32_e64 v98, v98, v39, s[4:5]
	v_cmp_eq_u32_e64 s[6:7], 3, v0
	v_cndmask_b32_e64 v98, v98, v41, s[6:7]
	;; [unrolled: 2-line block ×14, first 2 shown]
	v_cndmask_b32_e32 v98, v34, v36, vcc
	v_cndmask_b32_e64 v98, v98, v38, s[4:5]
	v_cndmask_b32_e64 v98, v98, v40, s[6:7]
	;; [unrolled: 1-line block ×10, first 2 shown]
	ds_read_b64 v[101:102], v100
	v_cndmask_b32_e64 v98, v98, v58, s[24:25]
	v_cndmask_b32_e64 v98, v98, v60, s[26:27]
	;; [unrolled: 1-line block ×4, first 2 shown]
	s_waitcnt lgkmcnt(0)
	v_mul_f64 v[98:99], v[98:99], v[101:102]
	s_cbranch_execz .LBB15_101
	s_branch .LBB15_102
.LBB15_100:
                                        ; implicit-def: $vgpr98_vgpr99
.LBB15_101:
	ds_read_b64 v[98:99], v100
.LBB15_102:
	s_and_saveexec_b64 s[4:5], s[0:1]
	s_cbranch_execz .LBB15_112
; %bb.103:
	v_add_u32_e32 v101, -9, v0
	v_cmp_lt_u32_e32 vcc, 6, v101
	v_mov_b32_e32 v101, 8
	s_and_saveexec_b64 s[0:1], vcc
	s_cbranch_execz .LBB15_107
; %bb.104:
	v_and_b32_e32 v101, 8, v0
	v_sub_u32_e32 v102, 0, v101
	s_mov_b64 s[6:7], 15
	s_movk_i32 s10, 0xc0
	s_mov_b64 s[8:9], 0
.LBB15_105:                             ; =>This Inner Loop Header: Depth=1
	s_lshl_b32 s11, s6, 1
	s_add_i32 s12, s11, -13
	v_mov_b32_e32 v101, s10
	s_add_i32 s13, s11, -14
	s_set_gpr_idx_on s12, gpr_idx(SRC0)
	v_mov_b32_e32 v112, v34
	s_set_gpr_idx_off
	s_set_gpr_idx_on s13, gpr_idx(SRC0)
	v_mov_b32_e32 v111, v34
	s_set_gpr_idx_off
	ds_read_b128 v[103:106], v101
	ds_read_b128 v[107:110], v101 offset:16
	s_add_i32 s12, s11, -11
	s_add_i32 s13, s11, -12
	s_waitcnt lgkmcnt(1)
	v_fma_f64 v[98:99], v[111:112], v[103:104], v[98:99]
	ds_read_b128 v[111:114], v101 offset:32
	ds_read_b128 v[115:118], v101 offset:48
	s_set_gpr_idx_on s12, gpr_idx(SRC0)
	v_mov_b32_e32 v104, v34
	s_set_gpr_idx_off
	s_set_gpr_idx_on s13, gpr_idx(SRC0)
	v_mov_b32_e32 v103, v34
	s_set_gpr_idx_off
	s_add_i32 s12, s11, -9
	s_add_i32 s13, s11, -10
	v_fma_f64 v[98:99], v[103:104], v[105:106], v[98:99]
	s_set_gpr_idx_on s12, gpr_idx(SRC0)
	v_mov_b32_e32 v104, v34
	s_set_gpr_idx_off
	s_set_gpr_idx_on s13, gpr_idx(SRC0)
	v_mov_b32_e32 v103, v34
	s_set_gpr_idx_off
	s_add_i32 s12, s11, -7
	s_add_i32 s13, s11, -8
	s_waitcnt lgkmcnt(2)
	v_fma_f64 v[98:99], v[103:104], v[107:108], v[98:99]
	s_set_gpr_idx_on s12, gpr_idx(SRC0)
	v_mov_b32_e32 v104, v34
	s_set_gpr_idx_off
	s_set_gpr_idx_on s13, gpr_idx(SRC0)
	v_mov_b32_e32 v103, v34
	s_set_gpr_idx_off
	s_add_i32 s12, s11, -5
	s_add_i32 s13, s11, -6
	v_fma_f64 v[98:99], v[103:104], v[109:110], v[98:99]
	s_set_gpr_idx_on s12, gpr_idx(SRC0)
	v_mov_b32_e32 v104, v34
	s_set_gpr_idx_off
	s_set_gpr_idx_on s13, gpr_idx(SRC0)
	v_mov_b32_e32 v103, v34
	s_set_gpr_idx_off
	s_add_i32 s12, s11, -3
	s_add_i32 s13, s11, -4
	s_waitcnt lgkmcnt(1)
	v_fma_f64 v[98:99], v[103:104], v[111:112], v[98:99]
	s_set_gpr_idx_on s12, gpr_idx(SRC0)
	v_mov_b32_e32 v104, v34
	s_set_gpr_idx_off
	s_set_gpr_idx_on s13, gpr_idx(SRC0)
	v_mov_b32_e32 v103, v34
	s_set_gpr_idx_off
	s_add_i32 s12, s11, -1
	s_add_i32 s13, s11, -2
	s_add_u32 s6, s6, 8
	v_add_u32_e32 v101, s6, v102
	s_addc_u32 s7, s7, 0
	v_fma_f64 v[98:99], v[103:104], v[113:114], v[98:99]
	s_set_gpr_idx_on s12, gpr_idx(SRC0)
	v_mov_b32_e32 v104, v34
	s_set_gpr_idx_off
	s_set_gpr_idx_on s13, gpr_idx(SRC0)
	v_mov_b32_e32 v103, v34
	s_set_gpr_idx_off
	s_add_i32 s10, s10, 64
	v_cmp_eq_u32_e32 vcc, 7, v101
	s_waitcnt lgkmcnt(0)
	v_fma_f64 v[98:99], v[103:104], v[115:116], v[98:99]
	s_set_gpr_idx_on s11, gpr_idx(SRC0)
	v_mov_b32_e32 v104, v35
	v_mov_b32_e32 v103, v34
	s_set_gpr_idx_off
	s_add_i32 s11, s6, -7
	s_or_b64 s[8:9], vcc, s[8:9]
	v_mov_b32_e32 v101, s11
	v_fma_f64 v[98:99], v[103:104], v[117:118], v[98:99]
	s_andn2_b64 exec, exec, s[8:9]
	s_cbranch_execnz .LBB15_105
; %bb.106:
	s_or_b64 exec, exec, s[8:9]
.LBB15_107:
	s_or_b64 exec, exec, s[0:1]
	v_and_b32_e32 v102, 7, v0
	v_cmp_ne_u32_e32 vcc, 0, v102
	s_and_saveexec_b64 s[6:7], vcc
	s_cbranch_execz .LBB15_111
; %bb.108:
	v_mov_b32_e32 v103, 0x80
	v_lshl_add_u32 v103, v101, 3, v103
	v_mov_b32_e32 v104, 0
	s_mov_b64 s[8:9], 0
.LBB15_109:                             ; =>This Inner Loop Header: Depth=1
	v_cmp_eq_u32_e32 vcc, 1, v101
	v_cndmask_b32_e32 v107, v35, v37, vcc
	v_cmp_eq_u32_e64 s[0:1], 2, v101
	v_cndmask_b32_e64 v107, v107, v39, s[0:1]
	v_cndmask_b32_e32 v108, v34, v36, vcc
	v_cmp_eq_u32_e32 vcc, 3, v101
	v_cndmask_b32_e32 v107, v107, v41, vcc
	v_cndmask_b32_e64 v108, v108, v38, s[0:1]
	v_cmp_eq_u32_e64 s[0:1], 4, v101
	v_cndmask_b32_e64 v107, v107, v43, s[0:1]
	v_cndmask_b32_e32 v108, v108, v40, vcc
	v_cmp_eq_u32_e32 vcc, 5, v101
	v_cndmask_b32_e32 v107, v107, v45, vcc
	v_cndmask_b32_e64 v108, v108, v42, s[0:1]
	;; [unrolled: 6-line block ×5, first 2 shown]
	v_cmp_eq_u32_e64 s[0:1], 12, v101
	ds_read_b64 v[105:106], v103
	v_cndmask_b32_e64 v107, v107, v59, s[0:1]
	v_cndmask_b32_e32 v108, v108, v56, vcc
	v_cmp_eq_u32_e32 vcc, 13, v101
	v_cndmask_b32_e32 v107, v107, v61, vcc
	v_cndmask_b32_e64 v108, v108, v58, s[0:1]
	v_cmp_eq_u32_e64 s[0:1], 14, v101
	v_cndmask_b32_e64 v107, v107, v63, s[0:1]
	v_cndmask_b32_e32 v109, v108, v60, vcc
	v_cmp_eq_u32_e32 vcc, 15, v101
	v_cndmask_b32_e32 v108, v107, v65, vcc
	v_cndmask_b32_e64 v107, v109, v62, s[0:1]
	v_cndmask_b32_e32 v107, v107, v64, vcc
	s_waitcnt lgkmcnt(0)
	v_fma_f64 v[98:99], v[107:108], v[105:106], v[98:99]
	v_add_u32_e32 v102, -1, v102
	v_cmp_eq_u32_e32 vcc, 0, v102
	s_or_b64 s[8:9], vcc, s[8:9]
	v_add_co_u32_e32 v101, vcc, 1, v101
	v_add_u32_e32 v103, 8, v103
	v_addc_co_u32_e32 v104, vcc, 0, v104, vcc
	s_andn2_b64 exec, exec, s[8:9]
	s_cbranch_execnz .LBB15_109
; %bb.110:
	s_or_b64 exec, exec, s[8:9]
.LBB15_111:
	s_or_b64 exec, exec, s[6:7]
.LBB15_112:
	s_or_b64 exec, exec, s[4:5]
	v_mov_b32_e32 v48, 0
	ds_read_b64 v[48:49], v48 offset:56
	s_waitcnt lgkmcnt(0)
	v_mul_f64 v[48:49], v[98:99], v[48:49]
.LBB15_113:
	s_or_b64 exec, exec, s[36:37]
	v_cmp_lt_u32_e64 s[0:1], 6, v0
	ds_write_b64 v100, v[46:47]
	s_waitcnt lgkmcnt(0)
	; wave barrier
	s_and_saveexec_b64 s[36:37], s[0:1]
	s_cbranch_execz .LBB15_129
; %bb.114:
	s_andn2_b64 vcc, exec, s[34:35]
	s_cbranch_vccnz .LBB15_116
; %bb.115:
	v_cmp_eq_u32_e32 vcc, 1, v0
	v_cndmask_b32_e32 v98, v35, v37, vcc
	v_cmp_eq_u32_e64 s[4:5], 2, v0
	v_cndmask_b32_e64 v98, v98, v39, s[4:5]
	v_cmp_eq_u32_e64 s[6:7], 3, v0
	v_cndmask_b32_e64 v98, v98, v41, s[6:7]
	;; [unrolled: 2-line block ×14, first 2 shown]
	v_cndmask_b32_e32 v98, v34, v36, vcc
	v_cndmask_b32_e64 v98, v98, v38, s[4:5]
	v_cndmask_b32_e64 v98, v98, v40, s[6:7]
	;; [unrolled: 1-line block ×10, first 2 shown]
	ds_read_b64 v[101:102], v100
	v_cndmask_b32_e64 v98, v98, v58, s[24:25]
	v_cndmask_b32_e64 v98, v98, v60, s[26:27]
	;; [unrolled: 1-line block ×4, first 2 shown]
	s_waitcnt lgkmcnt(0)
	v_mul_f64 v[98:99], v[98:99], v[101:102]
	s_cbranch_execz .LBB15_117
	s_branch .LBB15_118
.LBB15_116:
                                        ; implicit-def: $vgpr98_vgpr99
.LBB15_117:
	ds_read_b64 v[98:99], v100
.LBB15_118:
	s_and_saveexec_b64 s[4:5], s[2:3]
	s_cbranch_execz .LBB15_128
; %bb.119:
	v_add_u32_e32 v101, -8, v0
	v_add_u32_e32 v102, -7, v0
	v_cmp_lt_u32_e32 vcc, 6, v101
	v_mov_b32_e32 v101, 7
	s_and_saveexec_b64 s[2:3], vcc
	s_cbranch_execz .LBB15_123
; %bb.120:
	v_and_b32_e32 v101, -8, v102
	v_sub_u32_e32 v103, 0, v101
	s_mov_b64 s[6:7], 14
	s_movk_i32 s10, 0xb8
	s_mov_b64 s[8:9], 0
.LBB15_121:                             ; =>This Inner Loop Header: Depth=1
	s_lshl_b32 s11, s6, 1
	s_add_i32 s12, s11, -13
	v_mov_b32_e32 v101, s10
	s_add_i32 s13, s11, -14
	s_set_gpr_idx_on s12, gpr_idx(SRC0)
	v_mov_b32_e32 v109, v34
	s_set_gpr_idx_off
	s_set_gpr_idx_on s13, gpr_idx(SRC0)
	v_mov_b32_e32 v108, v34
	s_set_gpr_idx_off
	ds_read2_b64 v[104:107], v101 offset1:1
	s_add_i32 s12, s11, -11
	s_add_i32 s13, s11, -12
	;; [unrolled: 1-line block ×4, first 2 shown]
	s_waitcnt lgkmcnt(0)
	v_fma_f64 v[98:99], v[108:109], v[104:105], v[98:99]
	s_set_gpr_idx_on s12, gpr_idx(SRC0)
	v_mov_b32_e32 v105, v34
	s_set_gpr_idx_off
	s_set_gpr_idx_on s13, gpr_idx(SRC0)
	v_mov_b32_e32 v104, v34
	s_set_gpr_idx_off
	s_add_i32 s12, s11, -7
	s_add_i32 s13, s11, -8
	v_fma_f64 v[98:99], v[104:105], v[106:107], v[98:99]
	s_set_gpr_idx_on s14, gpr_idx(SRC0)
	v_mov_b32_e32 v109, v34
	s_set_gpr_idx_off
	s_set_gpr_idx_on s15, gpr_idx(SRC0)
	v_mov_b32_e32 v108, v34
	s_set_gpr_idx_off
	ds_read2_b64 v[104:107], v101 offset0:2 offset1:3
	s_add_i32 s14, s11, -5
	s_add_i32 s15, s11, -6
	s_waitcnt lgkmcnt(0)
	v_fma_f64 v[98:99], v[108:109], v[104:105], v[98:99]
	s_set_gpr_idx_on s12, gpr_idx(SRC0)
	v_mov_b32_e32 v105, v34
	s_set_gpr_idx_off
	s_set_gpr_idx_on s13, gpr_idx(SRC0)
	v_mov_b32_e32 v104, v34
	s_set_gpr_idx_off
	s_add_i32 s12, s11, -3
	s_add_i32 s13, s11, -4
	v_fma_f64 v[98:99], v[104:105], v[106:107], v[98:99]
	s_set_gpr_idx_on s14, gpr_idx(SRC0)
	v_mov_b32_e32 v109, v34
	s_set_gpr_idx_off
	s_set_gpr_idx_on s15, gpr_idx(SRC0)
	v_mov_b32_e32 v108, v34
	s_set_gpr_idx_off
	ds_read2_b64 v[104:107], v101 offset0:4 offset1:5
	s_add_i32 s14, s11, -1
	s_add_i32 s15, s11, -2
	s_add_u32 s6, s6, 8
	s_addc_u32 s7, s7, 0
	s_waitcnt lgkmcnt(0)
	v_fma_f64 v[98:99], v[108:109], v[104:105], v[98:99]
	s_set_gpr_idx_on s12, gpr_idx(SRC0)
	v_mov_b32_e32 v105, v34
	s_set_gpr_idx_off
	s_set_gpr_idx_on s13, gpr_idx(SRC0)
	v_mov_b32_e32 v104, v34
	s_set_gpr_idx_off
	s_add_i32 s10, s10, 64
	v_fma_f64 v[98:99], v[104:105], v[106:107], v[98:99]
	s_set_gpr_idx_on s14, gpr_idx(SRC0)
	v_mov_b32_e32 v109, v34
	s_set_gpr_idx_off
	s_set_gpr_idx_on s15, gpr_idx(SRC0)
	v_mov_b32_e32 v108, v34
	s_set_gpr_idx_off
	ds_read2_b64 v[104:107], v101 offset0:6 offset1:7
	v_add_u32_e32 v101, s6, v103
	v_cmp_eq_u32_e32 vcc, 14, v101
	s_waitcnt lgkmcnt(0)
	v_fma_f64 v[98:99], v[108:109], v[104:105], v[98:99]
	s_set_gpr_idx_on s11, gpr_idx(SRC0)
	v_mov_b32_e32 v105, v35
	v_mov_b32_e32 v104, v34
	s_set_gpr_idx_off
	s_add_i32 s11, s6, -7
	s_or_b64 s[8:9], vcc, s[8:9]
	v_mov_b32_e32 v101, s11
	v_fma_f64 v[98:99], v[104:105], v[106:107], v[98:99]
	s_andn2_b64 exec, exec, s[8:9]
	s_cbranch_execnz .LBB15_121
; %bb.122:
	s_or_b64 exec, exec, s[8:9]
.LBB15_123:
	s_or_b64 exec, exec, s[2:3]
	v_and_b32_e32 v102, 7, v102
	v_cmp_ne_u32_e32 vcc, 0, v102
	s_and_saveexec_b64 s[6:7], vcc
	s_cbranch_execz .LBB15_127
; %bb.124:
	v_mov_b32_e32 v103, 0x80
	v_lshl_add_u32 v103, v101, 3, v103
	v_mov_b32_e32 v104, 0
	s_mov_b64 s[8:9], 0
.LBB15_125:                             ; =>This Inner Loop Header: Depth=1
	v_cmp_eq_u32_e32 vcc, 1, v101
	v_cndmask_b32_e32 v107, v35, v37, vcc
	v_cmp_eq_u32_e64 s[2:3], 2, v101
	v_cndmask_b32_e64 v107, v107, v39, s[2:3]
	v_cndmask_b32_e32 v108, v34, v36, vcc
	v_cmp_eq_u32_e32 vcc, 3, v101
	v_cndmask_b32_e32 v107, v107, v41, vcc
	v_cndmask_b32_e64 v108, v108, v38, s[2:3]
	v_cmp_eq_u32_e64 s[2:3], 4, v101
	v_cndmask_b32_e64 v107, v107, v43, s[2:3]
	v_cndmask_b32_e32 v108, v108, v40, vcc
	v_cmp_eq_u32_e32 vcc, 5, v101
	v_cndmask_b32_e32 v107, v107, v45, vcc
	v_cndmask_b32_e64 v108, v108, v42, s[2:3]
	;; [unrolled: 6-line block ×5, first 2 shown]
	v_cmp_eq_u32_e64 s[2:3], 12, v101
	ds_read_b64 v[105:106], v103
	v_cndmask_b32_e64 v107, v107, v59, s[2:3]
	v_cndmask_b32_e32 v108, v108, v56, vcc
	v_cmp_eq_u32_e32 vcc, 13, v101
	v_cndmask_b32_e32 v107, v107, v61, vcc
	v_cndmask_b32_e64 v108, v108, v58, s[2:3]
	v_cmp_eq_u32_e64 s[2:3], 14, v101
	v_cndmask_b32_e64 v107, v107, v63, s[2:3]
	v_cndmask_b32_e32 v109, v108, v60, vcc
	v_cmp_eq_u32_e32 vcc, 15, v101
	v_cndmask_b32_e32 v108, v107, v65, vcc
	v_cndmask_b32_e64 v107, v109, v62, s[2:3]
	v_cndmask_b32_e32 v107, v107, v64, vcc
	s_waitcnt lgkmcnt(0)
	v_fma_f64 v[98:99], v[107:108], v[105:106], v[98:99]
	v_add_u32_e32 v102, -1, v102
	v_cmp_eq_u32_e32 vcc, 0, v102
	s_or_b64 s[8:9], vcc, s[8:9]
	v_add_co_u32_e32 v101, vcc, 1, v101
	v_add_u32_e32 v103, 8, v103
	v_addc_co_u32_e32 v104, vcc, 0, v104, vcc
	s_andn2_b64 exec, exec, s[8:9]
	s_cbranch_execnz .LBB15_125
; %bb.126:
	s_or_b64 exec, exec, s[8:9]
.LBB15_127:
	s_or_b64 exec, exec, s[6:7]
.LBB15_128:
	s_or_b64 exec, exec, s[4:5]
	v_mov_b32_e32 v46, 0
	ds_read_b64 v[46:47], v46 offset:48
	s_waitcnt lgkmcnt(0)
	v_mul_f64 v[46:47], v[98:99], v[46:47]
.LBB15_129:
	s_or_b64 exec, exec, s[36:37]
	v_cmp_lt_u32_e64 s[2:3], 5, v0
	ds_write_b64 v100, v[44:45]
	s_waitcnt lgkmcnt(0)
	; wave barrier
	s_and_saveexec_b64 s[36:37], s[2:3]
	s_cbranch_execz .LBB15_145
; %bb.130:
	s_andn2_b64 vcc, exec, s[34:35]
	s_cbranch_vccnz .LBB15_132
; %bb.131:
	v_cmp_eq_u32_e32 vcc, 1, v0
	v_cndmask_b32_e32 v98, v35, v37, vcc
	v_cmp_eq_u32_e64 s[4:5], 2, v0
	v_cndmask_b32_e64 v98, v98, v39, s[4:5]
	v_cmp_eq_u32_e64 s[6:7], 3, v0
	v_cndmask_b32_e64 v98, v98, v41, s[6:7]
	;; [unrolled: 2-line block ×14, first 2 shown]
	v_cndmask_b32_e32 v98, v34, v36, vcc
	v_cndmask_b32_e64 v98, v98, v38, s[4:5]
	v_cndmask_b32_e64 v98, v98, v40, s[6:7]
	;; [unrolled: 1-line block ×10, first 2 shown]
	ds_read_b64 v[101:102], v100
	v_cndmask_b32_e64 v98, v98, v58, s[24:25]
	v_cndmask_b32_e64 v98, v98, v60, s[26:27]
	;; [unrolled: 1-line block ×4, first 2 shown]
	s_waitcnt lgkmcnt(0)
	v_mul_f64 v[98:99], v[98:99], v[101:102]
	s_cbranch_execz .LBB15_133
	s_branch .LBB15_134
.LBB15_132:
                                        ; implicit-def: $vgpr98_vgpr99
.LBB15_133:
	ds_read_b64 v[98:99], v100
.LBB15_134:
	s_and_saveexec_b64 s[4:5], s[0:1]
	s_cbranch_execz .LBB15_144
; %bb.135:
	v_add_u32_e32 v103, -7, v0
	v_add_u32_e32 v102, -6, v0
	v_mov_b32_e32 v101, 6
	v_cmp_lt_u32_e32 vcc, 6, v103
	s_and_saveexec_b64 s[0:1], vcc
	s_cbranch_execz .LBB15_139
; %bb.136:
	v_and_b32_e32 v101, -8, v102
	v_sub_u32_e32 v103, 0, v101
	s_mov_b64 s[6:7], 13
	s_movk_i32 s10, 0xb0
	s_mov_b64 s[8:9], 0
.LBB15_137:                             ; =>This Inner Loop Header: Depth=1
	s_lshl_b32 s11, s6, 1
	s_add_i32 s12, s11, -13
	v_mov_b32_e32 v101, s10
	s_add_i32 s13, s11, -14
	s_set_gpr_idx_on s12, gpr_idx(SRC0)
	v_mov_b32_e32 v113, v34
	s_set_gpr_idx_off
	s_set_gpr_idx_on s13, gpr_idx(SRC0)
	v_mov_b32_e32 v112, v34
	s_set_gpr_idx_off
	ds_read_b128 v[104:107], v101
	ds_read_b128 v[108:111], v101 offset:16
	s_add_i32 s12, s11, -11
	s_add_i32 s13, s11, -12
	s_waitcnt lgkmcnt(1)
	v_fma_f64 v[98:99], v[112:113], v[104:105], v[98:99]
	ds_read_b128 v[112:115], v101 offset:32
	ds_read_b128 v[116:119], v101 offset:48
	s_set_gpr_idx_on s12, gpr_idx(SRC0)
	v_mov_b32_e32 v105, v34
	s_set_gpr_idx_off
	s_set_gpr_idx_on s13, gpr_idx(SRC0)
	v_mov_b32_e32 v104, v34
	s_set_gpr_idx_off
	s_add_i32 s12, s11, -9
	s_add_i32 s13, s11, -10
	v_fma_f64 v[98:99], v[104:105], v[106:107], v[98:99]
	s_set_gpr_idx_on s12, gpr_idx(SRC0)
	v_mov_b32_e32 v105, v34
	s_set_gpr_idx_off
	s_set_gpr_idx_on s13, gpr_idx(SRC0)
	v_mov_b32_e32 v104, v34
	s_set_gpr_idx_off
	s_add_i32 s12, s11, -7
	s_add_i32 s13, s11, -8
	s_waitcnt lgkmcnt(2)
	v_fma_f64 v[98:99], v[104:105], v[108:109], v[98:99]
	s_set_gpr_idx_on s12, gpr_idx(SRC0)
	v_mov_b32_e32 v105, v34
	s_set_gpr_idx_off
	s_set_gpr_idx_on s13, gpr_idx(SRC0)
	v_mov_b32_e32 v104, v34
	s_set_gpr_idx_off
	s_add_i32 s12, s11, -5
	s_add_i32 s13, s11, -6
	v_fma_f64 v[98:99], v[104:105], v[110:111], v[98:99]
	s_set_gpr_idx_on s12, gpr_idx(SRC0)
	v_mov_b32_e32 v105, v34
	s_set_gpr_idx_off
	s_set_gpr_idx_on s13, gpr_idx(SRC0)
	v_mov_b32_e32 v104, v34
	s_set_gpr_idx_off
	s_add_i32 s12, s11, -3
	s_add_i32 s13, s11, -4
	s_waitcnt lgkmcnt(1)
	v_fma_f64 v[98:99], v[104:105], v[112:113], v[98:99]
	s_set_gpr_idx_on s12, gpr_idx(SRC0)
	v_mov_b32_e32 v105, v34
	s_set_gpr_idx_off
	s_set_gpr_idx_on s13, gpr_idx(SRC0)
	v_mov_b32_e32 v104, v34
	s_set_gpr_idx_off
	s_add_i32 s12, s11, -1
	s_add_i32 s13, s11, -2
	s_add_u32 s6, s6, 8
	v_add_u32_e32 v101, s6, v103
	s_addc_u32 s7, s7, 0
	v_fma_f64 v[98:99], v[104:105], v[114:115], v[98:99]
	s_set_gpr_idx_on s12, gpr_idx(SRC0)
	v_mov_b32_e32 v105, v34
	s_set_gpr_idx_off
	s_set_gpr_idx_on s13, gpr_idx(SRC0)
	v_mov_b32_e32 v104, v34
	s_set_gpr_idx_off
	s_add_i32 s10, s10, 64
	v_cmp_eq_u32_e32 vcc, 13, v101
	s_waitcnt lgkmcnt(0)
	v_fma_f64 v[98:99], v[104:105], v[116:117], v[98:99]
	s_set_gpr_idx_on s11, gpr_idx(SRC0)
	v_mov_b32_e32 v105, v35
	v_mov_b32_e32 v104, v34
	s_set_gpr_idx_off
	s_add_i32 s11, s6, -7
	s_or_b64 s[8:9], vcc, s[8:9]
	v_mov_b32_e32 v101, s11
	v_fma_f64 v[98:99], v[104:105], v[118:119], v[98:99]
	s_andn2_b64 exec, exec, s[8:9]
	s_cbranch_execnz .LBB15_137
; %bb.138:
	s_or_b64 exec, exec, s[8:9]
.LBB15_139:
	s_or_b64 exec, exec, s[0:1]
	v_and_b32_e32 v102, 7, v102
	v_cmp_ne_u32_e32 vcc, 0, v102
	s_and_saveexec_b64 s[6:7], vcc
	s_cbranch_execz .LBB15_143
; %bb.140:
	v_mov_b32_e32 v103, 0x80
	v_lshl_add_u32 v103, v101, 3, v103
	v_mov_b32_e32 v104, 0
	s_mov_b64 s[8:9], 0
.LBB15_141:                             ; =>This Inner Loop Header: Depth=1
	v_cmp_eq_u32_e32 vcc, 1, v101
	v_cndmask_b32_e32 v107, v35, v37, vcc
	v_cmp_eq_u32_e64 s[0:1], 2, v101
	v_cndmask_b32_e64 v107, v107, v39, s[0:1]
	v_cndmask_b32_e32 v108, v34, v36, vcc
	v_cmp_eq_u32_e32 vcc, 3, v101
	v_cndmask_b32_e32 v107, v107, v41, vcc
	v_cndmask_b32_e64 v108, v108, v38, s[0:1]
	v_cmp_eq_u32_e64 s[0:1], 4, v101
	v_cndmask_b32_e64 v107, v107, v43, s[0:1]
	v_cndmask_b32_e32 v108, v108, v40, vcc
	v_cmp_eq_u32_e32 vcc, 5, v101
	v_cndmask_b32_e32 v107, v107, v45, vcc
	v_cndmask_b32_e64 v108, v108, v42, s[0:1]
	v_cmp_eq_u32_e64 s[0:1], 6, v101
	v_cndmask_b32_e64 v107, v107, v47, s[0:1]
	v_cndmask_b32_e32 v108, v108, v44, vcc
	v_cmp_eq_u32_e32 vcc, 7, v101
	v_cndmask_b32_e32 v107, v107, v49, vcc
	v_cndmask_b32_e64 v108, v108, v46, s[0:1]
	v_cmp_eq_u32_e64 s[0:1], 8, v101
	v_cndmask_b32_e64 v107, v107, v51, s[0:1]
	v_cndmask_b32_e32 v108, v108, v48, vcc
	v_cmp_eq_u32_e32 vcc, 9, v101
	v_cndmask_b32_e32 v107, v107, v53, vcc
	v_cndmask_b32_e64 v108, v108, v50, s[0:1]
	v_cmp_eq_u32_e64 s[0:1], 10, v101
	v_cndmask_b32_e64 v107, v107, v55, s[0:1]
	v_cndmask_b32_e32 v108, v108, v52, vcc
	v_cmp_eq_u32_e32 vcc, 11, v101
	v_cndmask_b32_e32 v107, v107, v57, vcc
	v_cndmask_b32_e64 v108, v108, v54, s[0:1]
	v_cmp_eq_u32_e64 s[0:1], 12, v101
	ds_read_b64 v[105:106], v103
	v_cndmask_b32_e64 v107, v107, v59, s[0:1]
	v_cndmask_b32_e32 v108, v108, v56, vcc
	v_cmp_eq_u32_e32 vcc, 13, v101
	v_cndmask_b32_e32 v107, v107, v61, vcc
	v_cndmask_b32_e64 v108, v108, v58, s[0:1]
	v_cmp_eq_u32_e64 s[0:1], 14, v101
	v_cndmask_b32_e64 v107, v107, v63, s[0:1]
	v_cndmask_b32_e32 v109, v108, v60, vcc
	v_cmp_eq_u32_e32 vcc, 15, v101
	v_cndmask_b32_e32 v108, v107, v65, vcc
	v_cndmask_b32_e64 v107, v109, v62, s[0:1]
	v_cndmask_b32_e32 v107, v107, v64, vcc
	s_waitcnt lgkmcnt(0)
	v_fma_f64 v[98:99], v[107:108], v[105:106], v[98:99]
	v_add_u32_e32 v102, -1, v102
	v_cmp_eq_u32_e32 vcc, 0, v102
	s_or_b64 s[8:9], vcc, s[8:9]
	v_add_co_u32_e32 v101, vcc, 1, v101
	v_add_u32_e32 v103, 8, v103
	v_addc_co_u32_e32 v104, vcc, 0, v104, vcc
	s_andn2_b64 exec, exec, s[8:9]
	s_cbranch_execnz .LBB15_141
; %bb.142:
	s_or_b64 exec, exec, s[8:9]
.LBB15_143:
	s_or_b64 exec, exec, s[6:7]
.LBB15_144:
	s_or_b64 exec, exec, s[4:5]
	v_mov_b32_e32 v44, 0
	ds_read_b64 v[44:45], v44 offset:40
	s_waitcnt lgkmcnt(0)
	v_mul_f64 v[44:45], v[98:99], v[44:45]
.LBB15_145:
	s_or_b64 exec, exec, s[36:37]
	v_cmp_lt_u32_e64 s[0:1], 4, v0
	ds_write_b64 v100, v[42:43]
	s_waitcnt lgkmcnt(0)
	; wave barrier
	s_and_saveexec_b64 s[36:37], s[0:1]
	s_cbranch_execz .LBB15_161
; %bb.146:
	s_andn2_b64 vcc, exec, s[34:35]
	s_cbranch_vccnz .LBB15_148
; %bb.147:
	v_cmp_eq_u32_e32 vcc, 1, v0
	v_cndmask_b32_e32 v98, v35, v37, vcc
	v_cmp_eq_u32_e64 s[4:5], 2, v0
	v_cndmask_b32_e64 v98, v98, v39, s[4:5]
	v_cmp_eq_u32_e64 s[6:7], 3, v0
	v_cndmask_b32_e64 v98, v98, v41, s[6:7]
	;; [unrolled: 2-line block ×14, first 2 shown]
	v_cndmask_b32_e32 v98, v34, v36, vcc
	v_cndmask_b32_e64 v98, v98, v38, s[4:5]
	v_cndmask_b32_e64 v98, v98, v40, s[6:7]
	;; [unrolled: 1-line block ×10, first 2 shown]
	ds_read_b64 v[101:102], v100
	v_cndmask_b32_e64 v98, v98, v58, s[24:25]
	v_cndmask_b32_e64 v98, v98, v60, s[26:27]
	;; [unrolled: 1-line block ×4, first 2 shown]
	s_waitcnt lgkmcnt(0)
	v_mul_f64 v[98:99], v[98:99], v[101:102]
	s_cbranch_execz .LBB15_149
	s_branch .LBB15_150
.LBB15_148:
                                        ; implicit-def: $vgpr98_vgpr99
.LBB15_149:
	ds_read_b64 v[98:99], v100
.LBB15_150:
	s_and_saveexec_b64 s[4:5], s[2:3]
	s_cbranch_execz .LBB15_160
; %bb.151:
	v_add_u32_e32 v101, -6, v0
	v_add_u32_e32 v102, -5, v0
	v_cmp_lt_u32_e32 vcc, 6, v101
	v_mov_b32_e32 v101, 5
	s_and_saveexec_b64 s[2:3], vcc
	s_cbranch_execz .LBB15_155
; %bb.152:
	v_and_b32_e32 v101, -8, v102
	v_sub_u32_e32 v103, 0, v101
	s_mov_b64 s[6:7], 12
	s_movk_i32 s10, 0xa8
	s_mov_b64 s[8:9], 0
.LBB15_153:                             ; =>This Inner Loop Header: Depth=1
	s_lshl_b32 s11, s6, 1
	s_add_i32 s12, s11, -13
	v_mov_b32_e32 v101, s10
	s_add_i32 s13, s11, -14
	s_set_gpr_idx_on s12, gpr_idx(SRC0)
	v_mov_b32_e32 v109, v34
	s_set_gpr_idx_off
	s_set_gpr_idx_on s13, gpr_idx(SRC0)
	v_mov_b32_e32 v108, v34
	s_set_gpr_idx_off
	ds_read2_b64 v[104:107], v101 offset1:1
	s_add_i32 s12, s11, -11
	s_add_i32 s13, s11, -12
	;; [unrolled: 1-line block ×4, first 2 shown]
	s_waitcnt lgkmcnt(0)
	v_fma_f64 v[98:99], v[108:109], v[104:105], v[98:99]
	s_set_gpr_idx_on s12, gpr_idx(SRC0)
	v_mov_b32_e32 v105, v34
	s_set_gpr_idx_off
	s_set_gpr_idx_on s13, gpr_idx(SRC0)
	v_mov_b32_e32 v104, v34
	s_set_gpr_idx_off
	s_add_i32 s12, s11, -7
	s_add_i32 s13, s11, -8
	v_fma_f64 v[98:99], v[104:105], v[106:107], v[98:99]
	s_set_gpr_idx_on s14, gpr_idx(SRC0)
	v_mov_b32_e32 v109, v34
	s_set_gpr_idx_off
	s_set_gpr_idx_on s15, gpr_idx(SRC0)
	v_mov_b32_e32 v108, v34
	s_set_gpr_idx_off
	ds_read2_b64 v[104:107], v101 offset0:2 offset1:3
	s_add_i32 s14, s11, -5
	s_add_i32 s15, s11, -6
	s_waitcnt lgkmcnt(0)
	v_fma_f64 v[98:99], v[108:109], v[104:105], v[98:99]
	s_set_gpr_idx_on s12, gpr_idx(SRC0)
	v_mov_b32_e32 v105, v34
	s_set_gpr_idx_off
	s_set_gpr_idx_on s13, gpr_idx(SRC0)
	v_mov_b32_e32 v104, v34
	s_set_gpr_idx_off
	s_add_i32 s12, s11, -3
	s_add_i32 s13, s11, -4
	v_fma_f64 v[98:99], v[104:105], v[106:107], v[98:99]
	s_set_gpr_idx_on s14, gpr_idx(SRC0)
	v_mov_b32_e32 v109, v34
	s_set_gpr_idx_off
	s_set_gpr_idx_on s15, gpr_idx(SRC0)
	v_mov_b32_e32 v108, v34
	s_set_gpr_idx_off
	ds_read2_b64 v[104:107], v101 offset0:4 offset1:5
	s_add_i32 s14, s11, -1
	s_add_i32 s15, s11, -2
	s_add_u32 s6, s6, 8
	s_addc_u32 s7, s7, 0
	s_waitcnt lgkmcnt(0)
	v_fma_f64 v[98:99], v[108:109], v[104:105], v[98:99]
	s_set_gpr_idx_on s12, gpr_idx(SRC0)
	v_mov_b32_e32 v105, v34
	s_set_gpr_idx_off
	s_set_gpr_idx_on s13, gpr_idx(SRC0)
	v_mov_b32_e32 v104, v34
	s_set_gpr_idx_off
	s_add_i32 s10, s10, 64
	v_fma_f64 v[98:99], v[104:105], v[106:107], v[98:99]
	s_set_gpr_idx_on s14, gpr_idx(SRC0)
	v_mov_b32_e32 v109, v34
	s_set_gpr_idx_off
	s_set_gpr_idx_on s15, gpr_idx(SRC0)
	v_mov_b32_e32 v108, v34
	s_set_gpr_idx_off
	ds_read2_b64 v[104:107], v101 offset0:6 offset1:7
	v_add_u32_e32 v101, s6, v103
	v_cmp_eq_u32_e32 vcc, 12, v101
	s_waitcnt lgkmcnt(0)
	v_fma_f64 v[98:99], v[108:109], v[104:105], v[98:99]
	s_set_gpr_idx_on s11, gpr_idx(SRC0)
	v_mov_b32_e32 v105, v35
	v_mov_b32_e32 v104, v34
	s_set_gpr_idx_off
	s_add_i32 s11, s6, -7
	s_or_b64 s[8:9], vcc, s[8:9]
	v_mov_b32_e32 v101, s11
	v_fma_f64 v[98:99], v[104:105], v[106:107], v[98:99]
	s_andn2_b64 exec, exec, s[8:9]
	s_cbranch_execnz .LBB15_153
; %bb.154:
	s_or_b64 exec, exec, s[8:9]
.LBB15_155:
	s_or_b64 exec, exec, s[2:3]
	v_and_b32_e32 v102, 7, v102
	v_cmp_ne_u32_e32 vcc, 0, v102
	s_and_saveexec_b64 s[6:7], vcc
	s_cbranch_execz .LBB15_159
; %bb.156:
	v_mov_b32_e32 v103, 0x80
	v_lshl_add_u32 v103, v101, 3, v103
	v_mov_b32_e32 v104, 0
	s_mov_b64 s[8:9], 0
.LBB15_157:                             ; =>This Inner Loop Header: Depth=1
	v_cmp_eq_u32_e32 vcc, 1, v101
	v_cndmask_b32_e32 v107, v35, v37, vcc
	v_cmp_eq_u32_e64 s[2:3], 2, v101
	v_cndmask_b32_e64 v107, v107, v39, s[2:3]
	v_cndmask_b32_e32 v108, v34, v36, vcc
	v_cmp_eq_u32_e32 vcc, 3, v101
	v_cndmask_b32_e32 v107, v107, v41, vcc
	v_cndmask_b32_e64 v108, v108, v38, s[2:3]
	v_cmp_eq_u32_e64 s[2:3], 4, v101
	v_cndmask_b32_e64 v107, v107, v43, s[2:3]
	v_cndmask_b32_e32 v108, v108, v40, vcc
	v_cmp_eq_u32_e32 vcc, 5, v101
	v_cndmask_b32_e32 v107, v107, v45, vcc
	v_cndmask_b32_e64 v108, v108, v42, s[2:3]
	;; [unrolled: 6-line block ×5, first 2 shown]
	v_cmp_eq_u32_e64 s[2:3], 12, v101
	ds_read_b64 v[105:106], v103
	v_cndmask_b32_e64 v107, v107, v59, s[2:3]
	v_cndmask_b32_e32 v108, v108, v56, vcc
	v_cmp_eq_u32_e32 vcc, 13, v101
	v_cndmask_b32_e32 v107, v107, v61, vcc
	v_cndmask_b32_e64 v108, v108, v58, s[2:3]
	v_cmp_eq_u32_e64 s[2:3], 14, v101
	v_cndmask_b32_e64 v107, v107, v63, s[2:3]
	v_cndmask_b32_e32 v109, v108, v60, vcc
	v_cmp_eq_u32_e32 vcc, 15, v101
	v_cndmask_b32_e32 v108, v107, v65, vcc
	v_cndmask_b32_e64 v107, v109, v62, s[2:3]
	v_cndmask_b32_e32 v107, v107, v64, vcc
	s_waitcnt lgkmcnt(0)
	v_fma_f64 v[98:99], v[107:108], v[105:106], v[98:99]
	v_add_u32_e32 v102, -1, v102
	v_cmp_eq_u32_e32 vcc, 0, v102
	s_or_b64 s[8:9], vcc, s[8:9]
	v_add_co_u32_e32 v101, vcc, 1, v101
	v_add_u32_e32 v103, 8, v103
	v_addc_co_u32_e32 v104, vcc, 0, v104, vcc
	s_andn2_b64 exec, exec, s[8:9]
	s_cbranch_execnz .LBB15_157
; %bb.158:
	s_or_b64 exec, exec, s[8:9]
.LBB15_159:
	s_or_b64 exec, exec, s[6:7]
.LBB15_160:
	s_or_b64 exec, exec, s[4:5]
	v_mov_b32_e32 v42, 0
	ds_read_b64 v[42:43], v42 offset:32
	s_waitcnt lgkmcnt(0)
	v_mul_f64 v[42:43], v[98:99], v[42:43]
.LBB15_161:
	s_or_b64 exec, exec, s[36:37]
	v_cmp_lt_u32_e64 s[2:3], 3, v0
	ds_write_b64 v100, v[40:41]
	s_waitcnt lgkmcnt(0)
	; wave barrier
	s_and_saveexec_b64 s[36:37], s[2:3]
	s_cbranch_execz .LBB15_177
; %bb.162:
	s_andn2_b64 vcc, exec, s[34:35]
	s_cbranch_vccnz .LBB15_164
; %bb.163:
	v_cmp_eq_u32_e32 vcc, 1, v0
	v_cndmask_b32_e32 v98, v35, v37, vcc
	v_cmp_eq_u32_e64 s[4:5], 2, v0
	v_cndmask_b32_e64 v98, v98, v39, s[4:5]
	v_cmp_eq_u32_e64 s[6:7], 3, v0
	v_cndmask_b32_e64 v98, v98, v41, s[6:7]
	;; [unrolled: 2-line block ×14, first 2 shown]
	v_cndmask_b32_e32 v98, v34, v36, vcc
	v_cndmask_b32_e64 v98, v98, v38, s[4:5]
	v_cndmask_b32_e64 v98, v98, v40, s[6:7]
	;; [unrolled: 1-line block ×10, first 2 shown]
	ds_read_b64 v[101:102], v100
	v_cndmask_b32_e64 v98, v98, v58, s[24:25]
	v_cndmask_b32_e64 v98, v98, v60, s[26:27]
	;; [unrolled: 1-line block ×4, first 2 shown]
	s_waitcnt lgkmcnt(0)
	v_mul_f64 v[98:99], v[98:99], v[101:102]
	s_cbranch_execz .LBB15_165
	s_branch .LBB15_166
.LBB15_164:
                                        ; implicit-def: $vgpr98_vgpr99
.LBB15_165:
	ds_read_b64 v[98:99], v100
.LBB15_166:
	s_and_saveexec_b64 s[4:5], s[0:1]
	s_cbranch_execz .LBB15_176
; %bb.167:
	v_add_u32_e32 v101, -5, v0
	v_add_u32_e32 v102, -4, v0
	v_cmp_lt_u32_e32 vcc, 6, v101
	v_mov_b32_e32 v101, 4
	s_and_saveexec_b64 s[0:1], vcc
	s_cbranch_execz .LBB15_171
; %bb.168:
	v_and_b32_e32 v101, -8, v102
	v_sub_u32_e32 v103, 0, v101
	s_mov_b64 s[6:7], 5
	s_movk_i32 s10, 0xa0
	s_mov_b64 s[8:9], 0
.LBB15_169:                             ; =>This Inner Loop Header: Depth=1
	s_lshl_b32 s11, s6, 1
	s_add_i32 s12, s11, -1
	v_mov_b32_e32 v101, s10
	s_add_i32 s13, s11, -2
	s_set_gpr_idx_on s12, gpr_idx(SRC0)
	v_mov_b32_e32 v113, v34
	s_set_gpr_idx_off
	s_set_gpr_idx_on s13, gpr_idx(SRC0)
	v_mov_b32_e32 v112, v34
	s_set_gpr_idx_off
	ds_read_b128 v[104:107], v101
	ds_read_b128 v[108:111], v101 offset:16
	s_add_i32 s12, s11, 3
	s_add_i32 s13, s11, 2
	s_waitcnt lgkmcnt(1)
	v_fma_f64 v[98:99], v[112:113], v[104:105], v[98:99]
	ds_read_b128 v[112:115], v101 offset:32
	ds_read_b128 v[116:119], v101 offset:48
	s_set_gpr_idx_on s11, gpr_idx(SRC0)
	v_mov_b32_e32 v105, v35
	v_mov_b32_e32 v104, v34
	s_set_gpr_idx_off
	v_fma_f64 v[98:99], v[104:105], v[106:107], v[98:99]
	s_set_gpr_idx_on s12, gpr_idx(SRC0)
	v_mov_b32_e32 v105, v34
	s_set_gpr_idx_off
	s_set_gpr_idx_on s13, gpr_idx(SRC0)
	v_mov_b32_e32 v104, v34
	s_set_gpr_idx_off
	s_add_i32 s12, s11, 5
	s_add_i32 s13, s11, 4
	s_waitcnt lgkmcnt(2)
	v_fma_f64 v[98:99], v[104:105], v[108:109], v[98:99]
	s_set_gpr_idx_on s12, gpr_idx(SRC0)
	v_mov_b32_e32 v105, v34
	s_set_gpr_idx_off
	s_set_gpr_idx_on s13, gpr_idx(SRC0)
	v_mov_b32_e32 v104, v34
	s_set_gpr_idx_off
	s_add_i32 s12, s11, 7
	s_add_i32 s13, s11, 6
	v_fma_f64 v[98:99], v[104:105], v[110:111], v[98:99]
	s_set_gpr_idx_on s12, gpr_idx(SRC0)
	v_mov_b32_e32 v105, v34
	s_set_gpr_idx_off
	s_set_gpr_idx_on s13, gpr_idx(SRC0)
	v_mov_b32_e32 v104, v34
	s_set_gpr_idx_off
	s_add_i32 s12, s11, 9
	s_add_i32 s13, s11, 8
	s_waitcnt lgkmcnt(1)
	v_fma_f64 v[98:99], v[104:105], v[112:113], v[98:99]
	s_set_gpr_idx_on s12, gpr_idx(SRC0)
	v_mov_b32_e32 v105, v34
	s_set_gpr_idx_off
	s_set_gpr_idx_on s13, gpr_idx(SRC0)
	v_mov_b32_e32 v104, v34
	s_set_gpr_idx_off
	s_add_i32 s12, s11, 11
	s_add_i32 s13, s11, 10
	v_fma_f64 v[98:99], v[104:105], v[114:115], v[98:99]
	s_set_gpr_idx_on s12, gpr_idx(SRC0)
	v_mov_b32_e32 v105, v34
	s_set_gpr_idx_off
	s_set_gpr_idx_on s13, gpr_idx(SRC0)
	v_mov_b32_e32 v104, v34
	s_set_gpr_idx_off
	s_add_i32 s12, s11, 13
	s_add_i32 s11, s11, 12
	s_add_u32 s6, s6, 8
	v_add_u32_e32 v101, s6, v103
	s_addc_u32 s7, s7, 0
	s_waitcnt lgkmcnt(0)
	v_fma_f64 v[98:99], v[104:105], v[116:117], v[98:99]
	s_set_gpr_idx_on s12, gpr_idx(SRC0)
	v_mov_b32_e32 v105, v34
	s_set_gpr_idx_off
	s_set_gpr_idx_on s11, gpr_idx(SRC0)
	v_mov_b32_e32 v104, v34
	s_set_gpr_idx_off
	s_add_i32 s10, s10, 64
	s_add_i32 s11, s6, -1
	v_cmp_eq_u32_e32 vcc, 5, v101
	s_or_b64 s[8:9], vcc, s[8:9]
	v_mov_b32_e32 v101, s11
	v_fma_f64 v[98:99], v[104:105], v[118:119], v[98:99]
	s_andn2_b64 exec, exec, s[8:9]
	s_cbranch_execnz .LBB15_169
; %bb.170:
	s_or_b64 exec, exec, s[8:9]
.LBB15_171:
	s_or_b64 exec, exec, s[0:1]
	v_and_b32_e32 v102, 7, v102
	v_cmp_ne_u32_e32 vcc, 0, v102
	s_and_saveexec_b64 s[6:7], vcc
	s_cbranch_execz .LBB15_175
; %bb.172:
	v_mov_b32_e32 v103, 0x80
	v_lshl_add_u32 v103, v101, 3, v103
	v_mov_b32_e32 v104, 0
	s_mov_b64 s[8:9], 0
.LBB15_173:                             ; =>This Inner Loop Header: Depth=1
	v_cmp_eq_u32_e32 vcc, 1, v101
	v_cndmask_b32_e32 v107, v35, v37, vcc
	v_cmp_eq_u32_e64 s[0:1], 2, v101
	v_cndmask_b32_e64 v107, v107, v39, s[0:1]
	v_cndmask_b32_e32 v108, v34, v36, vcc
	v_cmp_eq_u32_e32 vcc, 3, v101
	v_cndmask_b32_e32 v107, v107, v41, vcc
	v_cndmask_b32_e64 v108, v108, v38, s[0:1]
	v_cmp_eq_u32_e64 s[0:1], 4, v101
	v_cndmask_b32_e64 v107, v107, v43, s[0:1]
	v_cndmask_b32_e32 v108, v108, v40, vcc
	v_cmp_eq_u32_e32 vcc, 5, v101
	v_cndmask_b32_e32 v107, v107, v45, vcc
	v_cndmask_b32_e64 v108, v108, v42, s[0:1]
	;; [unrolled: 6-line block ×5, first 2 shown]
	v_cmp_eq_u32_e64 s[0:1], 12, v101
	ds_read_b64 v[105:106], v103
	v_cndmask_b32_e64 v107, v107, v59, s[0:1]
	v_cndmask_b32_e32 v108, v108, v56, vcc
	v_cmp_eq_u32_e32 vcc, 13, v101
	v_cndmask_b32_e32 v107, v107, v61, vcc
	v_cndmask_b32_e64 v108, v108, v58, s[0:1]
	v_cmp_eq_u32_e64 s[0:1], 14, v101
	v_cndmask_b32_e64 v107, v107, v63, s[0:1]
	v_cndmask_b32_e32 v109, v108, v60, vcc
	v_cmp_eq_u32_e32 vcc, 15, v101
	v_cndmask_b32_e32 v108, v107, v65, vcc
	v_cndmask_b32_e64 v107, v109, v62, s[0:1]
	v_cndmask_b32_e32 v107, v107, v64, vcc
	s_waitcnt lgkmcnt(0)
	v_fma_f64 v[98:99], v[107:108], v[105:106], v[98:99]
	v_add_u32_e32 v102, -1, v102
	v_cmp_eq_u32_e32 vcc, 0, v102
	s_or_b64 s[8:9], vcc, s[8:9]
	v_add_co_u32_e32 v101, vcc, 1, v101
	v_add_u32_e32 v103, 8, v103
	v_addc_co_u32_e32 v104, vcc, 0, v104, vcc
	s_andn2_b64 exec, exec, s[8:9]
	s_cbranch_execnz .LBB15_173
; %bb.174:
	s_or_b64 exec, exec, s[8:9]
.LBB15_175:
	s_or_b64 exec, exec, s[6:7]
.LBB15_176:
	s_or_b64 exec, exec, s[4:5]
	v_mov_b32_e32 v40, 0
	ds_read_b64 v[40:41], v40 offset:24
	s_waitcnt lgkmcnt(0)
	v_mul_f64 v[40:41], v[98:99], v[40:41]
.LBB15_177:
	s_or_b64 exec, exec, s[36:37]
	v_cmp_lt_u32_e64 s[0:1], 2, v0
	ds_write_b64 v100, v[38:39]
	s_waitcnt lgkmcnt(0)
	; wave barrier
	s_and_saveexec_b64 s[36:37], s[0:1]
	s_cbranch_execz .LBB15_193
; %bb.178:
	s_andn2_b64 vcc, exec, s[34:35]
	s_cbranch_vccnz .LBB15_180
; %bb.179:
	v_cmp_eq_u32_e32 vcc, 1, v0
	v_cndmask_b32_e32 v98, v35, v37, vcc
	v_cmp_eq_u32_e64 s[4:5], 2, v0
	v_cndmask_b32_e64 v98, v98, v39, s[4:5]
	v_cmp_eq_u32_e64 s[6:7], 3, v0
	v_cndmask_b32_e64 v98, v98, v41, s[6:7]
	;; [unrolled: 2-line block ×14, first 2 shown]
	v_cndmask_b32_e32 v98, v34, v36, vcc
	v_cndmask_b32_e64 v98, v98, v38, s[4:5]
	v_cndmask_b32_e64 v98, v98, v40, s[6:7]
	;; [unrolled: 1-line block ×10, first 2 shown]
	ds_read_b64 v[101:102], v100
	v_cndmask_b32_e64 v98, v98, v58, s[24:25]
	v_cndmask_b32_e64 v98, v98, v60, s[26:27]
	;; [unrolled: 1-line block ×4, first 2 shown]
	s_waitcnt lgkmcnt(0)
	v_mul_f64 v[98:99], v[98:99], v[101:102]
	s_cbranch_execz .LBB15_181
	s_branch .LBB15_182
.LBB15_180:
                                        ; implicit-def: $vgpr98_vgpr99
.LBB15_181:
	ds_read_b64 v[98:99], v100
.LBB15_182:
	s_and_saveexec_b64 s[4:5], s[2:3]
	s_cbranch_execz .LBB15_192
; %bb.183:
	v_add_u32_e32 v101, -4, v0
	v_add_u32_e32 v102, -3, v0
	v_cmp_lt_u32_e32 vcc, 6, v101
	v_mov_b32_e32 v101, 3
	s_and_saveexec_b64 s[2:3], vcc
	s_cbranch_execz .LBB15_187
; %bb.184:
	v_and_b32_e32 v101, -8, v102
	v_sub_u32_e32 v103, 0, v101
	s_mov_b64 s[6:7], 10
	s_movk_i32 s10, 0x98
	s_mov_b64 s[8:9], 0
.LBB15_185:                             ; =>This Inner Loop Header: Depth=1
	s_lshl_b32 s11, s6, 1
	s_add_i32 s12, s11, -13
	v_mov_b32_e32 v101, s10
	s_add_i32 s13, s11, -14
	s_set_gpr_idx_on s12, gpr_idx(SRC0)
	v_mov_b32_e32 v109, v34
	s_set_gpr_idx_off
	s_set_gpr_idx_on s13, gpr_idx(SRC0)
	v_mov_b32_e32 v108, v34
	s_set_gpr_idx_off
	ds_read2_b64 v[104:107], v101 offset1:1
	s_add_i32 s12, s11, -11
	s_add_i32 s13, s11, -12
	;; [unrolled: 1-line block ×4, first 2 shown]
	s_waitcnt lgkmcnt(0)
	v_fma_f64 v[98:99], v[108:109], v[104:105], v[98:99]
	s_set_gpr_idx_on s12, gpr_idx(SRC0)
	v_mov_b32_e32 v105, v34
	s_set_gpr_idx_off
	s_set_gpr_idx_on s13, gpr_idx(SRC0)
	v_mov_b32_e32 v104, v34
	s_set_gpr_idx_off
	s_add_i32 s12, s11, -7
	s_add_i32 s13, s11, -8
	v_fma_f64 v[98:99], v[104:105], v[106:107], v[98:99]
	s_set_gpr_idx_on s14, gpr_idx(SRC0)
	v_mov_b32_e32 v109, v34
	s_set_gpr_idx_off
	s_set_gpr_idx_on s15, gpr_idx(SRC0)
	v_mov_b32_e32 v108, v34
	s_set_gpr_idx_off
	ds_read2_b64 v[104:107], v101 offset0:2 offset1:3
	s_add_i32 s14, s11, -5
	s_add_i32 s15, s11, -6
	s_waitcnt lgkmcnt(0)
	v_fma_f64 v[98:99], v[108:109], v[104:105], v[98:99]
	s_set_gpr_idx_on s12, gpr_idx(SRC0)
	v_mov_b32_e32 v105, v34
	s_set_gpr_idx_off
	s_set_gpr_idx_on s13, gpr_idx(SRC0)
	v_mov_b32_e32 v104, v34
	s_set_gpr_idx_off
	s_add_i32 s12, s11, -3
	s_add_i32 s13, s11, -4
	v_fma_f64 v[98:99], v[104:105], v[106:107], v[98:99]
	s_set_gpr_idx_on s14, gpr_idx(SRC0)
	v_mov_b32_e32 v109, v34
	s_set_gpr_idx_off
	s_set_gpr_idx_on s15, gpr_idx(SRC0)
	v_mov_b32_e32 v108, v34
	s_set_gpr_idx_off
	ds_read2_b64 v[104:107], v101 offset0:4 offset1:5
	s_add_i32 s14, s11, -1
	s_add_i32 s15, s11, -2
	s_add_u32 s6, s6, 8
	s_addc_u32 s7, s7, 0
	s_waitcnt lgkmcnt(0)
	v_fma_f64 v[98:99], v[108:109], v[104:105], v[98:99]
	s_set_gpr_idx_on s12, gpr_idx(SRC0)
	v_mov_b32_e32 v105, v34
	s_set_gpr_idx_off
	s_set_gpr_idx_on s13, gpr_idx(SRC0)
	v_mov_b32_e32 v104, v34
	s_set_gpr_idx_off
	s_add_i32 s10, s10, 64
	v_fma_f64 v[98:99], v[104:105], v[106:107], v[98:99]
	s_set_gpr_idx_on s14, gpr_idx(SRC0)
	v_mov_b32_e32 v109, v34
	s_set_gpr_idx_off
	s_set_gpr_idx_on s15, gpr_idx(SRC0)
	v_mov_b32_e32 v108, v34
	s_set_gpr_idx_off
	ds_read2_b64 v[104:107], v101 offset0:6 offset1:7
	v_add_u32_e32 v101, s6, v103
	v_cmp_eq_u32_e32 vcc, 10, v101
	s_waitcnt lgkmcnt(0)
	v_fma_f64 v[98:99], v[108:109], v[104:105], v[98:99]
	s_set_gpr_idx_on s11, gpr_idx(SRC0)
	v_mov_b32_e32 v105, v35
	v_mov_b32_e32 v104, v34
	s_set_gpr_idx_off
	s_add_i32 s11, s6, -7
	s_or_b64 s[8:9], vcc, s[8:9]
	v_mov_b32_e32 v101, s11
	v_fma_f64 v[98:99], v[104:105], v[106:107], v[98:99]
	s_andn2_b64 exec, exec, s[8:9]
	s_cbranch_execnz .LBB15_185
; %bb.186:
	s_or_b64 exec, exec, s[8:9]
.LBB15_187:
	s_or_b64 exec, exec, s[2:3]
	v_and_b32_e32 v102, 7, v102
	v_cmp_ne_u32_e32 vcc, 0, v102
	s_and_saveexec_b64 s[6:7], vcc
	s_cbranch_execz .LBB15_191
; %bb.188:
	v_mov_b32_e32 v103, 0x80
	v_lshl_add_u32 v103, v101, 3, v103
	v_mov_b32_e32 v104, 0
	s_mov_b64 s[8:9], 0
.LBB15_189:                             ; =>This Inner Loop Header: Depth=1
	v_cmp_eq_u32_e32 vcc, 1, v101
	v_cndmask_b32_e32 v107, v35, v37, vcc
	v_cmp_eq_u32_e64 s[2:3], 2, v101
	v_cndmask_b32_e64 v107, v107, v39, s[2:3]
	v_cndmask_b32_e32 v108, v34, v36, vcc
	v_cmp_eq_u32_e32 vcc, 3, v101
	v_cndmask_b32_e32 v107, v107, v41, vcc
	v_cndmask_b32_e64 v108, v108, v38, s[2:3]
	v_cmp_eq_u32_e64 s[2:3], 4, v101
	v_cndmask_b32_e64 v107, v107, v43, s[2:3]
	v_cndmask_b32_e32 v108, v108, v40, vcc
	v_cmp_eq_u32_e32 vcc, 5, v101
	v_cndmask_b32_e32 v107, v107, v45, vcc
	v_cndmask_b32_e64 v108, v108, v42, s[2:3]
	v_cmp_eq_u32_e64 s[2:3], 6, v101
	v_cndmask_b32_e64 v107, v107, v47, s[2:3]
	v_cndmask_b32_e32 v108, v108, v44, vcc
	v_cmp_eq_u32_e32 vcc, 7, v101
	v_cndmask_b32_e32 v107, v107, v49, vcc
	v_cndmask_b32_e64 v108, v108, v46, s[2:3]
	v_cmp_eq_u32_e64 s[2:3], 8, v101
	v_cndmask_b32_e64 v107, v107, v51, s[2:3]
	v_cndmask_b32_e32 v108, v108, v48, vcc
	v_cmp_eq_u32_e32 vcc, 9, v101
	v_cndmask_b32_e32 v107, v107, v53, vcc
	v_cndmask_b32_e64 v108, v108, v50, s[2:3]
	v_cmp_eq_u32_e64 s[2:3], 10, v101
	v_cndmask_b32_e64 v107, v107, v55, s[2:3]
	v_cndmask_b32_e32 v108, v108, v52, vcc
	v_cmp_eq_u32_e32 vcc, 11, v101
	v_cndmask_b32_e32 v107, v107, v57, vcc
	v_cndmask_b32_e64 v108, v108, v54, s[2:3]
	v_cmp_eq_u32_e64 s[2:3], 12, v101
	ds_read_b64 v[105:106], v103
	v_cndmask_b32_e64 v107, v107, v59, s[2:3]
	v_cndmask_b32_e32 v108, v108, v56, vcc
	v_cmp_eq_u32_e32 vcc, 13, v101
	v_cndmask_b32_e32 v107, v107, v61, vcc
	v_cndmask_b32_e64 v108, v108, v58, s[2:3]
	v_cmp_eq_u32_e64 s[2:3], 14, v101
	v_cndmask_b32_e64 v107, v107, v63, s[2:3]
	v_cndmask_b32_e32 v109, v108, v60, vcc
	v_cmp_eq_u32_e32 vcc, 15, v101
	v_cndmask_b32_e32 v108, v107, v65, vcc
	v_cndmask_b32_e64 v107, v109, v62, s[2:3]
	v_cndmask_b32_e32 v107, v107, v64, vcc
	s_waitcnt lgkmcnt(0)
	v_fma_f64 v[98:99], v[107:108], v[105:106], v[98:99]
	v_add_u32_e32 v102, -1, v102
	v_cmp_eq_u32_e32 vcc, 0, v102
	s_or_b64 s[8:9], vcc, s[8:9]
	v_add_co_u32_e32 v101, vcc, 1, v101
	v_add_u32_e32 v103, 8, v103
	v_addc_co_u32_e32 v104, vcc, 0, v104, vcc
	s_andn2_b64 exec, exec, s[8:9]
	s_cbranch_execnz .LBB15_189
; %bb.190:
	s_or_b64 exec, exec, s[8:9]
.LBB15_191:
	s_or_b64 exec, exec, s[6:7]
.LBB15_192:
	s_or_b64 exec, exec, s[4:5]
	v_mov_b32_e32 v38, 0
	ds_read_b64 v[38:39], v38 offset:16
	s_waitcnt lgkmcnt(0)
	v_mul_f64 v[38:39], v[98:99], v[38:39]
.LBB15_193:
	s_or_b64 exec, exec, s[36:37]
	v_cmp_lt_u32_e64 s[2:3], 1, v0
	ds_write_b64 v100, v[36:37]
	s_waitcnt lgkmcnt(0)
	; wave barrier
	s_and_saveexec_b64 s[36:37], s[2:3]
	s_cbranch_execz .LBB15_209
; %bb.194:
	s_andn2_b64 vcc, exec, s[34:35]
	s_cbranch_vccnz .LBB15_196
; %bb.195:
	v_cmp_eq_u32_e32 vcc, 1, v0
	v_cndmask_b32_e32 v98, v35, v37, vcc
	v_cmp_eq_u32_e64 s[4:5], 2, v0
	v_cndmask_b32_e64 v98, v98, v39, s[4:5]
	v_cmp_eq_u32_e64 s[6:7], 3, v0
	v_cndmask_b32_e64 v98, v98, v41, s[6:7]
	;; [unrolled: 2-line block ×14, first 2 shown]
	v_cndmask_b32_e32 v98, v34, v36, vcc
	v_cndmask_b32_e64 v98, v98, v38, s[4:5]
	v_cndmask_b32_e64 v98, v98, v40, s[6:7]
	;; [unrolled: 1-line block ×10, first 2 shown]
	ds_read_b64 v[101:102], v100
	v_cndmask_b32_e64 v98, v98, v58, s[24:25]
	v_cndmask_b32_e64 v98, v98, v60, s[26:27]
	v_cndmask_b32_e64 v98, v98, v62, s[28:29]
	v_cndmask_b32_e64 v98, v98, v64, s[30:31]
	s_waitcnt lgkmcnt(0)
	v_mul_f64 v[98:99], v[98:99], v[101:102]
	s_cbranch_execz .LBB15_197
	s_branch .LBB15_198
.LBB15_196:
                                        ; implicit-def: $vgpr98_vgpr99
.LBB15_197:
	ds_read_b64 v[98:99], v100
.LBB15_198:
	s_and_saveexec_b64 s[4:5], s[0:1]
	s_cbranch_execz .LBB15_208
; %bb.199:
	v_add_u32_e32 v101, -3, v0
	v_add_u32_e32 v102, -2, v0
	v_cmp_lt_u32_e32 vcc, 6, v101
	v_mov_b32_e32 v101, 2
	s_and_saveexec_b64 s[0:1], vcc
	s_cbranch_execz .LBB15_203
; %bb.200:
	v_and_b32_e32 v101, -8, v102
	v_sub_u32_e32 v103, 0, v101
	s_mov_b64 s[6:7], 9
	s_movk_i32 s10, 0x90
	s_mov_b64 s[8:9], 0
.LBB15_201:                             ; =>This Inner Loop Header: Depth=1
	s_lshl_b32 s11, s6, 1
	s_add_i32 s12, s11, -13
	v_mov_b32_e32 v101, s10
	s_add_i32 s13, s11, -14
	s_set_gpr_idx_on s12, gpr_idx(SRC0)
	v_mov_b32_e32 v113, v34
	s_set_gpr_idx_off
	s_set_gpr_idx_on s13, gpr_idx(SRC0)
	v_mov_b32_e32 v112, v34
	s_set_gpr_idx_off
	ds_read_b128 v[104:107], v101
	ds_read_b128 v[108:111], v101 offset:16
	s_add_i32 s12, s11, -11
	s_add_i32 s13, s11, -12
	s_waitcnt lgkmcnt(1)
	v_fma_f64 v[98:99], v[112:113], v[104:105], v[98:99]
	ds_read_b128 v[112:115], v101 offset:32
	ds_read_b128 v[116:119], v101 offset:48
	s_set_gpr_idx_on s12, gpr_idx(SRC0)
	v_mov_b32_e32 v105, v34
	s_set_gpr_idx_off
	s_set_gpr_idx_on s13, gpr_idx(SRC0)
	v_mov_b32_e32 v104, v34
	s_set_gpr_idx_off
	s_add_i32 s12, s11, -9
	s_add_i32 s13, s11, -10
	v_fma_f64 v[98:99], v[104:105], v[106:107], v[98:99]
	s_set_gpr_idx_on s12, gpr_idx(SRC0)
	v_mov_b32_e32 v105, v34
	s_set_gpr_idx_off
	s_set_gpr_idx_on s13, gpr_idx(SRC0)
	v_mov_b32_e32 v104, v34
	s_set_gpr_idx_off
	s_add_i32 s12, s11, -7
	s_add_i32 s13, s11, -8
	s_waitcnt lgkmcnt(2)
	v_fma_f64 v[98:99], v[104:105], v[108:109], v[98:99]
	s_set_gpr_idx_on s12, gpr_idx(SRC0)
	v_mov_b32_e32 v105, v34
	s_set_gpr_idx_off
	s_set_gpr_idx_on s13, gpr_idx(SRC0)
	v_mov_b32_e32 v104, v34
	s_set_gpr_idx_off
	s_add_i32 s12, s11, -5
	s_add_i32 s13, s11, -6
	v_fma_f64 v[98:99], v[104:105], v[110:111], v[98:99]
	s_set_gpr_idx_on s12, gpr_idx(SRC0)
	v_mov_b32_e32 v105, v34
	s_set_gpr_idx_off
	s_set_gpr_idx_on s13, gpr_idx(SRC0)
	v_mov_b32_e32 v104, v34
	s_set_gpr_idx_off
	s_add_i32 s12, s11, -3
	s_add_i32 s13, s11, -4
	s_waitcnt lgkmcnt(1)
	v_fma_f64 v[98:99], v[104:105], v[112:113], v[98:99]
	s_set_gpr_idx_on s12, gpr_idx(SRC0)
	v_mov_b32_e32 v105, v34
	s_set_gpr_idx_off
	s_set_gpr_idx_on s13, gpr_idx(SRC0)
	v_mov_b32_e32 v104, v34
	s_set_gpr_idx_off
	s_add_i32 s12, s11, -1
	s_add_i32 s13, s11, -2
	s_add_u32 s6, s6, 8
	v_add_u32_e32 v101, s6, v103
	s_addc_u32 s7, s7, 0
	v_fma_f64 v[98:99], v[104:105], v[114:115], v[98:99]
	s_set_gpr_idx_on s12, gpr_idx(SRC0)
	v_mov_b32_e32 v105, v34
	s_set_gpr_idx_off
	s_set_gpr_idx_on s13, gpr_idx(SRC0)
	v_mov_b32_e32 v104, v34
	s_set_gpr_idx_off
	s_add_i32 s10, s10, 64
	v_cmp_eq_u32_e32 vcc, 9, v101
	s_waitcnt lgkmcnt(0)
	v_fma_f64 v[98:99], v[104:105], v[116:117], v[98:99]
	s_set_gpr_idx_on s11, gpr_idx(SRC0)
	v_mov_b32_e32 v105, v35
	v_mov_b32_e32 v104, v34
	s_set_gpr_idx_off
	s_add_i32 s11, s6, -7
	s_or_b64 s[8:9], vcc, s[8:9]
	v_mov_b32_e32 v101, s11
	v_fma_f64 v[98:99], v[104:105], v[118:119], v[98:99]
	s_andn2_b64 exec, exec, s[8:9]
	s_cbranch_execnz .LBB15_201
; %bb.202:
	s_or_b64 exec, exec, s[8:9]
.LBB15_203:
	s_or_b64 exec, exec, s[0:1]
	v_and_b32_e32 v102, 7, v102
	v_cmp_ne_u32_e32 vcc, 0, v102
	s_and_saveexec_b64 s[6:7], vcc
	s_cbranch_execz .LBB15_207
; %bb.204:
	v_mov_b32_e32 v103, 0x80
	v_lshl_add_u32 v103, v101, 3, v103
	v_mov_b32_e32 v104, 0
	s_mov_b64 s[8:9], 0
.LBB15_205:                             ; =>This Inner Loop Header: Depth=1
	v_cmp_eq_u32_e32 vcc, 1, v101
	v_cndmask_b32_e32 v107, v35, v37, vcc
	v_cmp_eq_u32_e64 s[0:1], 2, v101
	v_cndmask_b32_e64 v107, v107, v39, s[0:1]
	v_cndmask_b32_e32 v108, v34, v36, vcc
	v_cmp_eq_u32_e32 vcc, 3, v101
	v_cndmask_b32_e32 v107, v107, v41, vcc
	v_cndmask_b32_e64 v108, v108, v38, s[0:1]
	v_cmp_eq_u32_e64 s[0:1], 4, v101
	v_cndmask_b32_e64 v107, v107, v43, s[0:1]
	v_cndmask_b32_e32 v108, v108, v40, vcc
	v_cmp_eq_u32_e32 vcc, 5, v101
	v_cndmask_b32_e32 v107, v107, v45, vcc
	v_cndmask_b32_e64 v108, v108, v42, s[0:1]
	;; [unrolled: 6-line block ×5, first 2 shown]
	v_cmp_eq_u32_e64 s[0:1], 12, v101
	ds_read_b64 v[105:106], v103
	v_cndmask_b32_e64 v107, v107, v59, s[0:1]
	v_cndmask_b32_e32 v108, v108, v56, vcc
	v_cmp_eq_u32_e32 vcc, 13, v101
	v_cndmask_b32_e32 v107, v107, v61, vcc
	v_cndmask_b32_e64 v108, v108, v58, s[0:1]
	v_cmp_eq_u32_e64 s[0:1], 14, v101
	v_cndmask_b32_e64 v107, v107, v63, s[0:1]
	v_cndmask_b32_e32 v109, v108, v60, vcc
	v_cmp_eq_u32_e32 vcc, 15, v101
	v_cndmask_b32_e32 v108, v107, v65, vcc
	v_cndmask_b32_e64 v107, v109, v62, s[0:1]
	v_cndmask_b32_e32 v107, v107, v64, vcc
	s_waitcnt lgkmcnt(0)
	v_fma_f64 v[98:99], v[107:108], v[105:106], v[98:99]
	v_add_u32_e32 v102, -1, v102
	v_cmp_eq_u32_e32 vcc, 0, v102
	s_or_b64 s[8:9], vcc, s[8:9]
	v_add_co_u32_e32 v101, vcc, 1, v101
	v_add_u32_e32 v103, 8, v103
	v_addc_co_u32_e32 v104, vcc, 0, v104, vcc
	s_andn2_b64 exec, exec, s[8:9]
	s_cbranch_execnz .LBB15_205
; %bb.206:
	s_or_b64 exec, exec, s[8:9]
.LBB15_207:
	s_or_b64 exec, exec, s[6:7]
.LBB15_208:
	s_or_b64 exec, exec, s[4:5]
	v_mov_b32_e32 v36, 0
	ds_read_b64 v[36:37], v36 offset:8
	s_waitcnt lgkmcnt(0)
	v_mul_f64 v[36:37], v[98:99], v[36:37]
.LBB15_209:
	s_or_b64 exec, exec, s[36:37]
	v_cmp_ne_u32_e32 vcc, 0, v0
	ds_write_b64 v100, v[34:35]
	s_waitcnt lgkmcnt(0)
	; wave barrier
	s_and_saveexec_b64 s[30:31], vcc
	s_cbranch_execz .LBB15_225
; %bb.210:
	s_andn2_b64 vcc, exec, s[34:35]
	s_cbranch_vccnz .LBB15_212
; %bb.211:
	v_cmp_eq_u32_e32 vcc, 1, v0
	v_cndmask_b32_e32 v98, v35, v37, vcc
	v_cmp_eq_u32_e64 s[0:1], 2, v0
	v_cndmask_b32_e64 v98, v98, v39, s[0:1]
	v_cmp_eq_u32_e64 s[4:5], 3, v0
	v_cndmask_b32_e64 v98, v98, v41, s[4:5]
	;; [unrolled: 2-line block ×14, first 2 shown]
	v_cndmask_b32_e32 v98, v34, v36, vcc
	v_cndmask_b32_e64 v98, v98, v38, s[0:1]
	v_cndmask_b32_e64 v98, v98, v40, s[4:5]
	;; [unrolled: 1-line block ×10, first 2 shown]
	ds_read_b64 v[101:102], v100
	v_cndmask_b32_e64 v98, v98, v58, s[22:23]
	v_cndmask_b32_e64 v98, v98, v60, s[24:25]
	;; [unrolled: 1-line block ×4, first 2 shown]
	s_waitcnt lgkmcnt(0)
	v_mul_f64 v[98:99], v[98:99], v[101:102]
	s_cbranch_execz .LBB15_213
	s_branch .LBB15_214
.LBB15_212:
                                        ; implicit-def: $vgpr98_vgpr99
.LBB15_213:
	ds_read_b64 v[98:99], v100
.LBB15_214:
	s_and_saveexec_b64 s[4:5], s[2:3]
	s_cbranch_execz .LBB15_224
; %bb.215:
	v_add_u32_e32 v101, -2, v0
	v_add_u32_e32 v102, -1, v0
	v_cmp_lt_u32_e32 vcc, 6, v101
	v_mov_b32_e32 v101, 1
	s_and_saveexec_b64 s[0:1], vcc
	s_cbranch_execz .LBB15_219
; %bb.216:
	v_and_b32_e32 v101, -8, v102
	v_sub_u32_e32 v103, 0, v101
	s_mov_b64 s[2:3], 8
	s_movk_i32 s8, 0x88
	s_mov_b64 s[6:7], 0
.LBB15_217:                             ; =>This Inner Loop Header: Depth=1
	s_lshl_b32 s9, s2, 1
	s_add_i32 s10, s9, -13
	v_mov_b32_e32 v101, s8
	s_add_i32 s11, s9, -14
	s_set_gpr_idx_on s10, gpr_idx(SRC0)
	v_mov_b32_e32 v109, v34
	s_set_gpr_idx_off
	s_set_gpr_idx_on s11, gpr_idx(SRC0)
	v_mov_b32_e32 v108, v34
	s_set_gpr_idx_off
	ds_read2_b64 v[104:107], v101 offset1:1
	s_add_i32 s10, s9, -11
	s_add_i32 s11, s9, -12
	;; [unrolled: 1-line block ×4, first 2 shown]
	s_waitcnt lgkmcnt(0)
	v_fma_f64 v[98:99], v[108:109], v[104:105], v[98:99]
	s_set_gpr_idx_on s10, gpr_idx(SRC0)
	v_mov_b32_e32 v105, v34
	s_set_gpr_idx_off
	s_set_gpr_idx_on s11, gpr_idx(SRC0)
	v_mov_b32_e32 v104, v34
	s_set_gpr_idx_off
	s_add_i32 s10, s9, -7
	s_add_i32 s11, s9, -8
	v_fma_f64 v[98:99], v[104:105], v[106:107], v[98:99]
	s_set_gpr_idx_on s12, gpr_idx(SRC0)
	v_mov_b32_e32 v109, v34
	s_set_gpr_idx_off
	s_set_gpr_idx_on s13, gpr_idx(SRC0)
	v_mov_b32_e32 v108, v34
	s_set_gpr_idx_off
	ds_read2_b64 v[104:107], v101 offset0:2 offset1:3
	s_add_i32 s12, s9, -5
	s_add_i32 s13, s9, -6
	s_waitcnt lgkmcnt(0)
	v_fma_f64 v[98:99], v[108:109], v[104:105], v[98:99]
	s_set_gpr_idx_on s10, gpr_idx(SRC0)
	v_mov_b32_e32 v105, v34
	s_set_gpr_idx_off
	s_set_gpr_idx_on s11, gpr_idx(SRC0)
	v_mov_b32_e32 v104, v34
	s_set_gpr_idx_off
	s_add_i32 s10, s9, -3
	s_add_i32 s11, s9, -4
	v_fma_f64 v[98:99], v[104:105], v[106:107], v[98:99]
	s_set_gpr_idx_on s12, gpr_idx(SRC0)
	v_mov_b32_e32 v109, v34
	s_set_gpr_idx_off
	s_set_gpr_idx_on s13, gpr_idx(SRC0)
	v_mov_b32_e32 v108, v34
	s_set_gpr_idx_off
	ds_read2_b64 v[104:107], v101 offset0:4 offset1:5
	s_add_i32 s12, s9, -1
	s_add_i32 s13, s9, -2
	s_add_u32 s2, s2, 8
	s_addc_u32 s3, s3, 0
	s_waitcnt lgkmcnt(0)
	v_fma_f64 v[98:99], v[108:109], v[104:105], v[98:99]
	s_set_gpr_idx_on s10, gpr_idx(SRC0)
	v_mov_b32_e32 v105, v34
	s_set_gpr_idx_off
	s_set_gpr_idx_on s11, gpr_idx(SRC0)
	v_mov_b32_e32 v104, v34
	s_set_gpr_idx_off
	s_add_i32 s8, s8, 64
	v_fma_f64 v[98:99], v[104:105], v[106:107], v[98:99]
	s_set_gpr_idx_on s12, gpr_idx(SRC0)
	v_mov_b32_e32 v109, v34
	s_set_gpr_idx_off
	s_set_gpr_idx_on s13, gpr_idx(SRC0)
	v_mov_b32_e32 v108, v34
	s_set_gpr_idx_off
	ds_read2_b64 v[104:107], v101 offset0:6 offset1:7
	v_add_u32_e32 v101, s2, v103
	v_cmp_eq_u32_e32 vcc, 8, v101
	s_waitcnt lgkmcnt(0)
	v_fma_f64 v[98:99], v[108:109], v[104:105], v[98:99]
	s_set_gpr_idx_on s9, gpr_idx(SRC0)
	v_mov_b32_e32 v105, v35
	v_mov_b32_e32 v104, v34
	s_set_gpr_idx_off
	s_add_i32 s9, s2, -7
	s_or_b64 s[6:7], vcc, s[6:7]
	v_mov_b32_e32 v101, s9
	v_fma_f64 v[98:99], v[104:105], v[106:107], v[98:99]
	s_andn2_b64 exec, exec, s[6:7]
	s_cbranch_execnz .LBB15_217
; %bb.218:
	s_or_b64 exec, exec, s[6:7]
.LBB15_219:
	s_or_b64 exec, exec, s[0:1]
	v_and_b32_e32 v102, 7, v102
	v_cmp_ne_u32_e32 vcc, 0, v102
	s_and_saveexec_b64 s[2:3], vcc
	s_cbranch_execz .LBB15_223
; %bb.220:
	v_mov_b32_e32 v103, 0x80
	v_lshl_add_u32 v103, v101, 3, v103
	v_mov_b32_e32 v104, 0
	s_mov_b64 s[6:7], 0
.LBB15_221:                             ; =>This Inner Loop Header: Depth=1
	v_cmp_eq_u32_e32 vcc, 1, v101
	v_cndmask_b32_e32 v107, v35, v37, vcc
	v_cmp_eq_u32_e64 s[0:1], 2, v101
	v_cndmask_b32_e64 v107, v107, v39, s[0:1]
	v_cndmask_b32_e32 v108, v34, v36, vcc
	v_cmp_eq_u32_e32 vcc, 3, v101
	v_cndmask_b32_e32 v107, v107, v41, vcc
	v_cndmask_b32_e64 v108, v108, v38, s[0:1]
	v_cmp_eq_u32_e64 s[0:1], 4, v101
	v_cndmask_b32_e64 v107, v107, v43, s[0:1]
	v_cndmask_b32_e32 v108, v108, v40, vcc
	v_cmp_eq_u32_e32 vcc, 5, v101
	v_cndmask_b32_e32 v107, v107, v45, vcc
	v_cndmask_b32_e64 v108, v108, v42, s[0:1]
	;; [unrolled: 6-line block ×5, first 2 shown]
	v_cmp_eq_u32_e64 s[0:1], 12, v101
	ds_read_b64 v[105:106], v103
	v_cndmask_b32_e64 v107, v107, v59, s[0:1]
	v_cndmask_b32_e32 v108, v108, v56, vcc
	v_cmp_eq_u32_e32 vcc, 13, v101
	v_cndmask_b32_e32 v107, v107, v61, vcc
	v_cndmask_b32_e64 v108, v108, v58, s[0:1]
	v_cmp_eq_u32_e64 s[0:1], 14, v101
	v_cndmask_b32_e64 v107, v107, v63, s[0:1]
	v_cndmask_b32_e32 v109, v108, v60, vcc
	v_cmp_eq_u32_e32 vcc, 15, v101
	v_cndmask_b32_e32 v108, v107, v65, vcc
	v_cndmask_b32_e64 v107, v109, v62, s[0:1]
	v_cndmask_b32_e32 v107, v107, v64, vcc
	s_waitcnt lgkmcnt(0)
	v_fma_f64 v[98:99], v[107:108], v[105:106], v[98:99]
	v_add_u32_e32 v102, -1, v102
	v_cmp_eq_u32_e32 vcc, 0, v102
	s_or_b64 s[6:7], vcc, s[6:7]
	v_add_co_u32_e32 v101, vcc, 1, v101
	v_add_u32_e32 v103, 8, v103
	v_addc_co_u32_e32 v104, vcc, 0, v104, vcc
	s_andn2_b64 exec, exec, s[6:7]
	s_cbranch_execnz .LBB15_221
; %bb.222:
	s_or_b64 exec, exec, s[6:7]
.LBB15_223:
	s_or_b64 exec, exec, s[2:3]
.LBB15_224:
	s_or_b64 exec, exec, s[4:5]
	v_mov_b32_e32 v34, 0
	ds_read_b64 v[34:35], v34
	s_waitcnt lgkmcnt(0)
	v_mul_f64 v[34:35], v[98:99], v[34:35]
.LBB15_225:
	s_or_b64 exec, exec, s[30:31]
	s_branch .LBB15_379
.LBB15_226:
	v_cmp_eq_u32_e64 s[2:3], 0, v0
	s_waitcnt vmcnt(15)
	ds_write_b64 v100, v[4:5]
	s_waitcnt lgkmcnt(0)
	; wave barrier
	s_and_saveexec_b64 s[30:31], s[2:3]
	s_cbranch_execz .LBB15_232
; %bb.227:
	s_and_b64 vcc, exec, s[34:35]
	s_cbranch_vccz .LBB15_229
; %bb.228:
	v_cmp_eq_u32_e32 vcc, 1, v0
	s_waitcnt vmcnt(3)
	v_cndmask_b32_e32 v5, v3, v5, vcc
	v_cmp_eq_u32_e64 s[0:1], 2, v0
	v_cndmask_b32_e32 v4, v2, v4, vcc
	v_cndmask_b32_e64 v5, v5, v7, s[0:1]
	v_cmp_eq_u32_e64 s[4:5], 3, v0
	v_cndmask_b32_e64 v4, v4, v6, s[0:1]
	v_cndmask_b32_e64 v5, v5, v9, s[4:5]
	v_cmp_eq_u32_e64 s[6:7], 4, v0
	v_cndmask_b32_e64 v4, v4, v8, s[4:5]
	;; [unrolled: 3-line block ×10, first 2 shown]
	ds_read_b64 v[34:35], v100
	v_cndmask_b32_e64 v5, v5, v27, s[22:23]
	v_cmp_eq_u32_e64 s[24:25], 13, v0
	v_cndmask_b32_e64 v4, v4, v26, s[22:23]
	s_waitcnt vmcnt(2)
	v_cndmask_b32_e64 v5, v5, v29, s[24:25]
	v_cmp_eq_u32_e64 s[26:27], 14, v0
	v_cndmask_b32_e64 v4, v4, v28, s[24:25]
	s_waitcnt vmcnt(1)
	;; [unrolled: 4-line block ×3, first 2 shown]
	v_cndmask_b32_e64 v5, v5, v33, s[28:29]
	v_cndmask_b32_e64 v4, v4, v32, s[28:29]
	s_waitcnt lgkmcnt(0)
	v_mul_f64 v[4:5], v[4:5], v[34:35]
	s_cbranch_execz .LBB15_230
	s_branch .LBB15_231
.LBB15_229:
                                        ; implicit-def: $vgpr4_vgpr5
.LBB15_230:
	ds_read_b64 v[4:5], v100
.LBB15_231:
	v_mov_b32_e32 v34, 0
	ds_read_b64 v[34:35], v34 offset:8
	s_waitcnt lgkmcnt(0)
	v_mul_f64 v[4:5], v[4:5], v[34:35]
.LBB15_232:
	s_or_b64 exec, exec, s[30:31]
	v_cndmask_b32_e64 v34, 0, 1, s[34:35]
	v_cmp_gt_u32_e32 vcc, 2, v0
	v_cmp_ne_u32_e64 s[0:1], 1, v34
	s_waitcnt vmcnt(14)
	ds_write_b64 v100, v[6:7]
	s_waitcnt lgkmcnt(0)
	; wave barrier
	s_and_saveexec_b64 s[34:35], vcc
	s_cbranch_execz .LBB15_238
; %bb.233:
	s_and_b64 vcc, exec, s[0:1]
	s_cbranch_vccnz .LBB15_235
; %bb.234:
	v_cmp_eq_u32_e32 vcc, 1, v0
	s_waitcnt vmcnt(3)
	v_cndmask_b32_e32 v34, v3, v5, vcc
	v_cmp_eq_u32_e64 s[4:5], 2, v0
	v_cndmask_b32_e64 v7, v34, v7, s[4:5]
	v_cndmask_b32_e32 v34, v2, v4, vcc
	v_cmp_eq_u32_e64 s[6:7], 3, v0
	v_cndmask_b32_e64 v6, v34, v6, s[4:5]
	v_cndmask_b32_e64 v7, v7, v9, s[6:7]
	v_cmp_eq_u32_e64 s[8:9], 4, v0
	v_cndmask_b32_e64 v6, v6, v8, s[6:7]
	v_cndmask_b32_e64 v7, v7, v11, s[8:9]
	;; [unrolled: 3-line block ×9, first 2 shown]
	v_cmp_eq_u32_e64 s[24:25], 12, v0
	v_cndmask_b32_e64 v6, v6, v24, s[22:23]
	ds_read_b64 v[34:35], v100
	v_cndmask_b32_e64 v7, v7, v27, s[24:25]
	v_cmp_eq_u32_e64 s[26:27], 13, v0
	v_cndmask_b32_e64 v6, v6, v26, s[24:25]
	s_waitcnt vmcnt(2)
	v_cndmask_b32_e64 v7, v7, v29, s[26:27]
	v_cmp_eq_u32_e64 s[28:29], 14, v0
	v_cndmask_b32_e64 v6, v6, v28, s[26:27]
	s_waitcnt vmcnt(1)
	;; [unrolled: 4-line block ×3, first 2 shown]
	v_cndmask_b32_e64 v7, v7, v33, s[30:31]
	v_cndmask_b32_e64 v6, v6, v32, s[30:31]
	s_waitcnt lgkmcnt(0)
	v_mul_f64 v[6:7], v[6:7], v[34:35]
	s_cbranch_execz .LBB15_236
	s_branch .LBB15_237
.LBB15_235:
                                        ; implicit-def: $vgpr6_vgpr7
.LBB15_236:
	ds_read_b64 v[6:7], v100
.LBB15_237:
	v_mov_b32_e32 v34, 0
	ds_read2_b64 v[34:37], v34 offset0:2 offset1:17
	s_waitcnt lgkmcnt(0)
	v_fma_f64 v[36:37], v[4:5], v[36:37], v[6:7]
	v_cndmask_b32_e64 v7, v7, v37, s[2:3]
	v_cndmask_b32_e64 v6, v6, v36, s[2:3]
	v_mul_f64 v[6:7], v[6:7], v[34:35]
.LBB15_238:
	s_or_b64 exec, exec, s[34:35]
	v_add_u32_e32 v38, 1, v0
	v_cmp_gt_u32_e64 s[4:5], 3, v0
	s_waitcnt vmcnt(13)
	ds_write_b64 v100, v[8:9]
	s_waitcnt lgkmcnt(0)
	; wave barrier
	s_and_saveexec_b64 s[36:37], s[4:5]
	s_cbranch_execz .LBB15_246
; %bb.239:
	s_and_b64 vcc, exec, s[0:1]
	s_cbranch_vccnz .LBB15_241
; %bb.240:
	v_cmp_eq_u32_e32 vcc, 1, v0
	s_waitcnt vmcnt(3)
	v_cndmask_b32_e32 v34, v3, v5, vcc
	v_cmp_eq_u32_e64 s[6:7], 2, v0
	v_cndmask_b32_e64 v34, v34, v7, s[6:7]
	v_cmp_eq_u32_e64 s[8:9], 3, v0
	v_cndmask_b32_e64 v34, v34, v9, s[8:9]
	;; [unrolled: 2-line block ×11, first 2 shown]
	v_cmp_eq_u32_e64 s[28:29], 13, v0
	s_waitcnt vmcnt(2)
	v_cndmask_b32_e64 v34, v34, v29, s[28:29]
	v_cmp_eq_u32_e64 s[30:31], 14, v0
	s_waitcnt vmcnt(1)
	v_cndmask_b32_e64 v34, v34, v31, s[30:31]
	;; [unrolled: 3-line block ×3, first 2 shown]
	v_cndmask_b32_e32 v34, v2, v4, vcc
	v_cndmask_b32_e64 v34, v34, v6, s[6:7]
	v_cndmask_b32_e64 v34, v34, v8, s[8:9]
	;; [unrolled: 1-line block ×10, first 2 shown]
	ds_read_b64 v[36:37], v100
	v_cndmask_b32_e64 v34, v34, v26, s[26:27]
	v_cndmask_b32_e64 v34, v34, v28, s[28:29]
	;; [unrolled: 1-line block ×4, first 2 shown]
	s_waitcnt lgkmcnt(0)
	v_mul_f64 v[34:35], v[34:35], v[36:37]
	s_cbranch_execz .LBB15_242
	s_branch .LBB15_243
.LBB15_241:
                                        ; implicit-def: $vgpr34_vgpr35
.LBB15_242:
	ds_read_b64 v[34:35], v100
.LBB15_243:
	v_cmp_ne_u32_e32 vcc, 2, v0
	s_and_saveexec_b64 s[38:39], vcc
	s_cbranch_execz .LBB15_245
; %bb.244:
	v_cmp_eq_u32_e32 vcc, 1, v38
	s_waitcnt vmcnt(3)
	v_cndmask_b32_e32 v36, v3, v5, vcc
	v_cmp_eq_u32_e64 s[6:7], 2, v38
	v_cndmask_b32_e64 v36, v36, v7, s[6:7]
	v_cmp_eq_u32_e64 s[8:9], 3, v38
	v_cndmask_b32_e64 v9, v36, v9, s[8:9]
	v_cndmask_b32_e32 v36, v2, v4, vcc
	v_cndmask_b32_e64 v36, v36, v6, s[6:7]
	v_cmp_eq_u32_e64 s[10:11], 4, v38
	v_cndmask_b32_e64 v8, v36, v8, s[8:9]
	v_cndmask_b32_e64 v9, v9, v11, s[10:11]
	v_cmp_eq_u32_e64 s[12:13], 5, v38
	v_cndmask_b32_e64 v8, v8, v10, s[10:11]
	;; [unrolled: 3-line block ×9, first 2 shown]
	ds_read_b64 v[36:37], v100 offset:8
	v_cndmask_b32_e64 v9, v9, v27, s[26:27]
	v_cmp_eq_u32_e64 s[28:29], 13, v38
	v_cndmask_b32_e64 v8, v8, v26, s[26:27]
	s_waitcnt vmcnt(2)
	v_cndmask_b32_e64 v9, v9, v29, s[28:29]
	v_cmp_eq_u32_e64 s[30:31], 14, v38
	v_cndmask_b32_e64 v8, v8, v28, s[28:29]
	s_waitcnt vmcnt(1)
	;; [unrolled: 4-line block ×3, first 2 shown]
	v_cndmask_b32_e64 v9, v9, v33, s[34:35]
	v_cndmask_b32_e64 v8, v8, v32, s[34:35]
	v_mov_b32_e32 v39, 0
	ds_read_b64 v[39:40], v39 offset:144
	s_waitcnt lgkmcnt(1)
	v_fma_f64 v[8:9], v[8:9], v[36:37], v[34:35]
	s_waitcnt lgkmcnt(0)
	v_fma_f64 v[34:35], v[6:7], v[39:40], v[8:9]
	v_cndmask_b32_e64 v35, v9, v35, s[2:3]
	v_cndmask_b32_e64 v34, v8, v34, s[2:3]
.LBB15_245:
	s_or_b64 exec, exec, s[38:39]
	v_mov_b32_e32 v8, 0
	ds_read_b64 v[8:9], v8 offset:24
	s_waitcnt lgkmcnt(0)
	v_mul_f64 v[8:9], v[34:35], v[8:9]
.LBB15_246:
	s_or_b64 exec, exec, s[36:37]
	v_cmp_gt_u32_e32 vcc, 4, v0
	s_waitcnt vmcnt(12)
	ds_write_b64 v100, v[10:11]
	s_waitcnt lgkmcnt(0)
	; wave barrier
	s_and_saveexec_b64 s[36:37], vcc
	s_cbranch_execz .LBB15_256
; %bb.247:
	s_and_b64 vcc, exec, s[0:1]
	s_cbranch_vccnz .LBB15_249
; %bb.248:
	v_cmp_eq_u32_e32 vcc, 1, v0
	s_waitcnt vmcnt(3)
	v_cndmask_b32_e32 v34, v3, v5, vcc
	v_cmp_eq_u32_e64 s[6:7], 2, v0
	v_cndmask_b32_e64 v34, v34, v7, s[6:7]
	v_cmp_eq_u32_e64 s[8:9], 3, v0
	v_cndmask_b32_e64 v34, v34, v9, s[8:9]
	;; [unrolled: 2-line block ×11, first 2 shown]
	v_cmp_eq_u32_e64 s[28:29], 13, v0
	s_waitcnt vmcnt(2)
	v_cndmask_b32_e64 v34, v34, v29, s[28:29]
	v_cmp_eq_u32_e64 s[30:31], 14, v0
	s_waitcnt vmcnt(1)
	v_cndmask_b32_e64 v34, v34, v31, s[30:31]
	v_cmp_eq_u32_e64 s[34:35], 15, v0
	s_waitcnt vmcnt(0)
	v_cndmask_b32_e64 v35, v34, v33, s[34:35]
	v_cndmask_b32_e32 v34, v2, v4, vcc
	v_cndmask_b32_e64 v34, v34, v6, s[6:7]
	v_cndmask_b32_e64 v34, v34, v8, s[8:9]
	;; [unrolled: 1-line block ×10, first 2 shown]
	ds_read_b64 v[36:37], v100
	v_cndmask_b32_e64 v34, v34, v26, s[26:27]
	v_cndmask_b32_e64 v34, v34, v28, s[28:29]
	v_cndmask_b32_e64 v34, v34, v30, s[30:31]
	v_cndmask_b32_e64 v34, v34, v32, s[34:35]
	s_waitcnt lgkmcnt(0)
	v_mul_f64 v[34:35], v[34:35], v[36:37]
	s_cbranch_execz .LBB15_250
	s_branch .LBB15_251
.LBB15_249:
                                        ; implicit-def: $vgpr34_vgpr35
.LBB15_250:
	ds_read_b64 v[34:35], v100
.LBB15_251:
	v_cmp_ne_u32_e32 vcc, 3, v0
	s_and_saveexec_b64 s[8:9], vcc
	s_cbranch_execz .LBB15_255
; %bb.252:
	v_mov_b32_e32 v36, 0x88
	v_lshl_add_u32 v39, v0, 3, v36
	v_mov_b32_e32 v37, v1
	s_mov_b64 s[10:11], 0
	v_mov_b32_e32 v36, v0
.LBB15_253:                             ; =>This Inner Loop Header: Depth=1
	v_add_co_u32_e32 v36, vcc, 1, v36
	v_addc_co_u32_e32 v37, vcc, 0, v37, vcc
	v_cmp_eq_u32_e32 vcc, 1, v36
	s_waitcnt vmcnt(3)
	v_cndmask_b32_e32 v42, v3, v5, vcc
	v_cmp_eq_u32_e64 s[6:7], 2, v36
	v_cndmask_b32_e64 v42, v42, v7, s[6:7]
	v_cndmask_b32_e32 v43, v2, v4, vcc
	v_cmp_eq_u32_e32 vcc, 3, v36
	v_cndmask_b32_e32 v42, v42, v9, vcc
	v_cndmask_b32_e64 v43, v43, v6, s[6:7]
	v_cmp_eq_u32_e64 s[6:7], 4, v36
	v_cndmask_b32_e64 v42, v42, v11, s[6:7]
	v_cndmask_b32_e32 v43, v43, v8, vcc
	v_cmp_eq_u32_e32 vcc, 5, v36
	v_cndmask_b32_e32 v42, v42, v13, vcc
	v_cndmask_b32_e64 v43, v43, v10, s[6:7]
	;; [unrolled: 6-line block ×5, first 2 shown]
	v_cmp_eq_u32_e64 s[6:7], 12, v36
	ds_read_b64 v[40:41], v39
	v_cndmask_b32_e64 v42, v42, v27, s[6:7]
	v_cndmask_b32_e32 v43, v43, v24, vcc
	v_cmp_eq_u32_e32 vcc, 13, v36
	s_waitcnt vmcnt(2)
	v_cndmask_b32_e32 v42, v42, v29, vcc
	v_cndmask_b32_e64 v43, v43, v26, s[6:7]
	v_cmp_eq_u32_e64 s[6:7], 14, v36
	s_waitcnt vmcnt(1)
	v_cndmask_b32_e64 v42, v42, v31, s[6:7]
	v_cndmask_b32_e32 v44, v43, v28, vcc
	v_cmp_eq_u32_e32 vcc, 15, v36
	s_waitcnt vmcnt(0)
	v_cndmask_b32_e32 v43, v42, v33, vcc
	v_cndmask_b32_e64 v42, v44, v30, s[6:7]
	v_cndmask_b32_e32 v42, v42, v32, vcc
	s_waitcnt lgkmcnt(0)
	v_fma_f64 v[34:35], v[42:43], v[40:41], v[34:35]
	v_cmp_lt_u32_e32 vcc, 2, v36
	s_or_b64 s[10:11], vcc, s[10:11]
	v_add_u32_e32 v39, 8, v39
	s_andn2_b64 exec, exec, s[10:11]
	s_cbranch_execnz .LBB15_253
; %bb.254:
	s_or_b64 exec, exec, s[10:11]
.LBB15_255:
	s_or_b64 exec, exec, s[8:9]
	v_mov_b32_e32 v10, 0
	ds_read_b64 v[10:11], v10 offset:32
	s_waitcnt lgkmcnt(0)
	v_mul_f64 v[10:11], v[34:35], v[10:11]
.LBB15_256:
	s_or_b64 exec, exec, s[36:37]
	v_cmp_gt_u32_e64 s[6:7], 5, v0
	s_waitcnt vmcnt(11)
	ds_write_b64 v100, v[12:13]
	s_waitcnt lgkmcnt(0)
	; wave barrier
	s_and_saveexec_b64 s[38:39], s[6:7]
	s_cbranch_execz .LBB15_266
; %bb.257:
	s_and_b64 vcc, exec, s[0:1]
	s_cbranch_vccnz .LBB15_259
; %bb.258:
	v_cmp_eq_u32_e32 vcc, 1, v0
	s_waitcnt vmcnt(3)
	v_cndmask_b32_e32 v34, v3, v5, vcc
	v_cmp_eq_u32_e64 s[8:9], 2, v0
	v_cndmask_b32_e64 v34, v34, v7, s[8:9]
	v_cmp_eq_u32_e64 s[10:11], 3, v0
	v_cndmask_b32_e64 v34, v34, v9, s[10:11]
	;; [unrolled: 2-line block ×11, first 2 shown]
	v_cmp_eq_u32_e64 s[30:31], 13, v0
	s_waitcnt vmcnt(2)
	v_cndmask_b32_e64 v34, v34, v29, s[30:31]
	v_cmp_eq_u32_e64 s[34:35], 14, v0
	s_waitcnt vmcnt(1)
	v_cndmask_b32_e64 v34, v34, v31, s[34:35]
	;; [unrolled: 3-line block ×3, first 2 shown]
	v_cndmask_b32_e32 v34, v2, v4, vcc
	v_cndmask_b32_e64 v34, v34, v6, s[8:9]
	v_cndmask_b32_e64 v34, v34, v8, s[10:11]
	;; [unrolled: 1-line block ×10, first 2 shown]
	ds_read_b64 v[36:37], v100
	v_cndmask_b32_e64 v34, v34, v26, s[28:29]
	v_cndmask_b32_e64 v34, v34, v28, s[30:31]
	v_cndmask_b32_e64 v34, v34, v30, s[34:35]
	v_cndmask_b32_e64 v34, v34, v32, s[36:37]
	s_waitcnt lgkmcnt(0)
	v_mul_f64 v[34:35], v[34:35], v[36:37]
	s_cbranch_execz .LBB15_260
	s_branch .LBB15_261
.LBB15_259:
                                        ; implicit-def: $vgpr34_vgpr35
.LBB15_260:
	ds_read_b64 v[34:35], v100
.LBB15_261:
	v_cmp_ne_u32_e32 vcc, 4, v0
	s_and_saveexec_b64 s[10:11], vcc
	s_cbranch_execz .LBB15_265
; %bb.262:
	v_mov_b32_e32 v36, 0x88
	v_lshl_add_u32 v39, v0, 3, v36
	v_mov_b32_e32 v37, v1
	s_mov_b64 s[12:13], 0
	v_mov_b32_e32 v36, v0
.LBB15_263:                             ; =>This Inner Loop Header: Depth=1
	v_add_co_u32_e32 v36, vcc, 1, v36
	v_addc_co_u32_e32 v37, vcc, 0, v37, vcc
	v_cmp_eq_u32_e32 vcc, 1, v36
	s_waitcnt vmcnt(3)
	v_cndmask_b32_e32 v42, v3, v5, vcc
	v_cmp_eq_u32_e64 s[8:9], 2, v36
	v_cndmask_b32_e64 v42, v42, v7, s[8:9]
	v_cndmask_b32_e32 v43, v2, v4, vcc
	v_cmp_eq_u32_e32 vcc, 3, v36
	v_cndmask_b32_e32 v42, v42, v9, vcc
	v_cndmask_b32_e64 v43, v43, v6, s[8:9]
	v_cmp_eq_u32_e64 s[8:9], 4, v36
	v_cndmask_b32_e64 v42, v42, v11, s[8:9]
	v_cndmask_b32_e32 v43, v43, v8, vcc
	v_cmp_eq_u32_e32 vcc, 5, v36
	v_cndmask_b32_e32 v42, v42, v13, vcc
	v_cndmask_b32_e64 v43, v43, v10, s[8:9]
	;; [unrolled: 6-line block ×5, first 2 shown]
	v_cmp_eq_u32_e64 s[8:9], 12, v36
	ds_read_b64 v[40:41], v39
	v_cndmask_b32_e64 v42, v42, v27, s[8:9]
	v_cndmask_b32_e32 v43, v43, v24, vcc
	v_cmp_eq_u32_e32 vcc, 13, v36
	s_waitcnt vmcnt(2)
	v_cndmask_b32_e32 v42, v42, v29, vcc
	v_cndmask_b32_e64 v43, v43, v26, s[8:9]
	v_cmp_eq_u32_e64 s[8:9], 14, v36
	s_waitcnt vmcnt(1)
	v_cndmask_b32_e64 v42, v42, v31, s[8:9]
	v_cndmask_b32_e32 v44, v43, v28, vcc
	v_cmp_eq_u32_e32 vcc, 15, v36
	s_waitcnt vmcnt(0)
	v_cndmask_b32_e32 v43, v42, v33, vcc
	v_cndmask_b32_e64 v42, v44, v30, s[8:9]
	v_cndmask_b32_e32 v42, v42, v32, vcc
	s_waitcnt lgkmcnt(0)
	v_fma_f64 v[34:35], v[42:43], v[40:41], v[34:35]
	v_cmp_lt_u32_e32 vcc, 3, v36
	s_or_b64 s[12:13], vcc, s[12:13]
	v_add_u32_e32 v39, 8, v39
	s_andn2_b64 exec, exec, s[12:13]
	s_cbranch_execnz .LBB15_263
; %bb.264:
	s_or_b64 exec, exec, s[12:13]
.LBB15_265:
	s_or_b64 exec, exec, s[10:11]
	v_mov_b32_e32 v12, 0
	ds_read_b64 v[12:13], v12 offset:40
	s_waitcnt lgkmcnt(0)
	v_mul_f64 v[12:13], v[34:35], v[12:13]
.LBB15_266:
	s_or_b64 exec, exec, s[38:39]
	v_cmp_gt_u32_e32 vcc, 6, v0
	s_waitcnt vmcnt(10)
	ds_write_b64 v100, v[14:15]
	s_waitcnt lgkmcnt(0)
	; wave barrier
	s_and_saveexec_b64 s[38:39], vcc
	s_cbranch_execz .LBB15_276
; %bb.267:
	s_and_b64 vcc, exec, s[0:1]
	s_cbranch_vccnz .LBB15_269
; %bb.268:
	v_cmp_eq_u32_e32 vcc, 1, v0
	s_waitcnt vmcnt(3)
	v_cndmask_b32_e32 v34, v3, v5, vcc
	v_cmp_eq_u32_e64 s[8:9], 2, v0
	v_cndmask_b32_e64 v34, v34, v7, s[8:9]
	v_cmp_eq_u32_e64 s[10:11], 3, v0
	v_cndmask_b32_e64 v34, v34, v9, s[10:11]
	v_cmp_eq_u32_e64 s[12:13], 4, v0
	v_cndmask_b32_e64 v34, v34, v11, s[12:13]
	v_cmp_eq_u32_e64 s[14:15], 5, v0
	v_cndmask_b32_e64 v34, v34, v13, s[14:15]
	v_cmp_eq_u32_e64 s[16:17], 6, v0
	v_cndmask_b32_e64 v34, v34, v15, s[16:17]
	v_cmp_eq_u32_e64 s[18:19], 7, v0
	v_cndmask_b32_e64 v34, v34, v17, s[18:19]
	v_cmp_eq_u32_e64 s[20:21], 8, v0
	v_cndmask_b32_e64 v34, v34, v19, s[20:21]
	v_cmp_eq_u32_e64 s[22:23], 9, v0
	v_cndmask_b32_e64 v34, v34, v21, s[22:23]
	v_cmp_eq_u32_e64 s[24:25], 10, v0
	v_cndmask_b32_e64 v34, v34, v23, s[24:25]
	v_cmp_eq_u32_e64 s[26:27], 11, v0
	v_cndmask_b32_e64 v34, v34, v25, s[26:27]
	v_cmp_eq_u32_e64 s[28:29], 12, v0
	v_cndmask_b32_e64 v34, v34, v27, s[28:29]
	v_cmp_eq_u32_e64 s[30:31], 13, v0
	s_waitcnt vmcnt(2)
	v_cndmask_b32_e64 v34, v34, v29, s[30:31]
	v_cmp_eq_u32_e64 s[34:35], 14, v0
	s_waitcnt vmcnt(1)
	v_cndmask_b32_e64 v34, v34, v31, s[34:35]
	;; [unrolled: 3-line block ×3, first 2 shown]
	v_cndmask_b32_e32 v34, v2, v4, vcc
	v_cndmask_b32_e64 v34, v34, v6, s[8:9]
	v_cndmask_b32_e64 v34, v34, v8, s[10:11]
	;; [unrolled: 1-line block ×10, first 2 shown]
	ds_read_b64 v[36:37], v100
	v_cndmask_b32_e64 v34, v34, v26, s[28:29]
	v_cndmask_b32_e64 v34, v34, v28, s[30:31]
	;; [unrolled: 1-line block ×4, first 2 shown]
	s_waitcnt lgkmcnt(0)
	v_mul_f64 v[34:35], v[34:35], v[36:37]
	s_cbranch_execz .LBB15_270
	s_branch .LBB15_271
.LBB15_269:
                                        ; implicit-def: $vgpr34_vgpr35
.LBB15_270:
	ds_read_b64 v[34:35], v100
.LBB15_271:
	v_cmp_ne_u32_e32 vcc, 5, v0
	s_and_saveexec_b64 s[10:11], vcc
	s_cbranch_execz .LBB15_275
; %bb.272:
	v_mov_b32_e32 v36, 0x88
	v_lshl_add_u32 v39, v0, 3, v36
	v_mov_b32_e32 v37, v1
	s_mov_b64 s[12:13], 0
	v_mov_b32_e32 v36, v0
.LBB15_273:                             ; =>This Inner Loop Header: Depth=1
	v_add_co_u32_e32 v36, vcc, 1, v36
	v_addc_co_u32_e32 v37, vcc, 0, v37, vcc
	v_cmp_eq_u32_e32 vcc, 1, v36
	s_waitcnt vmcnt(3)
	v_cndmask_b32_e32 v42, v3, v5, vcc
	v_cmp_eq_u32_e64 s[8:9], 2, v36
	v_cndmask_b32_e64 v42, v42, v7, s[8:9]
	v_cndmask_b32_e32 v43, v2, v4, vcc
	v_cmp_eq_u32_e32 vcc, 3, v36
	v_cndmask_b32_e32 v42, v42, v9, vcc
	v_cndmask_b32_e64 v43, v43, v6, s[8:9]
	v_cmp_eq_u32_e64 s[8:9], 4, v36
	v_cndmask_b32_e64 v42, v42, v11, s[8:9]
	v_cndmask_b32_e32 v43, v43, v8, vcc
	v_cmp_eq_u32_e32 vcc, 5, v36
	v_cndmask_b32_e32 v42, v42, v13, vcc
	v_cndmask_b32_e64 v43, v43, v10, s[8:9]
	;; [unrolled: 6-line block ×5, first 2 shown]
	v_cmp_eq_u32_e64 s[8:9], 12, v36
	ds_read_b64 v[40:41], v39
	v_cndmask_b32_e64 v42, v42, v27, s[8:9]
	v_cndmask_b32_e32 v43, v43, v24, vcc
	v_cmp_eq_u32_e32 vcc, 13, v36
	s_waitcnt vmcnt(2)
	v_cndmask_b32_e32 v42, v42, v29, vcc
	v_cndmask_b32_e64 v43, v43, v26, s[8:9]
	v_cmp_eq_u32_e64 s[8:9], 14, v36
	s_waitcnt vmcnt(1)
	v_cndmask_b32_e64 v42, v42, v31, s[8:9]
	v_cndmask_b32_e32 v44, v43, v28, vcc
	v_cmp_eq_u32_e32 vcc, 15, v36
	s_waitcnt vmcnt(0)
	v_cndmask_b32_e32 v43, v42, v33, vcc
	v_cndmask_b32_e64 v42, v44, v30, s[8:9]
	v_cndmask_b32_e32 v42, v42, v32, vcc
	s_waitcnt lgkmcnt(0)
	v_fma_f64 v[34:35], v[42:43], v[40:41], v[34:35]
	v_cmp_lt_u32_e32 vcc, 4, v36
	s_or_b64 s[12:13], vcc, s[12:13]
	v_add_u32_e32 v39, 8, v39
	s_andn2_b64 exec, exec, s[12:13]
	s_cbranch_execnz .LBB15_273
; %bb.274:
	s_or_b64 exec, exec, s[12:13]
.LBB15_275:
	s_or_b64 exec, exec, s[10:11]
	v_mov_b32_e32 v14, 0
	ds_read_b64 v[14:15], v14 offset:48
	s_waitcnt lgkmcnt(0)
	v_mul_f64 v[14:15], v[34:35], v[14:15]
.LBB15_276:
	s_or_b64 exec, exec, s[38:39]
	v_cmp_gt_u32_e64 s[8:9], 7, v0
	s_waitcnt vmcnt(9)
	ds_write_b64 v100, v[16:17]
	s_waitcnt lgkmcnt(0)
	; wave barrier
	s_and_saveexec_b64 s[40:41], s[8:9]
	s_cbranch_execz .LBB15_286
; %bb.277:
	s_and_b64 vcc, exec, s[0:1]
	s_cbranch_vccnz .LBB15_279
; %bb.278:
	v_cmp_eq_u32_e32 vcc, 1, v0
	s_waitcnt vmcnt(3)
	v_cndmask_b32_e32 v34, v3, v5, vcc
	v_cmp_eq_u32_e64 s[10:11], 2, v0
	v_cndmask_b32_e64 v34, v34, v7, s[10:11]
	v_cmp_eq_u32_e64 s[12:13], 3, v0
	v_cndmask_b32_e64 v34, v34, v9, s[12:13]
	;; [unrolled: 2-line block ×11, first 2 shown]
	v_cmp_eq_u32_e64 s[34:35], 13, v0
	s_waitcnt vmcnt(2)
	v_cndmask_b32_e64 v34, v34, v29, s[34:35]
	v_cmp_eq_u32_e64 s[36:37], 14, v0
	s_waitcnt vmcnt(1)
	v_cndmask_b32_e64 v34, v34, v31, s[36:37]
	;; [unrolled: 3-line block ×3, first 2 shown]
	v_cndmask_b32_e32 v34, v2, v4, vcc
	v_cndmask_b32_e64 v34, v34, v6, s[10:11]
	v_cndmask_b32_e64 v34, v34, v8, s[12:13]
	;; [unrolled: 1-line block ×10, first 2 shown]
	ds_read_b64 v[36:37], v100
	v_cndmask_b32_e64 v34, v34, v26, s[30:31]
	v_cndmask_b32_e64 v34, v34, v28, s[34:35]
	;; [unrolled: 1-line block ×4, first 2 shown]
	s_waitcnt lgkmcnt(0)
	v_mul_f64 v[34:35], v[34:35], v[36:37]
	s_cbranch_execz .LBB15_280
	s_branch .LBB15_281
.LBB15_279:
                                        ; implicit-def: $vgpr34_vgpr35
.LBB15_280:
	ds_read_b64 v[34:35], v100
.LBB15_281:
	v_cmp_ne_u32_e32 vcc, 6, v0
	s_and_saveexec_b64 s[12:13], vcc
	s_cbranch_execz .LBB15_285
; %bb.282:
	v_mov_b32_e32 v36, 0x88
	v_lshl_add_u32 v39, v0, 3, v36
	v_mov_b32_e32 v37, v1
	s_mov_b64 s[14:15], 0
	v_mov_b32_e32 v36, v0
.LBB15_283:                             ; =>This Inner Loop Header: Depth=1
	v_add_co_u32_e32 v36, vcc, 1, v36
	v_addc_co_u32_e32 v37, vcc, 0, v37, vcc
	v_cmp_eq_u32_e32 vcc, 1, v36
	s_waitcnt vmcnt(3)
	v_cndmask_b32_e32 v42, v3, v5, vcc
	v_cmp_eq_u32_e64 s[10:11], 2, v36
	v_cndmask_b32_e64 v42, v42, v7, s[10:11]
	v_cndmask_b32_e32 v43, v2, v4, vcc
	v_cmp_eq_u32_e32 vcc, 3, v36
	v_cndmask_b32_e32 v42, v42, v9, vcc
	v_cndmask_b32_e64 v43, v43, v6, s[10:11]
	v_cmp_eq_u32_e64 s[10:11], 4, v36
	v_cndmask_b32_e64 v42, v42, v11, s[10:11]
	v_cndmask_b32_e32 v43, v43, v8, vcc
	v_cmp_eq_u32_e32 vcc, 5, v36
	v_cndmask_b32_e32 v42, v42, v13, vcc
	v_cndmask_b32_e64 v43, v43, v10, s[10:11]
	;; [unrolled: 6-line block ×5, first 2 shown]
	v_cmp_eq_u32_e64 s[10:11], 12, v36
	ds_read_b64 v[40:41], v39
	v_cndmask_b32_e64 v42, v42, v27, s[10:11]
	v_cndmask_b32_e32 v43, v43, v24, vcc
	v_cmp_eq_u32_e32 vcc, 13, v36
	s_waitcnt vmcnt(2)
	v_cndmask_b32_e32 v42, v42, v29, vcc
	v_cndmask_b32_e64 v43, v43, v26, s[10:11]
	v_cmp_eq_u32_e64 s[10:11], 14, v36
	s_waitcnt vmcnt(1)
	v_cndmask_b32_e64 v42, v42, v31, s[10:11]
	v_cndmask_b32_e32 v44, v43, v28, vcc
	v_cmp_eq_u32_e32 vcc, 15, v36
	s_waitcnt vmcnt(0)
	v_cndmask_b32_e32 v43, v42, v33, vcc
	v_cndmask_b32_e64 v42, v44, v30, s[10:11]
	v_cndmask_b32_e32 v42, v42, v32, vcc
	s_waitcnt lgkmcnt(0)
	v_fma_f64 v[34:35], v[42:43], v[40:41], v[34:35]
	v_cmp_lt_u32_e32 vcc, 5, v36
	s_or_b64 s[14:15], vcc, s[14:15]
	v_add_u32_e32 v39, 8, v39
	s_andn2_b64 exec, exec, s[14:15]
	s_cbranch_execnz .LBB15_283
; %bb.284:
	s_or_b64 exec, exec, s[14:15]
.LBB15_285:
	s_or_b64 exec, exec, s[12:13]
	v_mov_b32_e32 v16, 0
	ds_read_b64 v[16:17], v16 offset:56
	s_waitcnt lgkmcnt(0)
	v_mul_f64 v[16:17], v[34:35], v[16:17]
.LBB15_286:
	s_or_b64 exec, exec, s[40:41]
	v_cmp_gt_u32_e32 vcc, 8, v0
	s_waitcnt vmcnt(8)
	ds_write_b64 v100, v[18:19]
	s_waitcnt lgkmcnt(0)
	; wave barrier
	s_and_saveexec_b64 s[40:41], vcc
	s_cbranch_execz .LBB15_296
; %bb.287:
	s_and_b64 vcc, exec, s[0:1]
	s_cbranch_vccnz .LBB15_289
; %bb.288:
	v_cmp_eq_u32_e32 vcc, 1, v0
	s_waitcnt vmcnt(3)
	v_cndmask_b32_e32 v34, v3, v5, vcc
	v_cmp_eq_u32_e64 s[10:11], 2, v0
	v_cndmask_b32_e64 v34, v34, v7, s[10:11]
	v_cmp_eq_u32_e64 s[12:13], 3, v0
	v_cndmask_b32_e64 v34, v34, v9, s[12:13]
	;; [unrolled: 2-line block ×11, first 2 shown]
	v_cmp_eq_u32_e64 s[34:35], 13, v0
	s_waitcnt vmcnt(2)
	v_cndmask_b32_e64 v34, v34, v29, s[34:35]
	v_cmp_eq_u32_e64 s[36:37], 14, v0
	s_waitcnt vmcnt(1)
	v_cndmask_b32_e64 v34, v34, v31, s[36:37]
	;; [unrolled: 3-line block ×3, first 2 shown]
	v_cndmask_b32_e32 v34, v2, v4, vcc
	v_cndmask_b32_e64 v34, v34, v6, s[10:11]
	v_cndmask_b32_e64 v34, v34, v8, s[12:13]
	;; [unrolled: 1-line block ×10, first 2 shown]
	ds_read_b64 v[36:37], v100
	v_cndmask_b32_e64 v34, v34, v26, s[30:31]
	v_cndmask_b32_e64 v34, v34, v28, s[34:35]
	;; [unrolled: 1-line block ×4, first 2 shown]
	s_waitcnt lgkmcnt(0)
	v_mul_f64 v[34:35], v[34:35], v[36:37]
	s_cbranch_execz .LBB15_290
	s_branch .LBB15_291
.LBB15_289:
                                        ; implicit-def: $vgpr34_vgpr35
.LBB15_290:
	ds_read_b64 v[34:35], v100
.LBB15_291:
	v_cmp_ne_u32_e32 vcc, 7, v0
	s_and_saveexec_b64 s[12:13], vcc
	s_cbranch_execz .LBB15_295
; %bb.292:
	v_mov_b32_e32 v36, 0x88
	v_lshl_add_u32 v39, v0, 3, v36
	v_mov_b32_e32 v37, v1
	s_mov_b64 s[14:15], 0
	v_mov_b32_e32 v36, v0
.LBB15_293:                             ; =>This Inner Loop Header: Depth=1
	v_add_co_u32_e32 v36, vcc, 1, v36
	v_addc_co_u32_e32 v37, vcc, 0, v37, vcc
	v_cmp_eq_u32_e32 vcc, 1, v36
	s_waitcnt vmcnt(3)
	v_cndmask_b32_e32 v42, v3, v5, vcc
	v_cmp_eq_u32_e64 s[10:11], 2, v36
	v_cndmask_b32_e64 v42, v42, v7, s[10:11]
	v_cndmask_b32_e32 v43, v2, v4, vcc
	v_cmp_eq_u32_e32 vcc, 3, v36
	v_cndmask_b32_e32 v42, v42, v9, vcc
	v_cndmask_b32_e64 v43, v43, v6, s[10:11]
	v_cmp_eq_u32_e64 s[10:11], 4, v36
	v_cndmask_b32_e64 v42, v42, v11, s[10:11]
	v_cndmask_b32_e32 v43, v43, v8, vcc
	v_cmp_eq_u32_e32 vcc, 5, v36
	v_cndmask_b32_e32 v42, v42, v13, vcc
	v_cndmask_b32_e64 v43, v43, v10, s[10:11]
	;; [unrolled: 6-line block ×5, first 2 shown]
	v_cmp_eq_u32_e64 s[10:11], 12, v36
	ds_read_b64 v[40:41], v39
	v_cndmask_b32_e64 v42, v42, v27, s[10:11]
	v_cndmask_b32_e32 v43, v43, v24, vcc
	v_cmp_eq_u32_e32 vcc, 13, v36
	s_waitcnt vmcnt(2)
	v_cndmask_b32_e32 v42, v42, v29, vcc
	v_cndmask_b32_e64 v43, v43, v26, s[10:11]
	v_cmp_eq_u32_e64 s[10:11], 14, v36
	s_waitcnt vmcnt(1)
	v_cndmask_b32_e64 v42, v42, v31, s[10:11]
	v_cndmask_b32_e32 v44, v43, v28, vcc
	v_cmp_eq_u32_e32 vcc, 15, v36
	s_waitcnt vmcnt(0)
	v_cndmask_b32_e32 v43, v42, v33, vcc
	v_cndmask_b32_e64 v42, v44, v30, s[10:11]
	v_cndmask_b32_e32 v42, v42, v32, vcc
	s_waitcnt lgkmcnt(0)
	v_fma_f64 v[34:35], v[42:43], v[40:41], v[34:35]
	v_cmp_lt_u32_e32 vcc, 6, v36
	s_or_b64 s[14:15], vcc, s[14:15]
	v_add_u32_e32 v39, 8, v39
	s_andn2_b64 exec, exec, s[14:15]
	s_cbranch_execnz .LBB15_293
; %bb.294:
	s_or_b64 exec, exec, s[14:15]
.LBB15_295:
	s_or_b64 exec, exec, s[12:13]
	v_mov_b32_e32 v18, 0
	ds_read_b64 v[18:19], v18 offset:64
	s_waitcnt lgkmcnt(0)
	v_mul_f64 v[18:19], v[34:35], v[18:19]
.LBB15_296:
	s_or_b64 exec, exec, s[40:41]
	v_cmp_gt_u32_e32 vcc, 9, v0
	s_waitcnt vmcnt(7)
	ds_write_b64 v100, v[20:21]
	s_waitcnt lgkmcnt(0)
	; wave barrier
	s_and_saveexec_b64 s[40:41], vcc
	s_cbranch_execz .LBB15_318
; %bb.297:
	s_and_b64 vcc, exec, s[0:1]
	s_cbranch_vccnz .LBB15_299
; %bb.298:
	v_cmp_eq_u32_e32 vcc, 1, v0
	s_waitcnt vmcnt(3)
	v_cndmask_b32_e32 v34, v3, v5, vcc
	v_cmp_eq_u32_e64 s[10:11], 2, v0
	v_cndmask_b32_e64 v34, v34, v7, s[10:11]
	v_cmp_eq_u32_e64 s[12:13], 3, v0
	v_cndmask_b32_e64 v34, v34, v9, s[12:13]
	;; [unrolled: 2-line block ×11, first 2 shown]
	v_cmp_eq_u32_e64 s[34:35], 13, v0
	s_waitcnt vmcnt(2)
	v_cndmask_b32_e64 v34, v34, v29, s[34:35]
	v_cmp_eq_u32_e64 s[36:37], 14, v0
	s_waitcnt vmcnt(1)
	v_cndmask_b32_e64 v34, v34, v31, s[36:37]
	;; [unrolled: 3-line block ×3, first 2 shown]
	v_cndmask_b32_e32 v34, v2, v4, vcc
	v_cndmask_b32_e64 v34, v34, v6, s[10:11]
	v_cndmask_b32_e64 v34, v34, v8, s[12:13]
	;; [unrolled: 1-line block ×10, first 2 shown]
	ds_read_b64 v[36:37], v100
	v_cndmask_b32_e64 v34, v34, v26, s[30:31]
	v_cndmask_b32_e64 v34, v34, v28, s[34:35]
	;; [unrolled: 1-line block ×4, first 2 shown]
	s_waitcnt lgkmcnt(0)
	v_mul_f64 v[34:35], v[34:35], v[36:37]
	s_cbranch_execz .LBB15_300
	s_branch .LBB15_301
.LBB15_299:
                                        ; implicit-def: $vgpr34_vgpr35
.LBB15_300:
	ds_read_b64 v[34:35], v100
.LBB15_301:
	v_cmp_ne_u32_e32 vcc, 8, v0
	s_and_saveexec_b64 s[42:43], vcc
	s_cbranch_execz .LBB15_317
; %bb.302:
	v_cmp_eq_u32_e32 vcc, 1, v38
	s_waitcnt vmcnt(3)
	v_cndmask_b32_e32 v36, v3, v5, vcc
	v_cmp_eq_u32_e64 s[10:11], 2, v38
	v_cndmask_b32_e64 v36, v36, v7, s[10:11]
	v_cmp_eq_u32_e64 s[12:13], 3, v38
	v_cndmask_b32_e64 v36, v36, v9, s[12:13]
	v_cmp_eq_u32_e64 s[14:15], 4, v38
	v_cndmask_b32_e64 v36, v36, v11, s[14:15]
	v_cmp_eq_u32_e64 s[16:17], 5, v38
	v_cndmask_b32_e64 v36, v36, v13, s[16:17]
	v_cmp_eq_u32_e64 s[18:19], 6, v38
	v_cndmask_b32_e64 v36, v36, v15, s[18:19]
	v_cmp_eq_u32_e64 s[20:21], 7, v38
	v_cndmask_b32_e64 v36, v36, v17, s[20:21]
	v_cmp_eq_u32_e64 s[22:23], 8, v38
	v_cndmask_b32_e64 v36, v36, v19, s[22:23]
	v_cmp_eq_u32_e64 s[24:25], 9, v38
	v_cndmask_b32_e64 v36, v36, v21, s[24:25]
	v_cmp_eq_u32_e64 s[26:27], 10, v38
	v_cndmask_b32_e64 v36, v36, v23, s[26:27]
	v_cmp_eq_u32_e64 s[28:29], 11, v38
	v_cndmask_b32_e64 v36, v36, v25, s[28:29]
	v_cmp_eq_u32_e64 s[30:31], 12, v38
	v_cndmask_b32_e64 v36, v36, v27, s[30:31]
	v_cmp_eq_u32_e64 s[34:35], 13, v38
	s_waitcnt vmcnt(2)
	v_cndmask_b32_e64 v36, v36, v29, s[34:35]
	v_cmp_eq_u32_e64 s[36:37], 14, v38
	s_waitcnt vmcnt(1)
	v_cndmask_b32_e64 v36, v36, v31, s[36:37]
	;; [unrolled: 3-line block ×3, first 2 shown]
	v_cndmask_b32_e32 v36, v2, v4, vcc
	v_cndmask_b32_e64 v36, v36, v6, s[10:11]
	v_cndmask_b32_e64 v36, v36, v8, s[12:13]
	;; [unrolled: 1-line block ×10, first 2 shown]
	ds_read_b64 v[38:39], v100 offset:8
	v_cndmask_b32_e64 v36, v36, v26, s[30:31]
	v_cndmask_b32_e64 v36, v36, v28, s[34:35]
	;; [unrolled: 1-line block ×4, first 2 shown]
	s_waitcnt lgkmcnt(0)
	v_fma_f64 v[34:35], v[36:37], v[38:39], v[34:35]
	s_and_saveexec_b64 s[38:39], s[8:9]
	s_cbranch_execz .LBB15_316
; %bb.303:
	v_add_u32_e32 v36, 2, v0
	v_cmp_eq_u32_e32 vcc, 1, v36
	v_cndmask_b32_e32 v37, v3, v5, vcc
	v_cmp_eq_u32_e64 s[8:9], 2, v36
	v_cmp_eq_u32_e64 s[10:11], 3, v36
	;; [unrolled: 1-line block ×14, first 2 shown]
	v_cndmask_b32_e32 v36, v2, v4, vcc
	v_cndmask_b32_e64 v37, v37, v7, s[8:9]
	v_cndmask_b32_e64 v36, v36, v6, s[8:9]
	;; [unrolled: 1-line block ×20, first 2 shown]
	ds_read_b64 v[38:39], v100 offset:16
	v_cndmask_b32_e64 v37, v37, v27, s[28:29]
	v_cndmask_b32_e64 v36, v36, v26, s[28:29]
	v_cndmask_b32_e64 v37, v37, v29, s[30:31]
	v_cndmask_b32_e64 v36, v36, v28, s[30:31]
	v_cndmask_b32_e64 v37, v37, v31, s[34:35]
	v_cndmask_b32_e64 v36, v36, v30, s[34:35]
	v_cndmask_b32_e64 v37, v37, v33, s[36:37]
	v_cndmask_b32_e64 v36, v36, v32, s[36:37]
	s_waitcnt lgkmcnt(0)
	v_fma_f64 v[34:35], v[36:37], v[38:39], v[34:35]
	v_cmp_ne_u32_e32 vcc, 6, v0
	s_and_saveexec_b64 s[44:45], vcc
	s_cbranch_execz .LBB15_315
; %bb.304:
	v_add_u32_e32 v36, 3, v0
	v_cmp_eq_u32_e32 vcc, 1, v36
	v_cndmask_b32_e32 v37, v3, v5, vcc
	v_cmp_eq_u32_e64 s[8:9], 2, v36
	v_cmp_eq_u32_e64 s[10:11], 3, v36
	;; [unrolled: 1-line block ×14, first 2 shown]
	v_cndmask_b32_e32 v36, v2, v4, vcc
	v_cndmask_b32_e64 v37, v37, v7, s[8:9]
	v_cndmask_b32_e64 v36, v36, v6, s[8:9]
	;; [unrolled: 1-line block ×20, first 2 shown]
	ds_read_b64 v[38:39], v100 offset:24
	v_cndmask_b32_e64 v37, v37, v27, s[28:29]
	v_cndmask_b32_e64 v36, v36, v26, s[28:29]
	;; [unrolled: 1-line block ×8, first 2 shown]
	s_waitcnt lgkmcnt(0)
	v_fma_f64 v[34:35], v[36:37], v[38:39], v[34:35]
	s_and_saveexec_b64 s[36:37], s[6:7]
	s_cbranch_execz .LBB15_314
; %bb.305:
	v_add_u32_e32 v36, 4, v0
	v_cmp_eq_u32_e32 vcc, 1, v36
	v_cndmask_b32_e32 v37, v3, v5, vcc
	v_cmp_eq_u32_e64 s[6:7], 2, v36
	v_cmp_eq_u32_e64 s[8:9], 3, v36
	;; [unrolled: 1-line block ×14, first 2 shown]
	v_cndmask_b32_e32 v36, v2, v4, vcc
	v_cndmask_b32_e64 v37, v37, v7, s[6:7]
	v_cndmask_b32_e64 v36, v36, v6, s[6:7]
	;; [unrolled: 1-line block ×20, first 2 shown]
	ds_read_b64 v[38:39], v100 offset:32
	v_cndmask_b32_e64 v37, v37, v27, s[26:27]
	v_cndmask_b32_e64 v36, v36, v26, s[26:27]
	;; [unrolled: 1-line block ×8, first 2 shown]
	s_waitcnt lgkmcnt(0)
	v_fma_f64 v[34:35], v[36:37], v[38:39], v[34:35]
	v_cmp_ne_u32_e32 vcc, 4, v0
	s_and_saveexec_b64 s[46:47], vcc
	s_cbranch_execz .LBB15_313
; %bb.306:
	v_add_u32_e32 v36, 5, v0
	v_cmp_eq_u32_e32 vcc, 1, v36
	v_cndmask_b32_e32 v37, v3, v5, vcc
	v_cmp_eq_u32_e64 s[6:7], 2, v36
	v_cmp_eq_u32_e64 s[8:9], 3, v36
	;; [unrolled: 1-line block ×14, first 2 shown]
	v_cndmask_b32_e32 v36, v2, v4, vcc
	v_cndmask_b32_e64 v37, v37, v7, s[6:7]
	v_cndmask_b32_e64 v36, v36, v6, s[6:7]
	;; [unrolled: 1-line block ×20, first 2 shown]
	ds_read_b64 v[38:39], v100 offset:40
	v_cndmask_b32_e64 v37, v37, v27, s[26:27]
	v_cndmask_b32_e64 v36, v36, v26, s[26:27]
	;; [unrolled: 1-line block ×8, first 2 shown]
	s_waitcnt lgkmcnt(0)
	v_fma_f64 v[34:35], v[36:37], v[38:39], v[34:35]
	s_and_saveexec_b64 s[34:35], s[4:5]
	s_cbranch_execz .LBB15_312
; %bb.307:
	v_add_u32_e32 v36, 6, v0
	v_cmp_eq_u32_e32 vcc, 1, v36
	v_cndmask_b32_e32 v37, v3, v5, vcc
	v_cmp_eq_u32_e64 s[4:5], 2, v36
	v_cmp_eq_u32_e64 s[6:7], 3, v36
	;; [unrolled: 1-line block ×14, first 2 shown]
	v_cndmask_b32_e32 v36, v2, v4, vcc
	v_cndmask_b32_e64 v37, v37, v7, s[4:5]
	v_cndmask_b32_e64 v36, v36, v6, s[4:5]
	;; [unrolled: 1-line block ×20, first 2 shown]
	ds_read_b64 v[38:39], v100 offset:48
	v_cndmask_b32_e64 v37, v37, v27, s[24:25]
	v_cndmask_b32_e64 v36, v36, v26, s[24:25]
	;; [unrolled: 1-line block ×8, first 2 shown]
	s_waitcnt lgkmcnt(0)
	v_fma_f64 v[34:35], v[36:37], v[38:39], v[34:35]
	v_cmp_ne_u32_e32 vcc, 2, v0
	s_and_saveexec_b64 s[48:49], vcc
	s_cbranch_execz .LBB15_311
; %bb.308:
	v_add_u32_e32 v36, 7, v0
	v_cmp_eq_u32_e32 vcc, 1, v36
	v_cndmask_b32_e32 v37, v3, v5, vcc
	v_cmp_eq_u32_e64 s[4:5], 2, v36
	v_cmp_eq_u32_e64 s[6:7], 3, v36
	;; [unrolled: 1-line block ×14, first 2 shown]
	v_cndmask_b32_e32 v36, v2, v4, vcc
	v_cndmask_b32_e64 v37, v37, v7, s[4:5]
	v_cndmask_b32_e64 v36, v36, v6, s[4:5]
	;; [unrolled: 1-line block ×20, first 2 shown]
	ds_read_b64 v[36:37], v100 offset:56
	v_cndmask_b32_e64 v21, v21, v27, s[24:25]
	v_cndmask_b32_e64 v20, v20, v26, s[24:25]
	;; [unrolled: 1-line block ×8, first 2 shown]
	s_waitcnt lgkmcnt(0)
	v_fma_f64 v[34:35], v[20:21], v[36:37], v[34:35]
	s_and_saveexec_b64 s[4:5], s[2:3]
	s_cbranch_execz .LBB15_310
; %bb.309:
	ds_read_b64 v[20:21], v100 offset:64
	s_waitcnt lgkmcnt(0)
	v_fma_f64 v[34:35], v[18:19], v[20:21], v[34:35]
.LBB15_310:
	s_or_b64 exec, exec, s[4:5]
.LBB15_311:
	s_or_b64 exec, exec, s[48:49]
.LBB15_312:
	s_or_b64 exec, exec, s[34:35]
.LBB15_313:
	s_or_b64 exec, exec, s[46:47]
.LBB15_314:
	s_or_b64 exec, exec, s[36:37]
.LBB15_315:
	s_or_b64 exec, exec, s[44:45]
.LBB15_316:
	s_or_b64 exec, exec, s[38:39]
.LBB15_317:
	s_or_b64 exec, exec, s[42:43]
	v_mov_b32_e32 v20, 0
	ds_read_b64 v[20:21], v20 offset:72
	s_waitcnt lgkmcnt(0)
	v_mul_f64 v[20:21], v[34:35], v[20:21]
.LBB15_318:
	s_or_b64 exec, exec, s[40:41]
	v_cmp_gt_u32_e32 vcc, 10, v0
	s_waitcnt vmcnt(6)
	ds_write_b64 v100, v[22:23]
	s_waitcnt lgkmcnt(0)
	; wave barrier
	s_and_saveexec_b64 s[30:31], vcc
	s_cbranch_execz .LBB15_328
; %bb.319:
	s_and_b64 vcc, exec, s[0:1]
	s_cbranch_vccnz .LBB15_321
; %bb.320:
	v_cmp_eq_u32_e32 vcc, 1, v0
	s_waitcnt vmcnt(3)
	v_cndmask_b32_e32 v34, v3, v5, vcc
	v_cmp_eq_u32_e64 s[2:3], 2, v0
	v_cndmask_b32_e64 v34, v34, v7, s[2:3]
	v_cmp_eq_u32_e64 s[4:5], 3, v0
	v_cndmask_b32_e64 v34, v34, v9, s[4:5]
	;; [unrolled: 2-line block ×11, first 2 shown]
	v_cmp_eq_u32_e64 s[24:25], 13, v0
	s_waitcnt vmcnt(2)
	v_cndmask_b32_e64 v34, v34, v29, s[24:25]
	v_cmp_eq_u32_e64 s[26:27], 14, v0
	s_waitcnt vmcnt(1)
	v_cndmask_b32_e64 v34, v34, v31, s[26:27]
	;; [unrolled: 3-line block ×3, first 2 shown]
	v_cndmask_b32_e32 v34, v2, v4, vcc
	v_cndmask_b32_e64 v34, v34, v6, s[2:3]
	v_cndmask_b32_e64 v34, v34, v8, s[4:5]
	;; [unrolled: 1-line block ×10, first 2 shown]
	ds_read_b64 v[36:37], v100
	v_cndmask_b32_e64 v34, v34, v26, s[22:23]
	v_cndmask_b32_e64 v34, v34, v28, s[24:25]
	;; [unrolled: 1-line block ×4, first 2 shown]
	s_waitcnt lgkmcnt(0)
	v_mul_f64 v[34:35], v[34:35], v[36:37]
	s_cbranch_execz .LBB15_322
	s_branch .LBB15_323
.LBB15_321:
                                        ; implicit-def: $vgpr34_vgpr35
.LBB15_322:
	ds_read_b64 v[34:35], v100
.LBB15_323:
	v_cmp_ne_u32_e32 vcc, 9, v0
	s_and_saveexec_b64 s[4:5], vcc
	s_cbranch_execz .LBB15_327
; %bb.324:
	v_mov_b32_e32 v36, 0x88
	v_lshl_add_u32 v38, v0, 3, v36
	v_mov_b32_e32 v37, v1
	s_mov_b64 s[6:7], 0
	v_mov_b32_e32 v36, v0
.LBB15_325:                             ; =>This Inner Loop Header: Depth=1
	v_add_co_u32_e32 v36, vcc, 1, v36
	v_addc_co_u32_e32 v37, vcc, 0, v37, vcc
	v_cmp_eq_u32_e32 vcc, 1, v36
	s_waitcnt vmcnt(3)
	v_cndmask_b32_e32 v41, v3, v5, vcc
	v_cmp_eq_u32_e64 s[2:3], 2, v36
	v_cndmask_b32_e64 v41, v41, v7, s[2:3]
	v_cndmask_b32_e32 v42, v2, v4, vcc
	v_cmp_eq_u32_e32 vcc, 3, v36
	v_cndmask_b32_e32 v41, v41, v9, vcc
	v_cndmask_b32_e64 v42, v42, v6, s[2:3]
	v_cmp_eq_u32_e64 s[2:3], 4, v36
	v_cndmask_b32_e64 v41, v41, v11, s[2:3]
	v_cndmask_b32_e32 v42, v42, v8, vcc
	v_cmp_eq_u32_e32 vcc, 5, v36
	v_cndmask_b32_e32 v41, v41, v13, vcc
	v_cndmask_b32_e64 v42, v42, v10, s[2:3]
	;; [unrolled: 6-line block ×5, first 2 shown]
	v_cmp_eq_u32_e64 s[2:3], 12, v36
	ds_read_b64 v[39:40], v38
	v_cndmask_b32_e64 v41, v41, v27, s[2:3]
	v_cndmask_b32_e32 v42, v42, v24, vcc
	v_cmp_eq_u32_e32 vcc, 13, v36
	s_waitcnt vmcnt(2)
	v_cndmask_b32_e32 v41, v41, v29, vcc
	v_cndmask_b32_e64 v42, v42, v26, s[2:3]
	v_cmp_eq_u32_e64 s[2:3], 14, v36
	s_waitcnt vmcnt(1)
	v_cndmask_b32_e64 v41, v41, v31, s[2:3]
	v_cndmask_b32_e32 v43, v42, v28, vcc
	v_cmp_eq_u32_e32 vcc, 15, v36
	s_waitcnt vmcnt(0)
	v_cndmask_b32_e32 v42, v41, v33, vcc
	v_cndmask_b32_e64 v41, v43, v30, s[2:3]
	v_cndmask_b32_e32 v41, v41, v32, vcc
	s_waitcnt lgkmcnt(0)
	v_fma_f64 v[34:35], v[41:42], v[39:40], v[34:35]
	v_cmp_lt_u32_e32 vcc, 8, v36
	s_or_b64 s[6:7], vcc, s[6:7]
	v_add_u32_e32 v38, 8, v38
	s_andn2_b64 exec, exec, s[6:7]
	s_cbranch_execnz .LBB15_325
; %bb.326:
	s_or_b64 exec, exec, s[6:7]
.LBB15_327:
	s_or_b64 exec, exec, s[4:5]
	v_mov_b32_e32 v22, 0
	ds_read_b64 v[22:23], v22 offset:80
	s_waitcnt lgkmcnt(0)
	v_mul_f64 v[22:23], v[34:35], v[22:23]
.LBB15_328:
	s_or_b64 exec, exec, s[30:31]
	v_cmp_gt_u32_e32 vcc, 11, v0
	s_waitcnt vmcnt(5)
	ds_write_b64 v100, v[24:25]
	s_waitcnt lgkmcnt(0)
	; wave barrier
	s_and_saveexec_b64 s[30:31], vcc
	s_cbranch_execz .LBB15_338
; %bb.329:
	s_and_b64 vcc, exec, s[0:1]
	s_cbranch_vccnz .LBB15_331
; %bb.330:
	v_cmp_eq_u32_e32 vcc, 1, v0
	s_waitcnt vmcnt(3)
	v_cndmask_b32_e32 v34, v3, v5, vcc
	v_cmp_eq_u32_e64 s[2:3], 2, v0
	v_cndmask_b32_e64 v34, v34, v7, s[2:3]
	v_cmp_eq_u32_e64 s[4:5], 3, v0
	v_cndmask_b32_e64 v34, v34, v9, s[4:5]
	;; [unrolled: 2-line block ×11, first 2 shown]
	v_cmp_eq_u32_e64 s[24:25], 13, v0
	s_waitcnt vmcnt(2)
	v_cndmask_b32_e64 v34, v34, v29, s[24:25]
	v_cmp_eq_u32_e64 s[26:27], 14, v0
	s_waitcnt vmcnt(1)
	v_cndmask_b32_e64 v34, v34, v31, s[26:27]
	;; [unrolled: 3-line block ×3, first 2 shown]
	v_cndmask_b32_e32 v34, v2, v4, vcc
	v_cndmask_b32_e64 v34, v34, v6, s[2:3]
	v_cndmask_b32_e64 v34, v34, v8, s[4:5]
	;; [unrolled: 1-line block ×10, first 2 shown]
	ds_read_b64 v[36:37], v100
	v_cndmask_b32_e64 v34, v34, v26, s[22:23]
	v_cndmask_b32_e64 v34, v34, v28, s[24:25]
	;; [unrolled: 1-line block ×4, first 2 shown]
	s_waitcnt lgkmcnt(0)
	v_mul_f64 v[34:35], v[34:35], v[36:37]
	s_cbranch_execz .LBB15_332
	s_branch .LBB15_333
.LBB15_331:
                                        ; implicit-def: $vgpr34_vgpr35
.LBB15_332:
	ds_read_b64 v[34:35], v100
.LBB15_333:
	v_cmp_ne_u32_e32 vcc, 10, v0
	s_and_saveexec_b64 s[4:5], vcc
	s_cbranch_execz .LBB15_337
; %bb.334:
	v_mov_b32_e32 v36, 0x88
	v_lshl_add_u32 v38, v0, 3, v36
	v_mov_b32_e32 v37, v1
	s_mov_b64 s[6:7], 0
	v_mov_b32_e32 v36, v0
.LBB15_335:                             ; =>This Inner Loop Header: Depth=1
	v_add_co_u32_e32 v36, vcc, 1, v36
	v_addc_co_u32_e32 v37, vcc, 0, v37, vcc
	v_cmp_eq_u32_e32 vcc, 1, v36
	s_waitcnt vmcnt(3)
	v_cndmask_b32_e32 v41, v3, v5, vcc
	v_cmp_eq_u32_e64 s[2:3], 2, v36
	v_cndmask_b32_e64 v41, v41, v7, s[2:3]
	v_cndmask_b32_e32 v42, v2, v4, vcc
	v_cmp_eq_u32_e32 vcc, 3, v36
	v_cndmask_b32_e32 v41, v41, v9, vcc
	v_cndmask_b32_e64 v42, v42, v6, s[2:3]
	v_cmp_eq_u32_e64 s[2:3], 4, v36
	v_cndmask_b32_e64 v41, v41, v11, s[2:3]
	v_cndmask_b32_e32 v42, v42, v8, vcc
	v_cmp_eq_u32_e32 vcc, 5, v36
	v_cndmask_b32_e32 v41, v41, v13, vcc
	v_cndmask_b32_e64 v42, v42, v10, s[2:3]
	;; [unrolled: 6-line block ×5, first 2 shown]
	v_cmp_eq_u32_e64 s[2:3], 12, v36
	ds_read_b64 v[39:40], v38
	v_cndmask_b32_e64 v41, v41, v27, s[2:3]
	v_cndmask_b32_e32 v42, v42, v24, vcc
	v_cmp_eq_u32_e32 vcc, 13, v36
	s_waitcnt vmcnt(2)
	v_cndmask_b32_e32 v41, v41, v29, vcc
	v_cndmask_b32_e64 v42, v42, v26, s[2:3]
	v_cmp_eq_u32_e64 s[2:3], 14, v36
	s_waitcnt vmcnt(1)
	v_cndmask_b32_e64 v41, v41, v31, s[2:3]
	v_cndmask_b32_e32 v43, v42, v28, vcc
	v_cmp_eq_u32_e32 vcc, 15, v36
	s_waitcnt vmcnt(0)
	v_cndmask_b32_e32 v42, v41, v33, vcc
	v_cndmask_b32_e64 v41, v43, v30, s[2:3]
	v_cndmask_b32_e32 v41, v41, v32, vcc
	s_waitcnt lgkmcnt(0)
	v_fma_f64 v[34:35], v[41:42], v[39:40], v[34:35]
	v_cmp_lt_u32_e32 vcc, 9, v36
	s_or_b64 s[6:7], vcc, s[6:7]
	v_add_u32_e32 v38, 8, v38
	s_andn2_b64 exec, exec, s[6:7]
	s_cbranch_execnz .LBB15_335
; %bb.336:
	s_or_b64 exec, exec, s[6:7]
.LBB15_337:
	s_or_b64 exec, exec, s[4:5]
	v_mov_b32_e32 v24, 0
	ds_read_b64 v[24:25], v24 offset:88
	s_waitcnt lgkmcnt(0)
	v_mul_f64 v[24:25], v[34:35], v[24:25]
.LBB15_338:
	s_or_b64 exec, exec, s[30:31]
	v_cmp_gt_u32_e32 vcc, 12, v0
	s_waitcnt vmcnt(4)
	ds_write_b64 v100, v[26:27]
	s_waitcnt lgkmcnt(0)
	; wave barrier
	s_and_saveexec_b64 s[30:31], vcc
	s_cbranch_execz .LBB15_348
; %bb.339:
	s_and_b64 vcc, exec, s[0:1]
	s_cbranch_vccnz .LBB15_341
; %bb.340:
	v_cmp_eq_u32_e32 vcc, 1, v0
	s_waitcnt vmcnt(3)
	v_cndmask_b32_e32 v34, v3, v5, vcc
	v_cmp_eq_u32_e64 s[2:3], 2, v0
	v_cndmask_b32_e64 v34, v34, v7, s[2:3]
	v_cmp_eq_u32_e64 s[4:5], 3, v0
	v_cndmask_b32_e64 v34, v34, v9, s[4:5]
	;; [unrolled: 2-line block ×11, first 2 shown]
	v_cmp_eq_u32_e64 s[24:25], 13, v0
	s_waitcnt vmcnt(2)
	v_cndmask_b32_e64 v34, v34, v29, s[24:25]
	v_cmp_eq_u32_e64 s[26:27], 14, v0
	s_waitcnt vmcnt(1)
	v_cndmask_b32_e64 v34, v34, v31, s[26:27]
	;; [unrolled: 3-line block ×3, first 2 shown]
	v_cndmask_b32_e32 v34, v2, v4, vcc
	v_cndmask_b32_e64 v34, v34, v6, s[2:3]
	v_cndmask_b32_e64 v34, v34, v8, s[4:5]
	;; [unrolled: 1-line block ×10, first 2 shown]
	ds_read_b64 v[36:37], v100
	v_cndmask_b32_e64 v34, v34, v26, s[22:23]
	v_cndmask_b32_e64 v34, v34, v28, s[24:25]
	;; [unrolled: 1-line block ×4, first 2 shown]
	s_waitcnt lgkmcnt(0)
	v_mul_f64 v[34:35], v[34:35], v[36:37]
	s_cbranch_execz .LBB15_342
	s_branch .LBB15_343
.LBB15_341:
                                        ; implicit-def: $vgpr34_vgpr35
.LBB15_342:
	ds_read_b64 v[34:35], v100
.LBB15_343:
	v_cmp_ne_u32_e32 vcc, 11, v0
	s_and_saveexec_b64 s[4:5], vcc
	s_cbranch_execz .LBB15_347
; %bb.344:
	v_mov_b32_e32 v36, 0x88
	v_lshl_add_u32 v38, v0, 3, v36
	v_mov_b32_e32 v37, v1
	s_mov_b64 s[6:7], 0
	v_mov_b32_e32 v36, v0
.LBB15_345:                             ; =>This Inner Loop Header: Depth=1
	v_add_co_u32_e32 v36, vcc, 1, v36
	v_addc_co_u32_e32 v37, vcc, 0, v37, vcc
	v_cmp_eq_u32_e32 vcc, 1, v36
	s_waitcnt vmcnt(3)
	v_cndmask_b32_e32 v41, v3, v5, vcc
	v_cmp_eq_u32_e64 s[2:3], 2, v36
	v_cndmask_b32_e64 v41, v41, v7, s[2:3]
	v_cndmask_b32_e32 v42, v2, v4, vcc
	v_cmp_eq_u32_e32 vcc, 3, v36
	v_cndmask_b32_e32 v41, v41, v9, vcc
	v_cndmask_b32_e64 v42, v42, v6, s[2:3]
	v_cmp_eq_u32_e64 s[2:3], 4, v36
	v_cndmask_b32_e64 v41, v41, v11, s[2:3]
	v_cndmask_b32_e32 v42, v42, v8, vcc
	v_cmp_eq_u32_e32 vcc, 5, v36
	v_cndmask_b32_e32 v41, v41, v13, vcc
	v_cndmask_b32_e64 v42, v42, v10, s[2:3]
	;; [unrolled: 6-line block ×5, first 2 shown]
	v_cmp_eq_u32_e64 s[2:3], 12, v36
	ds_read_b64 v[39:40], v38
	v_cndmask_b32_e64 v41, v41, v27, s[2:3]
	v_cndmask_b32_e32 v42, v42, v24, vcc
	v_cmp_eq_u32_e32 vcc, 13, v36
	s_waitcnt vmcnt(2)
	v_cndmask_b32_e32 v41, v41, v29, vcc
	v_cndmask_b32_e64 v42, v42, v26, s[2:3]
	v_cmp_eq_u32_e64 s[2:3], 14, v36
	s_waitcnt vmcnt(1)
	v_cndmask_b32_e64 v41, v41, v31, s[2:3]
	v_cndmask_b32_e32 v43, v42, v28, vcc
	v_cmp_eq_u32_e32 vcc, 15, v36
	s_waitcnt vmcnt(0)
	v_cndmask_b32_e32 v42, v41, v33, vcc
	v_cndmask_b32_e64 v41, v43, v30, s[2:3]
	v_cndmask_b32_e32 v41, v41, v32, vcc
	s_waitcnt lgkmcnt(0)
	v_fma_f64 v[34:35], v[41:42], v[39:40], v[34:35]
	v_cmp_lt_u32_e32 vcc, 10, v36
	s_or_b64 s[6:7], vcc, s[6:7]
	v_add_u32_e32 v38, 8, v38
	s_andn2_b64 exec, exec, s[6:7]
	s_cbranch_execnz .LBB15_345
; %bb.346:
	s_or_b64 exec, exec, s[6:7]
.LBB15_347:
	s_or_b64 exec, exec, s[4:5]
	v_mov_b32_e32 v26, 0
	ds_read_b64 v[26:27], v26 offset:96
	s_waitcnt lgkmcnt(0)
	v_mul_f64 v[26:27], v[34:35], v[26:27]
.LBB15_348:
	s_or_b64 exec, exec, s[30:31]
	v_cmp_gt_u32_e32 vcc, 13, v0
	s_waitcnt vmcnt(2)
	ds_write_b64 v100, v[28:29]
	s_waitcnt lgkmcnt(0)
	; wave barrier
	s_and_saveexec_b64 s[30:31], vcc
	s_cbranch_execz .LBB15_358
; %bb.349:
	s_and_b64 vcc, exec, s[0:1]
	s_cbranch_vccnz .LBB15_351
; %bb.350:
	v_cmp_eq_u32_e32 vcc, 1, v0
	v_cndmask_b32_e32 v34, v3, v5, vcc
	v_cmp_eq_u32_e64 s[2:3], 2, v0
	v_cndmask_b32_e64 v34, v34, v7, s[2:3]
	v_cmp_eq_u32_e64 s[4:5], 3, v0
	v_cndmask_b32_e64 v34, v34, v9, s[4:5]
	;; [unrolled: 2-line block ×12, first 2 shown]
	v_cmp_eq_u32_e64 s[26:27], 14, v0
	s_waitcnt vmcnt(1)
	v_cndmask_b32_e64 v34, v34, v31, s[26:27]
	v_cmp_eq_u32_e64 s[28:29], 15, v0
	s_waitcnt vmcnt(0)
	v_cndmask_b32_e64 v35, v34, v33, s[28:29]
	v_cndmask_b32_e32 v34, v2, v4, vcc
	v_cndmask_b32_e64 v34, v34, v6, s[2:3]
	v_cndmask_b32_e64 v34, v34, v8, s[4:5]
	;; [unrolled: 1-line block ×10, first 2 shown]
	ds_read_b64 v[36:37], v100
	v_cndmask_b32_e64 v34, v34, v26, s[22:23]
	v_cndmask_b32_e64 v34, v34, v28, s[24:25]
	;; [unrolled: 1-line block ×4, first 2 shown]
	s_waitcnt lgkmcnt(0)
	v_mul_f64 v[34:35], v[34:35], v[36:37]
	s_cbranch_execz .LBB15_352
	s_branch .LBB15_353
.LBB15_351:
                                        ; implicit-def: $vgpr34_vgpr35
.LBB15_352:
	ds_read_b64 v[34:35], v100
.LBB15_353:
	v_cmp_ne_u32_e32 vcc, 12, v0
	s_and_saveexec_b64 s[4:5], vcc
	s_cbranch_execz .LBB15_357
; %bb.354:
	v_mov_b32_e32 v36, 0x88
	v_lshl_add_u32 v38, v0, 3, v36
	v_mov_b32_e32 v37, v1
	s_mov_b64 s[6:7], 0
	v_mov_b32_e32 v36, v0
.LBB15_355:                             ; =>This Inner Loop Header: Depth=1
	v_add_co_u32_e32 v36, vcc, 1, v36
	v_addc_co_u32_e32 v37, vcc, 0, v37, vcc
	v_cmp_eq_u32_e32 vcc, 1, v36
	v_cndmask_b32_e32 v41, v3, v5, vcc
	v_cmp_eq_u32_e64 s[2:3], 2, v36
	v_cndmask_b32_e64 v41, v41, v7, s[2:3]
	v_cndmask_b32_e32 v42, v2, v4, vcc
	v_cmp_eq_u32_e32 vcc, 3, v36
	v_cndmask_b32_e32 v41, v41, v9, vcc
	v_cndmask_b32_e64 v42, v42, v6, s[2:3]
	v_cmp_eq_u32_e64 s[2:3], 4, v36
	v_cndmask_b32_e64 v41, v41, v11, s[2:3]
	v_cndmask_b32_e32 v42, v42, v8, vcc
	v_cmp_eq_u32_e32 vcc, 5, v36
	v_cndmask_b32_e32 v41, v41, v13, vcc
	v_cndmask_b32_e64 v42, v42, v10, s[2:3]
	;; [unrolled: 6-line block ×5, first 2 shown]
	v_cmp_eq_u32_e64 s[2:3], 12, v36
	ds_read_b64 v[39:40], v38
	v_cndmask_b32_e64 v41, v41, v27, s[2:3]
	v_cndmask_b32_e32 v42, v42, v24, vcc
	v_cmp_eq_u32_e32 vcc, 13, v36
	v_cndmask_b32_e32 v41, v41, v29, vcc
	v_cndmask_b32_e64 v42, v42, v26, s[2:3]
	v_cmp_eq_u32_e64 s[2:3], 14, v36
	s_waitcnt vmcnt(1)
	v_cndmask_b32_e64 v41, v41, v31, s[2:3]
	v_cndmask_b32_e32 v43, v42, v28, vcc
	v_cmp_eq_u32_e32 vcc, 15, v36
	s_waitcnt vmcnt(0)
	v_cndmask_b32_e32 v42, v41, v33, vcc
	v_cndmask_b32_e64 v41, v43, v30, s[2:3]
	v_cndmask_b32_e32 v41, v41, v32, vcc
	s_waitcnt lgkmcnt(0)
	v_fma_f64 v[34:35], v[41:42], v[39:40], v[34:35]
	v_cmp_lt_u32_e32 vcc, 11, v36
	s_or_b64 s[6:7], vcc, s[6:7]
	v_add_u32_e32 v38, 8, v38
	s_andn2_b64 exec, exec, s[6:7]
	s_cbranch_execnz .LBB15_355
; %bb.356:
	s_or_b64 exec, exec, s[6:7]
.LBB15_357:
	s_or_b64 exec, exec, s[4:5]
	v_mov_b32_e32 v28, 0
	ds_read_b64 v[28:29], v28 offset:104
	s_waitcnt lgkmcnt(0)
	v_mul_f64 v[28:29], v[34:35], v[28:29]
.LBB15_358:
	s_or_b64 exec, exec, s[30:31]
	v_cmp_gt_u32_e64 s[2:3], 14, v0
	s_waitcnt vmcnt(1)
	ds_write_b64 v100, v[30:31]
	s_waitcnt lgkmcnt(0)
	; wave barrier
	s_and_saveexec_b64 s[34:35], s[2:3]
	s_cbranch_execz .LBB15_368
; %bb.359:
	s_and_b64 vcc, exec, s[0:1]
	s_cbranch_vccnz .LBB15_361
; %bb.360:
	v_cmp_eq_u32_e32 vcc, 1, v0
	v_cndmask_b32_e32 v34, v3, v5, vcc
	v_cmp_eq_u32_e64 s[4:5], 2, v0
	v_cndmask_b32_e64 v34, v34, v7, s[4:5]
	v_cmp_eq_u32_e64 s[6:7], 3, v0
	v_cndmask_b32_e64 v34, v34, v9, s[6:7]
	;; [unrolled: 2-line block ×13, first 2 shown]
	v_cmp_eq_u32_e64 s[30:31], 15, v0
	s_waitcnt vmcnt(0)
	v_cndmask_b32_e64 v35, v34, v33, s[30:31]
	v_cndmask_b32_e32 v34, v2, v4, vcc
	v_cndmask_b32_e64 v34, v34, v6, s[4:5]
	v_cndmask_b32_e64 v34, v34, v8, s[6:7]
	;; [unrolled: 1-line block ×10, first 2 shown]
	ds_read_b64 v[36:37], v100
	v_cndmask_b32_e64 v34, v34, v26, s[24:25]
	v_cndmask_b32_e64 v34, v34, v28, s[26:27]
	;; [unrolled: 1-line block ×4, first 2 shown]
	s_waitcnt lgkmcnt(0)
	v_mul_f64 v[34:35], v[34:35], v[36:37]
	s_cbranch_execz .LBB15_362
	s_branch .LBB15_363
.LBB15_361:
                                        ; implicit-def: $vgpr34_vgpr35
.LBB15_362:
	ds_read_b64 v[34:35], v100
.LBB15_363:
	v_cmp_ne_u32_e32 vcc, 13, v0
	s_and_saveexec_b64 s[6:7], vcc
	s_cbranch_execz .LBB15_367
; %bb.364:
	v_mov_b32_e32 v36, 0x88
	v_lshl_add_u32 v38, v0, 3, v36
	v_mov_b32_e32 v37, v1
	s_mov_b64 s[8:9], 0
	v_mov_b32_e32 v36, v0
.LBB15_365:                             ; =>This Inner Loop Header: Depth=1
	v_add_co_u32_e32 v36, vcc, 1, v36
	v_addc_co_u32_e32 v37, vcc, 0, v37, vcc
	v_cmp_eq_u32_e32 vcc, 1, v36
	v_cndmask_b32_e32 v41, v3, v5, vcc
	v_cmp_eq_u32_e64 s[4:5], 2, v36
	v_cndmask_b32_e64 v41, v41, v7, s[4:5]
	v_cndmask_b32_e32 v42, v2, v4, vcc
	v_cmp_eq_u32_e32 vcc, 3, v36
	v_cndmask_b32_e32 v41, v41, v9, vcc
	v_cndmask_b32_e64 v42, v42, v6, s[4:5]
	v_cmp_eq_u32_e64 s[4:5], 4, v36
	v_cndmask_b32_e64 v41, v41, v11, s[4:5]
	v_cndmask_b32_e32 v42, v42, v8, vcc
	v_cmp_eq_u32_e32 vcc, 5, v36
	v_cndmask_b32_e32 v41, v41, v13, vcc
	v_cndmask_b32_e64 v42, v42, v10, s[4:5]
	;; [unrolled: 6-line block ×5, first 2 shown]
	v_cmp_eq_u32_e64 s[4:5], 12, v36
	ds_read_b64 v[39:40], v38
	v_cndmask_b32_e64 v41, v41, v27, s[4:5]
	v_cndmask_b32_e32 v42, v42, v24, vcc
	v_cmp_eq_u32_e32 vcc, 13, v36
	v_cndmask_b32_e32 v41, v41, v29, vcc
	v_cndmask_b32_e64 v42, v42, v26, s[4:5]
	v_cmp_eq_u32_e64 s[4:5], 14, v36
	v_cndmask_b32_e64 v41, v41, v31, s[4:5]
	v_cndmask_b32_e32 v43, v42, v28, vcc
	v_cmp_eq_u32_e32 vcc, 15, v36
	s_waitcnt vmcnt(0)
	v_cndmask_b32_e32 v42, v41, v33, vcc
	v_cndmask_b32_e64 v41, v43, v30, s[4:5]
	v_cndmask_b32_e32 v41, v41, v32, vcc
	s_waitcnt lgkmcnt(0)
	v_fma_f64 v[34:35], v[41:42], v[39:40], v[34:35]
	v_cmp_lt_u32_e32 vcc, 12, v36
	s_or_b64 s[8:9], vcc, s[8:9]
	v_add_u32_e32 v38, 8, v38
	s_andn2_b64 exec, exec, s[8:9]
	s_cbranch_execnz .LBB15_365
; %bb.366:
	s_or_b64 exec, exec, s[8:9]
.LBB15_367:
	s_or_b64 exec, exec, s[6:7]
	v_mov_b32_e32 v30, 0
	ds_read_b64 v[30:31], v30 offset:112
	s_waitcnt lgkmcnt(0)
	v_mul_f64 v[30:31], v[34:35], v[30:31]
.LBB15_368:
	s_or_b64 exec, exec, s[34:35]
	v_cmp_ne_u32_e32 vcc, 15, v0
	s_waitcnt vmcnt(0)
	ds_write_b64 v100, v[32:33]
	s_waitcnt lgkmcnt(0)
	; wave barrier
	s_and_saveexec_b64 s[30:31], vcc
	s_cbranch_execz .LBB15_378
; %bb.369:
	s_and_b64 vcc, exec, s[0:1]
	s_cbranch_vccnz .LBB15_371
; %bb.370:
	v_cmp_eq_u32_e32 vcc, 1, v0
	v_cndmask_b32_e32 v34, v3, v5, vcc
	v_cmp_eq_u32_e64 s[0:1], 2, v0
	v_cndmask_b32_e64 v34, v34, v7, s[0:1]
	v_cmp_eq_u32_e64 s[4:5], 3, v0
	v_cndmask_b32_e64 v34, v34, v9, s[4:5]
	;; [unrolled: 2-line block ×14, first 2 shown]
	v_cndmask_b32_e32 v34, v2, v4, vcc
	v_cndmask_b32_e64 v34, v34, v6, s[0:1]
	v_cndmask_b32_e64 v34, v34, v8, s[4:5]
	;; [unrolled: 1-line block ×10, first 2 shown]
	ds_read_b64 v[36:37], v100
	v_cndmask_b32_e64 v34, v34, v26, s[22:23]
	v_cndmask_b32_e64 v34, v34, v28, s[24:25]
	;; [unrolled: 1-line block ×4, first 2 shown]
	s_waitcnt lgkmcnt(0)
	v_mul_f64 v[34:35], v[34:35], v[36:37]
	s_cbranch_execz .LBB15_372
	s_branch .LBB15_373
.LBB15_371:
                                        ; implicit-def: $vgpr34_vgpr35
.LBB15_372:
	ds_read_b64 v[34:35], v100
.LBB15_373:
	s_and_saveexec_b64 s[4:5], s[2:3]
	s_cbranch_execz .LBB15_377
; %bb.374:
	v_mov_b32_e32 v36, 0x88
	v_lshl_add_u32 v36, v0, 3, v36
	s_mov_b64 s[2:3], 0
.LBB15_375:                             ; =>This Inner Loop Header: Depth=1
	v_add_co_u32_e32 v0, vcc, 1, v0
	v_addc_co_u32_e32 v1, vcc, 0, v1, vcc
	v_cmp_eq_u32_e32 vcc, 1, v0
	v_cndmask_b32_e32 v39, v3, v5, vcc
	v_cmp_eq_u32_e64 s[0:1], 2, v0
	v_cndmask_b32_e64 v39, v39, v7, s[0:1]
	v_cndmask_b32_e32 v40, v2, v4, vcc
	v_cmp_eq_u32_e32 vcc, 3, v0
	v_cndmask_b32_e32 v39, v39, v9, vcc
	v_cndmask_b32_e64 v40, v40, v6, s[0:1]
	v_cmp_eq_u32_e64 s[0:1], 4, v0
	v_cndmask_b32_e64 v39, v39, v11, s[0:1]
	v_cndmask_b32_e32 v40, v40, v8, vcc
	v_cmp_eq_u32_e32 vcc, 5, v0
	v_cndmask_b32_e32 v39, v39, v13, vcc
	v_cndmask_b32_e64 v40, v40, v10, s[0:1]
	;; [unrolled: 6-line block ×5, first 2 shown]
	v_cmp_eq_u32_e64 s[0:1], 12, v0
	ds_read_b64 v[37:38], v36
	v_cndmask_b32_e64 v39, v39, v27, s[0:1]
	v_cndmask_b32_e32 v40, v40, v24, vcc
	v_cmp_eq_u32_e32 vcc, 13, v0
	v_cndmask_b32_e32 v39, v39, v29, vcc
	v_cndmask_b32_e64 v40, v40, v26, s[0:1]
	v_cmp_eq_u32_e64 s[0:1], 14, v0
	v_cndmask_b32_e64 v39, v39, v31, s[0:1]
	v_cndmask_b32_e32 v41, v40, v28, vcc
	v_cmp_eq_u32_e32 vcc, 15, v0
	v_cndmask_b32_e32 v40, v39, v33, vcc
	v_cndmask_b32_e64 v39, v41, v30, s[0:1]
	v_cndmask_b32_e32 v39, v39, v32, vcc
	s_waitcnt lgkmcnt(0)
	v_fma_f64 v[34:35], v[39:40], v[37:38], v[34:35]
	v_cmp_lt_u32_e32 vcc, 13, v0
	s_or_b64 s[2:3], vcc, s[2:3]
	v_add_u32_e32 v36, 8, v36
	s_andn2_b64 exec, exec, s[2:3]
	s_cbranch_execnz .LBB15_375
; %bb.376:
	s_or_b64 exec, exec, s[2:3]
.LBB15_377:
	s_or_b64 exec, exec, s[4:5]
	v_mov_b32_e32 v0, 0
	ds_read_b64 v[0:1], v0 offset:120
	s_waitcnt lgkmcnt(0)
	v_mul_f64 v[32:33], v[34:35], v[0:1]
.LBB15_378:
	s_or_b64 exec, exec, s[30:31]
	v_mov_b32_e32 v65, v33
	v_mov_b32_e32 v64, v32
	;; [unrolled: 1-line block ×32, first 2 shown]
.LBB15_379:
	global_store_dwordx2 v[94:95], v[34:35], off
	global_store_dwordx2 v[96:97], v[36:37], off
	;; [unrolled: 1-line block ×16, first 2 shown]
.LBB15_380:
	s_endpgm
	.section	.rodata,"a",@progbits
	.p2align	6, 0x0
	.amdhsa_kernel _ZN9rocsolver6v33100L18trti2_kernel_smallILi16EdPdEEv13rocblas_fill_17rocblas_diagonal_T1_iil
		.amdhsa_group_segment_fixed_size 256
		.amdhsa_private_segment_fixed_size 0
		.amdhsa_kernarg_size 32
		.amdhsa_user_sgpr_count 6
		.amdhsa_user_sgpr_private_segment_buffer 1
		.amdhsa_user_sgpr_dispatch_ptr 0
		.amdhsa_user_sgpr_queue_ptr 0
		.amdhsa_user_sgpr_kernarg_segment_ptr 1
		.amdhsa_user_sgpr_dispatch_id 0
		.amdhsa_user_sgpr_flat_scratch_init 0
		.amdhsa_user_sgpr_private_segment_size 0
		.amdhsa_uses_dynamic_stack 0
		.amdhsa_system_sgpr_private_segment_wavefront_offset 0
		.amdhsa_system_sgpr_workgroup_id_x 1
		.amdhsa_system_sgpr_workgroup_id_y 0
		.amdhsa_system_sgpr_workgroup_id_z 0
		.amdhsa_system_sgpr_workgroup_info 0
		.amdhsa_system_vgpr_workitem_id 0
		.amdhsa_next_free_vgpr 120
		.amdhsa_next_free_sgpr 50
		.amdhsa_reserve_vcc 1
		.amdhsa_reserve_flat_scratch 0
		.amdhsa_float_round_mode_32 0
		.amdhsa_float_round_mode_16_64 0
		.amdhsa_float_denorm_mode_32 3
		.amdhsa_float_denorm_mode_16_64 3
		.amdhsa_dx10_clamp 1
		.amdhsa_ieee_mode 1
		.amdhsa_fp16_overflow 0
		.amdhsa_exception_fp_ieee_invalid_op 0
		.amdhsa_exception_fp_denorm_src 0
		.amdhsa_exception_fp_ieee_div_zero 0
		.amdhsa_exception_fp_ieee_overflow 0
		.amdhsa_exception_fp_ieee_underflow 0
		.amdhsa_exception_fp_ieee_inexact 0
		.amdhsa_exception_int_div_zero 0
	.end_amdhsa_kernel
	.section	.text._ZN9rocsolver6v33100L18trti2_kernel_smallILi16EdPdEEv13rocblas_fill_17rocblas_diagonal_T1_iil,"axG",@progbits,_ZN9rocsolver6v33100L18trti2_kernel_smallILi16EdPdEEv13rocblas_fill_17rocblas_diagonal_T1_iil,comdat
.Lfunc_end15:
	.size	_ZN9rocsolver6v33100L18trti2_kernel_smallILi16EdPdEEv13rocblas_fill_17rocblas_diagonal_T1_iil, .Lfunc_end15-_ZN9rocsolver6v33100L18trti2_kernel_smallILi16EdPdEEv13rocblas_fill_17rocblas_diagonal_T1_iil
                                        ; -- End function
	.set _ZN9rocsolver6v33100L18trti2_kernel_smallILi16EdPdEEv13rocblas_fill_17rocblas_diagonal_T1_iil.num_vgpr, 120
	.set _ZN9rocsolver6v33100L18trti2_kernel_smallILi16EdPdEEv13rocblas_fill_17rocblas_diagonal_T1_iil.num_agpr, 0
	.set _ZN9rocsolver6v33100L18trti2_kernel_smallILi16EdPdEEv13rocblas_fill_17rocblas_diagonal_T1_iil.numbered_sgpr, 50
	.set _ZN9rocsolver6v33100L18trti2_kernel_smallILi16EdPdEEv13rocblas_fill_17rocblas_diagonal_T1_iil.num_named_barrier, 0
	.set _ZN9rocsolver6v33100L18trti2_kernel_smallILi16EdPdEEv13rocblas_fill_17rocblas_diagonal_T1_iil.private_seg_size, 0
	.set _ZN9rocsolver6v33100L18trti2_kernel_smallILi16EdPdEEv13rocblas_fill_17rocblas_diagonal_T1_iil.uses_vcc, 1
	.set _ZN9rocsolver6v33100L18trti2_kernel_smallILi16EdPdEEv13rocblas_fill_17rocblas_diagonal_T1_iil.uses_flat_scratch, 0
	.set _ZN9rocsolver6v33100L18trti2_kernel_smallILi16EdPdEEv13rocblas_fill_17rocblas_diagonal_T1_iil.has_dyn_sized_stack, 0
	.set _ZN9rocsolver6v33100L18trti2_kernel_smallILi16EdPdEEv13rocblas_fill_17rocblas_diagonal_T1_iil.has_recursion, 0
	.set _ZN9rocsolver6v33100L18trti2_kernel_smallILi16EdPdEEv13rocblas_fill_17rocblas_diagonal_T1_iil.has_indirect_call, 0
	.section	.AMDGPU.csdata,"",@progbits
; Kernel info:
; codeLenInByte = 33680
; TotalNumSgprs: 54
; NumVgprs: 120
; ScratchSize: 0
; MemoryBound: 0
; FloatMode: 240
; IeeeMode: 1
; LDSByteSize: 256 bytes/workgroup (compile time only)
; SGPRBlocks: 6
; VGPRBlocks: 29
; NumSGPRsForWavesPerEU: 54
; NumVGPRsForWavesPerEU: 120
; Occupancy: 2
; WaveLimiterHint : 0
; COMPUTE_PGM_RSRC2:SCRATCH_EN: 0
; COMPUTE_PGM_RSRC2:USER_SGPR: 6
; COMPUTE_PGM_RSRC2:TRAP_HANDLER: 0
; COMPUTE_PGM_RSRC2:TGID_X_EN: 1
; COMPUTE_PGM_RSRC2:TGID_Y_EN: 0
; COMPUTE_PGM_RSRC2:TGID_Z_EN: 0
; COMPUTE_PGM_RSRC2:TIDIG_COMP_CNT: 0
	.section	.text._ZN9rocsolver6v33100L18trti2_kernel_smallILi17EdPdEEv13rocblas_fill_17rocblas_diagonal_T1_iil,"axG",@progbits,_ZN9rocsolver6v33100L18trti2_kernel_smallILi17EdPdEEv13rocblas_fill_17rocblas_diagonal_T1_iil,comdat
	.globl	_ZN9rocsolver6v33100L18trti2_kernel_smallILi17EdPdEEv13rocblas_fill_17rocblas_diagonal_T1_iil ; -- Begin function _ZN9rocsolver6v33100L18trti2_kernel_smallILi17EdPdEEv13rocblas_fill_17rocblas_diagonal_T1_iil
	.p2align	8
	.type	_ZN9rocsolver6v33100L18trti2_kernel_smallILi17EdPdEEv13rocblas_fill_17rocblas_diagonal_T1_iil,@function
_ZN9rocsolver6v33100L18trti2_kernel_smallILi17EdPdEEv13rocblas_fill_17rocblas_diagonal_T1_iil: ; @_ZN9rocsolver6v33100L18trti2_kernel_smallILi17EdPdEEv13rocblas_fill_17rocblas_diagonal_T1_iil
; %bb.0:
	s_add_u32 s0, s0, s7
	s_addc_u32 s1, s1, 0
	v_cmp_gt_u32_e32 vcc, 17, v0
	s_and_saveexec_b64 s[8:9], vcc
	s_cbranch_execz .LBB16_310
; %bb.1:
	s_load_dwordx8 s[8:15], s[4:5], 0x0
	s_ashr_i32 s7, s6, 31
	v_lshlrev_b32_e32 v37, 3, v0
	s_waitcnt lgkmcnt(0)
	s_ashr_i32 s5, s12, 31
	s_mov_b32 s4, s12
	s_mul_hi_u32 s12, s14, s6
	s_mul_i32 s7, s14, s7
	s_add_i32 s7, s12, s7
	s_mul_i32 s12, s15, s6
	s_add_i32 s7, s7, s12
	s_mul_i32 s6, s14, s6
	s_lshl_b64 s[6:7], s[6:7], 3
	s_add_u32 s6, s10, s6
	s_addc_u32 s7, s11, s7
	s_lshl_b64 s[4:5], s[4:5], 3
	s_add_u32 s4, s6, s4
	s_addc_u32 s5, s7, s5
	v_mov_b32_e32 v2, s5
	v_add_co_u32_e32 v1, vcc, s4, v37
	s_ashr_i32 s7, s13, 31
	s_mov_b32 s6, s13
	v_addc_co_u32_e32 v2, vcc, 0, v2, vcc
	s_lshl_b64 s[6:7], s[6:7], 3
	v_add_co_u32_e32 v3, vcc, s6, v1
	s_add_i32 s6, s13, s13
	v_add_u32_e32 v7, s6, v0
	v_ashrrev_i32_e32 v8, 31, v7
	v_mov_b32_e32 v4, s7
	v_lshlrev_b64 v[5:6], 3, v[7:8]
	v_addc_co_u32_e32 v4, vcc, v2, v4, vcc
	v_mov_b32_e32 v8, s5
	v_add_co_u32_e32 v5, vcc, s4, v5
	global_load_dwordx2 v[19:20], v37, s[4:5]
	v_addc_co_u32_e32 v6, vcc, v8, v6, vcc
	global_load_dwordx2 v[21:22], v[3:4], off
	global_load_dwordx2 v[23:24], v[5:6], off
	v_add_u32_e32 v9, s13, v7
	v_ashrrev_i32_e32 v10, 31, v9
	v_lshlrev_b64 v[7:8], 3, v[9:10]
	v_mov_b32_e32 v10, s5
	v_add_co_u32_e32 v7, vcc, s4, v7
	v_addc_co_u32_e32 v8, vcc, v10, v8, vcc
	global_load_dwordx2 v[25:26], v[7:8], off
	v_add_u32_e32 v9, s13, v9
	v_ashrrev_i32_e32 v10, 31, v9
	v_add_u32_e32 v11, s13, v9
	v_lshlrev_b64 v[9:10], 3, v[9:10]
	v_ashrrev_i32_e32 v12, 31, v11
	v_mov_b32_e32 v16, s5
	v_add_u32_e32 v13, s13, v11
	v_lshlrev_b64 v[11:12], 3, v[11:12]
	v_add_co_u32_e32 v9, vcc, s4, v9
	v_ashrrev_i32_e32 v14, 31, v13
	v_addc_co_u32_e32 v10, vcc, v16, v10, vcc
	v_mov_b32_e32 v17, s5
	v_add_u32_e32 v15, s13, v13
	v_lshlrev_b64 v[13:14], 3, v[13:14]
	v_add_co_u32_e32 v11, vcc, s4, v11
	v_ashrrev_i32_e32 v16, 31, v15
	v_addc_co_u32_e32 v12, vcc, v17, v12, vcc
	;; [unrolled: 6-line block ×3, first 2 shown]
	v_mov_b32_e32 v29, s5
	global_load_dwordx2 v[35:36], v[9:10], off
	v_lshlrev_b64 v[17:18], 3, v[27:28]
	v_add_co_u32_e32 v15, vcc, s4, v15
	v_addc_co_u32_e32 v16, vcc, v29, v16, vcc
	v_mov_b32_e32 v30, s5
	v_add_co_u32_e32 v17, vcc, s4, v17
	v_addc_co_u32_e32 v18, vcc, v30, v18, vcc
	v_mov_b32_e32 v56, s5
	s_cmpk_lg_i32 s9, 0x84
	s_cselect_b64 s[10:11], -1, 0
	s_cmpk_eq_i32 s9, 0x84
	s_waitcnt vmcnt(4)
	buffer_store_dword v20, off, s[0:3], 0 offset:4
	buffer_store_dword v19, off, s[0:3], 0
	s_waitcnt vmcnt(5)
	buffer_store_dword v22, off, s[0:3], 0 offset:12
	buffer_store_dword v21, off, s[0:3], 0 offset:8
	s_waitcnt vmcnt(6)
	buffer_store_dword v24, off, s[0:3], 0 offset:20
	buffer_store_dword v23, off, s[0:3], 0 offset:16
	s_waitcnt vmcnt(7)
	buffer_store_dword v26, off, s[0:3], 0 offset:28
	buffer_store_dword v25, off, s[0:3], 0 offset:24
	v_add_u32_e32 v21, s13, v27
	v_ashrrev_i32_e32 v22, 31, v21
	v_lshlrev_b64 v[19:20], 3, v[21:22]
	v_add_u32_e32 v23, s13, v21
	v_mov_b32_e32 v22, s5
	v_add_co_u32_e32 v19, vcc, s4, v19
	v_ashrrev_i32_e32 v24, 31, v23
	v_addc_co_u32_e32 v20, vcc, v22, v20, vcc
	v_lshlrev_b64 v[21:22], 3, v[23:24]
	v_add_u32_e32 v25, s13, v23
	v_mov_b32_e32 v24, s5
	v_add_co_u32_e32 v21, vcc, s4, v21
	v_ashrrev_i32_e32 v26, 31, v25
	v_addc_co_u32_e32 v22, vcc, v24, v22, vcc
	;; [unrolled: 6-line block ×6, first 2 shown]
	v_lshlrev_b64 v[31:32], 3, v[33:34]
	v_mov_b32_e32 v34, s5
	v_add_co_u32_e32 v31, vcc, s4, v31
	v_add_u32_e32 v33, s13, v33
	v_addc_co_u32_e32 v32, vcc, v34, v32, vcc
	v_ashrrev_i32_e32 v34, 31, v33
	v_lshlrev_b64 v[33:34], 3, v[33:34]
	global_load_dwordx2 v[38:39], v[11:12], off
	global_load_dwordx2 v[40:41], v[13:14], off
	;; [unrolled: 1-line block ×4, first 2 shown]
	v_add_co_u32_e32 v33, vcc, s4, v33
	v_addc_co_u32_e32 v34, vcc, v56, v34, vcc
	global_load_dwordx2 v[46:47], v[19:20], off
	global_load_dwordx2 v[48:49], v[21:22], off
	;; [unrolled: 1-line block ×8, first 2 shown]
	s_waitcnt vmcnt(20)
	buffer_store_dword v36, off, s[0:3], 0 offset:36
	buffer_store_dword v35, off, s[0:3], 0 offset:32
	v_mov_b32_e32 v35, 0
	v_mov_b32_e32 v36, 0xbff00000
	s_waitcnt vmcnt(13)
	buffer_store_dword v39, off, s[0:3], 0 offset:44
	buffer_store_dword v38, off, s[0:3], 0 offset:40
	s_waitcnt vmcnt(14)
	buffer_store_dword v41, off, s[0:3], 0 offset:52
	buffer_store_dword v40, off, s[0:3], 0 offset:48
	;; [unrolled: 3-line block ×12, first 2 shown]
	s_cbranch_scc1 .LBB16_3
; %bb.2:
	v_mov_b32_e32 v35, 0
	v_lshl_add_u32 v46, v0, 3, v35
	buffer_load_dword v35, v46, s[0:3], 0 offen
	buffer_load_dword v36, v46, s[0:3], 0 offen offset:4
	s_waitcnt vmcnt(0)
	v_div_scale_f64 v[38:39], s[4:5], v[35:36], v[35:36], 1.0
	v_rcp_f64_e32 v[40:41], v[38:39]
	v_fma_f64 v[42:43], -v[38:39], v[40:41], 1.0
	v_fma_f64 v[40:41], v[40:41], v[42:43], v[40:41]
	v_div_scale_f64 v[42:43], vcc, 1.0, v[35:36], 1.0
	v_fma_f64 v[44:45], -v[38:39], v[40:41], 1.0
	v_fma_f64 v[40:41], v[40:41], v[44:45], v[40:41]
	v_mul_f64 v[44:45], v[42:43], v[40:41]
	v_fma_f64 v[38:39], -v[38:39], v[44:45], v[42:43]
	v_div_fmas_f64 v[38:39], v[38:39], v[40:41], v[44:45]
	v_div_fixup_f64 v[35:36], v[38:39], v[35:36], 1.0
	buffer_store_dword v35, v46, s[0:3], 0 offen
	buffer_store_dword v36, v46, s[0:3], 0 offen offset:4
	v_xor_b32_e32 v36, 0x80000000, v36
.LBB16_3:
	s_cmpk_eq_i32 s8, 0x79
	v_add_u32_e32 v38, 0x90, v37
	v_mov_b32_e32 v39, v37
	s_mov_b64 s[4:5], -1
	ds_write_b64 v37, v[35:36]
	s_cbranch_scc1 .LBB16_157
; %bb.4:
	buffer_load_dword v35, off, s[0:3], 0 offset:120
	buffer_load_dword v36, off, s[0:3], 0 offset:124
	s_movk_i32 s12, 0x48
	s_movk_i32 s13, 0x50
	;; [unrolled: 1-line block ×6, first 2 shown]
	v_cmp_eq_u32_e64 s[4:5], 16, v0
	s_waitcnt vmcnt(0)
	ds_write_b64 v38, v[35:36]
	s_waitcnt lgkmcnt(0)
	; wave barrier
	s_and_saveexec_b64 s[6:7], s[4:5]
	s_cbranch_execz .LBB16_10
; %bb.5:
	s_and_b64 vcc, exec, s[10:11]
	s_cbranch_vccz .LBB16_7
; %bb.6:
	buffer_load_dword v35, v39, s[0:3], 0 offen
	buffer_load_dword v36, v39, s[0:3], 0 offen offset:4
	ds_read_b64 v[40:41], v38
	s_waitcnt vmcnt(0) lgkmcnt(0)
	v_mul_f64 v[35:36], v[35:36], v[40:41]
	s_cbranch_execz .LBB16_8
	s_branch .LBB16_9
.LBB16_7:
                                        ; implicit-def: $vgpr35_vgpr36
.LBB16_8:
	ds_read_b64 v[35:36], v38
.LBB16_9:
	v_mov_b32_e32 v40, 0
	ds_read_b64 v[40:41], v40 offset:120
	s_waitcnt lgkmcnt(0)
	v_mul_f64 v[35:36], v[35:36], v[40:41]
	buffer_store_dword v36, off, s[0:3], 0 offset:124
	buffer_store_dword v35, off, s[0:3], 0 offset:120
.LBB16_10:
	s_or_b64 exec, exec, s[6:7]
	buffer_load_dword v35, off, s[0:3], 0 offset:112
	buffer_load_dword v36, off, s[0:3], 0 offset:116
	s_or_b32 s14, 0, 8
	s_mov_b32 s15, 16
	s_mov_b32 s16, 24
	;; [unrolled: 1-line block ×9, first 2 shown]
	v_cmp_lt_u32_e64 s[6:7], 14, v0
	s_waitcnt vmcnt(0)
	ds_write_b64 v38, v[35:36]
	s_waitcnt lgkmcnt(0)
	; wave barrier
	s_and_saveexec_b64 s[8:9], s[6:7]
	s_cbranch_execz .LBB16_16
; %bb.11:
	s_andn2_b64 vcc, exec, s[10:11]
	s_cbranch_vccnz .LBB16_13
; %bb.12:
	buffer_load_dword v35, v39, s[0:3], 0 offen
	buffer_load_dword v36, v39, s[0:3], 0 offen offset:4
	ds_read_b64 v[40:41], v38
	s_waitcnt vmcnt(0) lgkmcnt(0)
	v_mul_f64 v[35:36], v[35:36], v[40:41]
	s_cbranch_execz .LBB16_14
	s_branch .LBB16_15
.LBB16_13:
                                        ; implicit-def: $vgpr35_vgpr36
.LBB16_14:
	ds_read_b64 v[35:36], v38
.LBB16_15:
	buffer_load_dword v44, off, s[0:3], 0 offset:120
	buffer_load_dword v45, off, s[0:3], 0 offset:124
	v_mov_b32_e32 v40, 0
	ds_read2_b64 v[40:43], v40 offset0:14 offset1:33
	s_waitcnt vmcnt(0) lgkmcnt(0)
	v_fma_f64 v[42:43], v[44:45], v[42:43], v[35:36]
	v_cndmask_b32_e64 v36, v36, v43, s[4:5]
	v_cndmask_b32_e64 v35, v35, v42, s[4:5]
	v_mul_f64 v[35:36], v[35:36], v[40:41]
	buffer_store_dword v36, off, s[0:3], 0 offset:116
	buffer_store_dword v35, off, s[0:3], 0 offset:112
.LBB16_16:
	s_or_b64 exec, exec, s[8:9]
	buffer_load_dword v35, off, s[0:3], 0 offset:104
	buffer_load_dword v36, off, s[0:3], 0 offset:108
	v_cmp_lt_u32_e64 s[4:5], 13, v0
	s_waitcnt vmcnt(0)
	ds_write_b64 v38, v[35:36]
	s_waitcnt lgkmcnt(0)
	; wave barrier
	s_and_saveexec_b64 s[8:9], s[4:5]
	s_cbranch_execz .LBB16_26
; %bb.17:
	s_andn2_b64 vcc, exec, s[10:11]
	s_cbranch_vccnz .LBB16_19
; %bb.18:
	buffer_load_dword v35, v39, s[0:3], 0 offen
	buffer_load_dword v36, v39, s[0:3], 0 offen offset:4
	ds_read_b64 v[40:41], v38
	s_waitcnt vmcnt(0) lgkmcnt(0)
	v_mul_f64 v[35:36], v[35:36], v[40:41]
	s_cbranch_execz .LBB16_20
	s_branch .LBB16_21
.LBB16_19:
                                        ; implicit-def: $vgpr35_vgpr36
.LBB16_20:
	ds_read_b64 v[35:36], v38
.LBB16_21:
	s_and_saveexec_b64 s[12:13], s[6:7]
	s_cbranch_execz .LBB16_25
; %bb.22:
	v_add_u32_e32 v40, -14, v0
	s_movk_i32 s28, 0x100
	s_mov_b64 s[6:7], 0
.LBB16_23:                              ; =>This Inner Loop Header: Depth=1
	v_mov_b32_e32 v43, s27
	buffer_load_dword v41, v43, s[0:3], 0 offen
	buffer_load_dword v42, v43, s[0:3], 0 offen offset:4
	v_mov_b32_e32 v43, s28
	ds_read_b64 v[43:44], v43
	v_add_u32_e32 v40, -1, v40
	s_add_i32 s28, s28, 8
	s_add_i32 s27, s27, 8
	v_cmp_eq_u32_e32 vcc, 0, v40
	s_or_b64 s[6:7], vcc, s[6:7]
	s_waitcnt vmcnt(0) lgkmcnt(0)
	v_fma_f64 v[35:36], v[41:42], v[43:44], v[35:36]
	s_andn2_b64 exec, exec, s[6:7]
	s_cbranch_execnz .LBB16_23
; %bb.24:
	s_or_b64 exec, exec, s[6:7]
.LBB16_25:
	s_or_b64 exec, exec, s[12:13]
	v_mov_b32_e32 v40, 0
	ds_read_b64 v[40:41], v40 offset:104
	s_waitcnt lgkmcnt(0)
	v_mul_f64 v[35:36], v[35:36], v[40:41]
	buffer_store_dword v36, off, s[0:3], 0 offset:108
	buffer_store_dword v35, off, s[0:3], 0 offset:104
.LBB16_26:
	s_or_b64 exec, exec, s[8:9]
	buffer_load_dword v35, off, s[0:3], 0 offset:96
	buffer_load_dword v36, off, s[0:3], 0 offset:100
	v_cmp_lt_u32_e64 s[6:7], 12, v0
	s_waitcnt vmcnt(0)
	ds_write_b64 v38, v[35:36]
	s_waitcnt lgkmcnt(0)
	; wave barrier
	s_and_saveexec_b64 s[8:9], s[6:7]
	s_cbranch_execz .LBB16_36
; %bb.27:
	s_andn2_b64 vcc, exec, s[10:11]
	s_cbranch_vccnz .LBB16_29
; %bb.28:
	buffer_load_dword v35, v39, s[0:3], 0 offen
	buffer_load_dword v36, v39, s[0:3], 0 offen offset:4
	ds_read_b64 v[40:41], v38
	s_waitcnt vmcnt(0) lgkmcnt(0)
	v_mul_f64 v[35:36], v[35:36], v[40:41]
	s_cbranch_execz .LBB16_30
	s_branch .LBB16_31
.LBB16_29:
                                        ; implicit-def: $vgpr35_vgpr36
.LBB16_30:
	ds_read_b64 v[35:36], v38
.LBB16_31:
	s_and_saveexec_b64 s[12:13], s[4:5]
	s_cbranch_execz .LBB16_35
; %bb.32:
	v_add_u32_e32 v40, -13, v0
	s_movk_i32 s27, 0xf8
	s_mov_b64 s[4:5], 0
.LBB16_33:                              ; =>This Inner Loop Header: Depth=1
	v_mov_b32_e32 v43, s26
	buffer_load_dword v41, v43, s[0:3], 0 offen
	buffer_load_dword v42, v43, s[0:3], 0 offen offset:4
	v_mov_b32_e32 v43, s27
	ds_read_b64 v[43:44], v43
	v_add_u32_e32 v40, -1, v40
	s_add_i32 s27, s27, 8
	s_add_i32 s26, s26, 8
	v_cmp_eq_u32_e32 vcc, 0, v40
	s_or_b64 s[4:5], vcc, s[4:5]
	s_waitcnt vmcnt(0) lgkmcnt(0)
	v_fma_f64 v[35:36], v[41:42], v[43:44], v[35:36]
	s_andn2_b64 exec, exec, s[4:5]
	s_cbranch_execnz .LBB16_33
; %bb.34:
	s_or_b64 exec, exec, s[4:5]
.LBB16_35:
	s_or_b64 exec, exec, s[12:13]
	v_mov_b32_e32 v40, 0
	ds_read_b64 v[40:41], v40 offset:96
	s_waitcnt lgkmcnt(0)
	v_mul_f64 v[35:36], v[35:36], v[40:41]
	buffer_store_dword v36, off, s[0:3], 0 offset:100
	buffer_store_dword v35, off, s[0:3], 0 offset:96
.LBB16_36:
	;; [unrolled: 58-line block ×8, first 2 shown]
	s_or_b64 exec, exec, s[8:9]
	buffer_load_dword v35, off, s[0:3], 0 offset:40
	buffer_load_dword v36, off, s[0:3], 0 offset:44
	v_cmp_lt_u32_e64 s[4:5], 5, v0
	s_waitcnt vmcnt(0)
	ds_write_b64 v38, v[35:36]
	s_waitcnt lgkmcnt(0)
	; wave barrier
	s_and_saveexec_b64 s[8:9], s[4:5]
	s_cbranch_execz .LBB16_106
; %bb.97:
	s_andn2_b64 vcc, exec, s[10:11]
	s_cbranch_vccnz .LBB16_99
; %bb.98:
	buffer_load_dword v35, v39, s[0:3], 0 offen
	buffer_load_dword v36, v39, s[0:3], 0 offen offset:4
	ds_read_b64 v[40:41], v38
	s_waitcnt vmcnt(0) lgkmcnt(0)
	v_mul_f64 v[35:36], v[35:36], v[40:41]
	s_cbranch_execz .LBB16_100
	s_branch .LBB16_101
.LBB16_99:
                                        ; implicit-def: $vgpr35_vgpr36
.LBB16_100:
	ds_read_b64 v[35:36], v38
.LBB16_101:
	s_and_saveexec_b64 s[12:13], s[6:7]
	s_cbranch_execz .LBB16_105
; %bb.102:
	v_add_u32_e32 v40, -6, v0
	s_movk_i32 s20, 0xc0
	s_mov_b64 s[6:7], 0
.LBB16_103:                             ; =>This Inner Loop Header: Depth=1
	v_mov_b32_e32 v43, s19
	buffer_load_dword v41, v43, s[0:3], 0 offen
	buffer_load_dword v42, v43, s[0:3], 0 offen offset:4
	v_mov_b32_e32 v43, s20
	ds_read_b64 v[43:44], v43
	v_add_u32_e32 v40, -1, v40
	s_add_i32 s20, s20, 8
	s_add_i32 s19, s19, 8
	v_cmp_eq_u32_e32 vcc, 0, v40
	s_or_b64 s[6:7], vcc, s[6:7]
	s_waitcnt vmcnt(0) lgkmcnt(0)
	v_fma_f64 v[35:36], v[41:42], v[43:44], v[35:36]
	s_andn2_b64 exec, exec, s[6:7]
	s_cbranch_execnz .LBB16_103
; %bb.104:
	s_or_b64 exec, exec, s[6:7]
.LBB16_105:
	s_or_b64 exec, exec, s[12:13]
	v_mov_b32_e32 v40, 0
	ds_read_b64 v[40:41], v40 offset:40
	s_waitcnt lgkmcnt(0)
	v_mul_f64 v[35:36], v[35:36], v[40:41]
	buffer_store_dword v36, off, s[0:3], 0 offset:44
	buffer_store_dword v35, off, s[0:3], 0 offset:40
.LBB16_106:
	s_or_b64 exec, exec, s[8:9]
	buffer_load_dword v35, off, s[0:3], 0 offset:32
	buffer_load_dword v36, off, s[0:3], 0 offset:36
	v_cmp_lt_u32_e64 s[6:7], 4, v0
	s_waitcnt vmcnt(0)
	ds_write_b64 v38, v[35:36]
	s_waitcnt lgkmcnt(0)
	; wave barrier
	s_and_saveexec_b64 s[8:9], s[6:7]
	s_cbranch_execz .LBB16_116
; %bb.107:
	s_andn2_b64 vcc, exec, s[10:11]
	s_cbranch_vccnz .LBB16_109
; %bb.108:
	buffer_load_dword v35, v39, s[0:3], 0 offen
	buffer_load_dword v36, v39, s[0:3], 0 offen offset:4
	ds_read_b64 v[40:41], v38
	s_waitcnt vmcnt(0) lgkmcnt(0)
	v_mul_f64 v[35:36], v[35:36], v[40:41]
	s_cbranch_execz .LBB16_110
	s_branch .LBB16_111
.LBB16_109:
                                        ; implicit-def: $vgpr35_vgpr36
.LBB16_110:
	ds_read_b64 v[35:36], v38
.LBB16_111:
	s_and_saveexec_b64 s[12:13], s[4:5]
	s_cbranch_execz .LBB16_115
; %bb.112:
	v_add_u32_e32 v40, -5, v0
	s_movk_i32 s19, 0xb8
	s_mov_b64 s[4:5], 0
.LBB16_113:                             ; =>This Inner Loop Header: Depth=1
	v_mov_b32_e32 v43, s18
	buffer_load_dword v41, v43, s[0:3], 0 offen
	buffer_load_dword v42, v43, s[0:3], 0 offen offset:4
	v_mov_b32_e32 v43, s19
	ds_read_b64 v[43:44], v43
	v_add_u32_e32 v40, -1, v40
	s_add_i32 s19, s19, 8
	s_add_i32 s18, s18, 8
	v_cmp_eq_u32_e32 vcc, 0, v40
	s_or_b64 s[4:5], vcc, s[4:5]
	s_waitcnt vmcnt(0) lgkmcnt(0)
	v_fma_f64 v[35:36], v[41:42], v[43:44], v[35:36]
	s_andn2_b64 exec, exec, s[4:5]
	s_cbranch_execnz .LBB16_113
; %bb.114:
	s_or_b64 exec, exec, s[4:5]
.LBB16_115:
	s_or_b64 exec, exec, s[12:13]
	v_mov_b32_e32 v40, 0
	ds_read_b64 v[40:41], v40 offset:32
	s_waitcnt lgkmcnt(0)
	v_mul_f64 v[35:36], v[35:36], v[40:41]
	buffer_store_dword v36, off, s[0:3], 0 offset:36
	buffer_store_dword v35, off, s[0:3], 0 offset:32
.LBB16_116:
	;; [unrolled: 58-line block ×5, first 2 shown]
	s_or_b64 exec, exec, s[8:9]
	buffer_load_dword v35, off, s[0:3], 0
	buffer_load_dword v36, off, s[0:3], 0 offset:4
	v_cmp_ne_u32_e32 vcc, 0, v0
	s_waitcnt vmcnt(0)
	ds_write_b64 v38, v[35:36]
	s_waitcnt lgkmcnt(0)
	; wave barrier
	s_and_saveexec_b64 s[6:7], vcc
	s_cbranch_execz .LBB16_156
; %bb.147:
	s_andn2_b64 vcc, exec, s[10:11]
	s_cbranch_vccnz .LBB16_149
; %bb.148:
	buffer_load_dword v35, v39, s[0:3], 0 offen
	buffer_load_dword v36, v39, s[0:3], 0 offen offset:4
	ds_read_b64 v[40:41], v38
	s_waitcnt vmcnt(0) lgkmcnt(0)
	v_mul_f64 v[35:36], v[35:36], v[40:41]
	s_cbranch_execz .LBB16_150
	s_branch .LBB16_151
.LBB16_149:
                                        ; implicit-def: $vgpr35_vgpr36
.LBB16_150:
	ds_read_b64 v[35:36], v38
.LBB16_151:
	s_and_saveexec_b64 s[8:9], s[4:5]
	s_cbranch_execz .LBB16_155
; %bb.152:
	v_add_u32_e32 v40, -1, v0
	s_movk_i32 s12, 0x98
	s_mov_b64 s[4:5], 0
.LBB16_153:                             ; =>This Inner Loop Header: Depth=1
	v_mov_b32_e32 v43, s14
	buffer_load_dword v41, v43, s[0:3], 0 offen
	buffer_load_dword v42, v43, s[0:3], 0 offen offset:4
	v_mov_b32_e32 v43, s12
	ds_read_b64 v[43:44], v43
	v_add_u32_e32 v40, -1, v40
	s_add_i32 s12, s12, 8
	s_add_i32 s14, s14, 8
	v_cmp_eq_u32_e32 vcc, 0, v40
	s_or_b64 s[4:5], vcc, s[4:5]
	s_waitcnt vmcnt(0) lgkmcnt(0)
	v_fma_f64 v[35:36], v[41:42], v[43:44], v[35:36]
	s_andn2_b64 exec, exec, s[4:5]
	s_cbranch_execnz .LBB16_153
; %bb.154:
	s_or_b64 exec, exec, s[4:5]
.LBB16_155:
	s_or_b64 exec, exec, s[8:9]
	v_mov_b32_e32 v40, 0
	ds_read_b64 v[40:41], v40
	s_waitcnt lgkmcnt(0)
	v_mul_f64 v[35:36], v[35:36], v[40:41]
	buffer_store_dword v36, off, s[0:3], 0 offset:4
	buffer_store_dword v35, off, s[0:3], 0
.LBB16_156:
	s_or_b64 exec, exec, s[6:7]
	s_mov_b64 s[4:5], 0
.LBB16_157:
	s_and_b64 vcc, exec, s[4:5]
	s_cbranch_vccz .LBB16_309
; %bb.158:
	buffer_load_dword v35, off, s[0:3], 0 offset:8
	buffer_load_dword v36, off, s[0:3], 0 offset:12
	v_cmp_eq_u32_e64 s[6:7], 0, v0
	s_waitcnt vmcnt(0)
	ds_write_b64 v38, v[35:36]
	s_waitcnt lgkmcnt(0)
	; wave barrier
	s_and_saveexec_b64 s[4:5], s[6:7]
	s_cbranch_execz .LBB16_164
; %bb.159:
	s_and_b64 vcc, exec, s[10:11]
	s_cbranch_vccz .LBB16_161
; %bb.160:
	buffer_load_dword v35, v39, s[0:3], 0 offen
	buffer_load_dword v36, v39, s[0:3], 0 offen offset:4
	ds_read_b64 v[40:41], v38
	s_waitcnt vmcnt(0) lgkmcnt(0)
	v_mul_f64 v[35:36], v[35:36], v[40:41]
	s_cbranch_execz .LBB16_162
	s_branch .LBB16_163
.LBB16_161:
                                        ; implicit-def: $vgpr35_vgpr36
.LBB16_162:
	ds_read_b64 v[35:36], v38
.LBB16_163:
	v_mov_b32_e32 v40, 0
	ds_read_b64 v[40:41], v40 offset:8
	s_waitcnt lgkmcnt(0)
	v_mul_f64 v[35:36], v[35:36], v[40:41]
	buffer_store_dword v36, off, s[0:3], 0 offset:12
	buffer_store_dword v35, off, s[0:3], 0 offset:8
.LBB16_164:
	s_or_b64 exec, exec, s[4:5]
	buffer_load_dword v35, off, s[0:3], 0 offset:16
	buffer_load_dword v36, off, s[0:3], 0 offset:20
	v_cndmask_b32_e64 v40, 0, 1, s[10:11]
	v_cmp_gt_u32_e32 vcc, 2, v0
	v_cmp_ne_u32_e64 s[4:5], 1, v40
	s_waitcnt vmcnt(0)
	ds_write_b64 v38, v[35:36]
	s_waitcnt lgkmcnt(0)
	; wave barrier
	s_and_saveexec_b64 s[8:9], vcc
	s_cbranch_execz .LBB16_170
; %bb.165:
	s_and_b64 vcc, exec, s[4:5]
	s_cbranch_vccnz .LBB16_167
; %bb.166:
	buffer_load_dword v35, v39, s[0:3], 0 offen
	buffer_load_dword v36, v39, s[0:3], 0 offen offset:4
	ds_read_b64 v[40:41], v38
	s_waitcnt vmcnt(0) lgkmcnt(0)
	v_mul_f64 v[35:36], v[35:36], v[40:41]
	s_cbranch_execz .LBB16_168
	s_branch .LBB16_169
.LBB16_167:
                                        ; implicit-def: $vgpr35_vgpr36
.LBB16_168:
	ds_read_b64 v[35:36], v38
.LBB16_169:
	buffer_load_dword v44, off, s[0:3], 0 offset:8
	buffer_load_dword v45, off, s[0:3], 0 offset:12
	v_mov_b32_e32 v40, 0
	ds_read2_b64 v[40:43], v40 offset0:2 offset1:19
	s_waitcnt vmcnt(0) lgkmcnt(0)
	v_fma_f64 v[42:43], v[44:45], v[42:43], v[35:36]
	v_cndmask_b32_e64 v36, v36, v43, s[6:7]
	v_cndmask_b32_e64 v35, v35, v42, s[6:7]
	v_mul_f64 v[35:36], v[35:36], v[40:41]
	buffer_store_dword v36, off, s[0:3], 0 offset:20
	buffer_store_dword v35, off, s[0:3], 0 offset:16
.LBB16_170:
	s_or_b64 exec, exec, s[8:9]
	buffer_load_dword v35, off, s[0:3], 0 offset:24
	buffer_load_dword v36, off, s[0:3], 0 offset:28
	v_cmp_gt_u32_e32 vcc, 3, v0
	s_waitcnt vmcnt(0)
	ds_write_b64 v38, v[35:36]
	s_waitcnt lgkmcnt(0)
	; wave barrier
	s_and_saveexec_b64 s[8:9], vcc
	s_cbranch_execz .LBB16_178
; %bb.171:
	s_and_b64 vcc, exec, s[4:5]
	s_cbranch_vccnz .LBB16_173
; %bb.172:
	buffer_load_dword v35, v39, s[0:3], 0 offen
	buffer_load_dword v36, v39, s[0:3], 0 offen offset:4
	ds_read_b64 v[40:41], v38
	s_waitcnt vmcnt(0) lgkmcnt(0)
	v_mul_f64 v[35:36], v[35:36], v[40:41]
	s_cbranch_execz .LBB16_174
	s_branch .LBB16_175
.LBB16_173:
                                        ; implicit-def: $vgpr35_vgpr36
.LBB16_174:
	ds_read_b64 v[35:36], v38
.LBB16_175:
	v_cmp_ne_u32_e32 vcc, 2, v0
	s_and_saveexec_b64 s[10:11], vcc
	s_cbranch_execz .LBB16_177
; %bb.176:
	buffer_load_dword v40, v39, s[0:3], 0 offen offset:8
	buffer_load_dword v41, v39, s[0:3], 0 offen offset:12
	buffer_load_dword v42, off, s[0:3], 0 offset:16
	buffer_load_dword v43, off, s[0:3], 0 offset:20
	ds_read_b64 v[44:45], v38 offset:8
	v_mov_b32_e32 v46, 0
	ds_read_b64 v[46:47], v46 offset:160
	s_waitcnt vmcnt(2) lgkmcnt(1)
	v_fma_f64 v[35:36], v[40:41], v[44:45], v[35:36]
	s_waitcnt vmcnt(0) lgkmcnt(0)
	v_fma_f64 v[40:41], v[42:43], v[46:47], v[35:36]
	v_cndmask_b32_e64 v36, v36, v41, s[6:7]
	v_cndmask_b32_e64 v35, v35, v40, s[6:7]
.LBB16_177:
	s_or_b64 exec, exec, s[10:11]
	v_mov_b32_e32 v40, 0
	ds_read_b64 v[40:41], v40 offset:24
	s_waitcnt lgkmcnt(0)
	v_mul_f64 v[35:36], v[35:36], v[40:41]
	buffer_store_dword v36, off, s[0:3], 0 offset:28
	buffer_store_dword v35, off, s[0:3], 0 offset:24
.LBB16_178:
	s_or_b64 exec, exec, s[8:9]
	buffer_load_dword v35, off, s[0:3], 0 offset:32
	buffer_load_dword v36, off, s[0:3], 0 offset:36
	v_cmp_gt_u32_e32 vcc, 4, v0
	s_waitcnt vmcnt(0)
	ds_write_b64 v38, v[35:36]
	s_waitcnt lgkmcnt(0)
	; wave barrier
	s_and_saveexec_b64 s[6:7], vcc
	s_cbranch_execz .LBB16_188
; %bb.179:
	s_and_b64 vcc, exec, s[4:5]
	s_cbranch_vccnz .LBB16_181
; %bb.180:
	buffer_load_dword v35, v39, s[0:3], 0 offen
	buffer_load_dword v36, v39, s[0:3], 0 offen offset:4
	ds_read_b64 v[40:41], v38
	s_waitcnt vmcnt(0) lgkmcnt(0)
	v_mul_f64 v[35:36], v[35:36], v[40:41]
	s_cbranch_execz .LBB16_182
	s_branch .LBB16_183
.LBB16_181:
                                        ; implicit-def: $vgpr35_vgpr36
.LBB16_182:
	ds_read_b64 v[35:36], v38
.LBB16_183:
	v_cmp_ne_u32_e32 vcc, 3, v0
	s_and_saveexec_b64 s[8:9], vcc
	s_cbranch_execz .LBB16_187
; %bb.184:
	s_mov_b32 s10, 0
	v_add_u32_e32 v40, 0x98, v37
	v_add3_u32 v41, v37, s10, 8
	s_mov_b64 s[10:11], 0
	v_mov_b32_e32 v42, v0
.LBB16_185:                             ; =>This Inner Loop Header: Depth=1
	buffer_load_dword v43, v41, s[0:3], 0 offen
	buffer_load_dword v44, v41, s[0:3], 0 offen offset:4
	ds_read_b64 v[45:46], v40
	v_add_u32_e32 v42, 1, v42
	v_cmp_lt_u32_e32 vcc, 2, v42
	v_add_u32_e32 v40, 8, v40
	s_or_b64 s[10:11], vcc, s[10:11]
	v_add_u32_e32 v41, 8, v41
	s_waitcnt vmcnt(0) lgkmcnt(0)
	v_fma_f64 v[35:36], v[43:44], v[45:46], v[35:36]
	s_andn2_b64 exec, exec, s[10:11]
	s_cbranch_execnz .LBB16_185
; %bb.186:
	s_or_b64 exec, exec, s[10:11]
.LBB16_187:
	s_or_b64 exec, exec, s[8:9]
	v_mov_b32_e32 v40, 0
	ds_read_b64 v[40:41], v40 offset:32
	s_waitcnt lgkmcnt(0)
	v_mul_f64 v[35:36], v[35:36], v[40:41]
	buffer_store_dword v36, off, s[0:3], 0 offset:36
	buffer_store_dword v35, off, s[0:3], 0 offset:32
.LBB16_188:
	s_or_b64 exec, exec, s[6:7]
	buffer_load_dword v35, off, s[0:3], 0 offset:40
	buffer_load_dword v36, off, s[0:3], 0 offset:44
	v_cmp_gt_u32_e32 vcc, 5, v0
	s_waitcnt vmcnt(0)
	ds_write_b64 v38, v[35:36]
	s_waitcnt lgkmcnt(0)
	; wave barrier
	s_and_saveexec_b64 s[6:7], vcc
	s_cbranch_execz .LBB16_198
; %bb.189:
	s_and_b64 vcc, exec, s[4:5]
	s_cbranch_vccnz .LBB16_191
; %bb.190:
	buffer_load_dword v35, v39, s[0:3], 0 offen
	buffer_load_dword v36, v39, s[0:3], 0 offen offset:4
	ds_read_b64 v[40:41], v38
	s_waitcnt vmcnt(0) lgkmcnt(0)
	v_mul_f64 v[35:36], v[35:36], v[40:41]
	s_cbranch_execz .LBB16_192
	s_branch .LBB16_193
.LBB16_191:
                                        ; implicit-def: $vgpr35_vgpr36
.LBB16_192:
	ds_read_b64 v[35:36], v38
.LBB16_193:
	v_cmp_ne_u32_e32 vcc, 4, v0
	s_and_saveexec_b64 s[8:9], vcc
	s_cbranch_execz .LBB16_197
; %bb.194:
	s_mov_b32 s10, 0
	v_add_u32_e32 v40, 0x98, v37
	v_add3_u32 v41, v37, s10, 8
	s_mov_b64 s[10:11], 0
	v_mov_b32_e32 v42, v0
.LBB16_195:                             ; =>This Inner Loop Header: Depth=1
	buffer_load_dword v43, v41, s[0:3], 0 offen
	buffer_load_dword v44, v41, s[0:3], 0 offen offset:4
	ds_read_b64 v[45:46], v40
	v_add_u32_e32 v42, 1, v42
	v_cmp_lt_u32_e32 vcc, 3, v42
	v_add_u32_e32 v40, 8, v40
	s_or_b64 s[10:11], vcc, s[10:11]
	v_add_u32_e32 v41, 8, v41
	s_waitcnt vmcnt(0) lgkmcnt(0)
	v_fma_f64 v[35:36], v[43:44], v[45:46], v[35:36]
	s_andn2_b64 exec, exec, s[10:11]
	s_cbranch_execnz .LBB16_195
; %bb.196:
	s_or_b64 exec, exec, s[10:11]
.LBB16_197:
	s_or_b64 exec, exec, s[8:9]
	v_mov_b32_e32 v40, 0
	ds_read_b64 v[40:41], v40 offset:40
	s_waitcnt lgkmcnt(0)
	v_mul_f64 v[35:36], v[35:36], v[40:41]
	buffer_store_dword v36, off, s[0:3], 0 offset:44
	buffer_store_dword v35, off, s[0:3], 0 offset:40
.LBB16_198:
	;; [unrolled: 59-line block ×11, first 2 shown]
	s_or_b64 exec, exec, s[6:7]
	buffer_load_dword v35, off, s[0:3], 0 offset:120
	buffer_load_dword v36, off, s[0:3], 0 offset:124
	v_cmp_gt_u32_e64 s[6:7], 15, v0
	s_waitcnt vmcnt(0)
	ds_write_b64 v38, v[35:36]
	s_waitcnt lgkmcnt(0)
	; wave barrier
	s_and_saveexec_b64 s[8:9], s[6:7]
	s_cbranch_execz .LBB16_298
; %bb.289:
	s_and_b64 vcc, exec, s[4:5]
	s_cbranch_vccnz .LBB16_291
; %bb.290:
	buffer_load_dword v35, v39, s[0:3], 0 offen
	buffer_load_dword v36, v39, s[0:3], 0 offen offset:4
	ds_read_b64 v[40:41], v38
	s_waitcnt vmcnt(0) lgkmcnt(0)
	v_mul_f64 v[35:36], v[35:36], v[40:41]
	s_cbranch_execz .LBB16_292
	s_branch .LBB16_293
.LBB16_291:
                                        ; implicit-def: $vgpr35_vgpr36
.LBB16_292:
	ds_read_b64 v[35:36], v38
.LBB16_293:
	v_cmp_ne_u32_e32 vcc, 14, v0
	s_and_saveexec_b64 s[10:11], vcc
	s_cbranch_execz .LBB16_297
; %bb.294:
	s_mov_b32 s12, 0
	v_add_u32_e32 v40, 0x98, v37
	v_add3_u32 v41, v37, s12, 8
	s_mov_b64 s[12:13], 0
	v_mov_b32_e32 v42, v0
.LBB16_295:                             ; =>This Inner Loop Header: Depth=1
	buffer_load_dword v43, v41, s[0:3], 0 offen
	buffer_load_dword v44, v41, s[0:3], 0 offen offset:4
	ds_read_b64 v[45:46], v40
	v_add_u32_e32 v42, 1, v42
	v_cmp_lt_u32_e32 vcc, 13, v42
	v_add_u32_e32 v40, 8, v40
	s_or_b64 s[12:13], vcc, s[12:13]
	v_add_u32_e32 v41, 8, v41
	s_waitcnt vmcnt(0) lgkmcnt(0)
	v_fma_f64 v[35:36], v[43:44], v[45:46], v[35:36]
	s_andn2_b64 exec, exec, s[12:13]
	s_cbranch_execnz .LBB16_295
; %bb.296:
	s_or_b64 exec, exec, s[12:13]
.LBB16_297:
	s_or_b64 exec, exec, s[10:11]
	v_mov_b32_e32 v40, 0
	ds_read_b64 v[40:41], v40 offset:120
	s_waitcnt lgkmcnt(0)
	v_mul_f64 v[35:36], v[35:36], v[40:41]
	buffer_store_dword v36, off, s[0:3], 0 offset:124
	buffer_store_dword v35, off, s[0:3], 0 offset:120
.LBB16_298:
	s_or_b64 exec, exec, s[8:9]
	buffer_load_dword v35, off, s[0:3], 0 offset:128
	buffer_load_dword v36, off, s[0:3], 0 offset:132
	v_cmp_ne_u32_e32 vcc, 16, v0
	s_waitcnt vmcnt(0)
	ds_write_b64 v38, v[35:36]
	s_waitcnt lgkmcnt(0)
	; wave barrier
	s_and_saveexec_b64 s[8:9], vcc
	s_cbranch_execz .LBB16_308
; %bb.299:
	s_and_b64 vcc, exec, s[4:5]
	s_cbranch_vccnz .LBB16_301
; %bb.300:
	buffer_load_dword v35, v39, s[0:3], 0 offen
	buffer_load_dword v36, v39, s[0:3], 0 offen offset:4
	ds_read_b64 v[39:40], v38
	s_waitcnt vmcnt(0) lgkmcnt(0)
	v_mul_f64 v[35:36], v[35:36], v[39:40]
	s_cbranch_execz .LBB16_302
	s_branch .LBB16_303
.LBB16_301:
                                        ; implicit-def: $vgpr35_vgpr36
.LBB16_302:
	ds_read_b64 v[35:36], v38
.LBB16_303:
	s_and_saveexec_b64 s[4:5], s[6:7]
	s_cbranch_execz .LBB16_307
; %bb.304:
	s_mov_b32 s6, 0
	v_add_u32_e32 v38, 0x98, v37
	v_add3_u32 v37, v37, s6, 8
	s_mov_b64 s[6:7], 0
.LBB16_305:                             ; =>This Inner Loop Header: Depth=1
	buffer_load_dword v39, v37, s[0:3], 0 offen
	buffer_load_dword v40, v37, s[0:3], 0 offen offset:4
	ds_read_b64 v[41:42], v38
	v_add_u32_e32 v0, 1, v0
	v_cmp_lt_u32_e32 vcc, 14, v0
	v_add_u32_e32 v38, 8, v38
	s_or_b64 s[6:7], vcc, s[6:7]
	v_add_u32_e32 v37, 8, v37
	s_waitcnt vmcnt(0) lgkmcnt(0)
	v_fma_f64 v[35:36], v[39:40], v[41:42], v[35:36]
	s_andn2_b64 exec, exec, s[6:7]
	s_cbranch_execnz .LBB16_305
; %bb.306:
	s_or_b64 exec, exec, s[6:7]
.LBB16_307:
	s_or_b64 exec, exec, s[4:5]
	v_mov_b32_e32 v0, 0
	ds_read_b64 v[37:38], v0 offset:128
	s_waitcnt lgkmcnt(0)
	v_mul_f64 v[35:36], v[35:36], v[37:38]
	buffer_store_dword v36, off, s[0:3], 0 offset:132
	buffer_store_dword v35, off, s[0:3], 0 offset:128
.LBB16_308:
	s_or_b64 exec, exec, s[8:9]
.LBB16_309:
	buffer_load_dword v35, off, s[0:3], 0
	buffer_load_dword v36, off, s[0:3], 0 offset:4
	buffer_load_dword v37, off, s[0:3], 0 offset:8
	;; [unrolled: 1-line block ×23, first 2 shown]
	s_waitcnt vmcnt(22)
	global_store_dwordx2 v[1:2], v[35:36], off
	s_waitcnt vmcnt(21)
	global_store_dwordx2 v[3:4], v[37:38], off
	buffer_load_dword v0, off, s[0:3], 0 offset:96
	buffer_load_dword v1, off, s[0:3], 0 offset:100
	;; [unrolled: 1-line block ×3, first 2 shown]
	s_nop 0
	buffer_load_dword v3, off, s[0:3], 0 offset:108
	buffer_load_dword v35, off, s[0:3], 0 offset:112
	;; [unrolled: 1-line block ×7, first 2 shown]
	s_waitcnt vmcnt(30)
	global_store_dwordx2 v[5:6], v[39:40], off
	s_waitcnt vmcnt(29)
	global_store_dwordx2 v[7:8], v[41:42], off
	;; [unrolled: 2-line block ×7, first 2 shown]
	global_store_dwordx2 v[19:20], v[53:54], off
	global_store_dwordx2 v[21:22], v[55:56], off
	;; [unrolled: 1-line block ×3, first 2 shown]
	s_waitcnt vmcnt(18)
	global_store_dwordx2 v[25:26], v[0:1], off
	s_waitcnt vmcnt(17)
	global_store_dwordx2 v[27:28], v[2:3], off
	;; [unrolled: 2-line block ×5, first 2 shown]
.LBB16_310:
	s_endpgm
	.section	.rodata,"a",@progbits
	.p2align	6, 0x0
	.amdhsa_kernel _ZN9rocsolver6v33100L18trti2_kernel_smallILi17EdPdEEv13rocblas_fill_17rocblas_diagonal_T1_iil
		.amdhsa_group_segment_fixed_size 280
		.amdhsa_private_segment_fixed_size 144
		.amdhsa_kernarg_size 32
		.amdhsa_user_sgpr_count 6
		.amdhsa_user_sgpr_private_segment_buffer 1
		.amdhsa_user_sgpr_dispatch_ptr 0
		.amdhsa_user_sgpr_queue_ptr 0
		.amdhsa_user_sgpr_kernarg_segment_ptr 1
		.amdhsa_user_sgpr_dispatch_id 0
		.amdhsa_user_sgpr_flat_scratch_init 0
		.amdhsa_user_sgpr_private_segment_size 0
		.amdhsa_uses_dynamic_stack 0
		.amdhsa_system_sgpr_private_segment_wavefront_offset 1
		.amdhsa_system_sgpr_workgroup_id_x 1
		.amdhsa_system_sgpr_workgroup_id_y 0
		.amdhsa_system_sgpr_workgroup_id_z 0
		.amdhsa_system_sgpr_workgroup_info 0
		.amdhsa_system_vgpr_workitem_id 0
		.amdhsa_next_free_vgpr 62
		.amdhsa_next_free_sgpr 29
		.amdhsa_reserve_vcc 1
		.amdhsa_reserve_flat_scratch 0
		.amdhsa_float_round_mode_32 0
		.amdhsa_float_round_mode_16_64 0
		.amdhsa_float_denorm_mode_32 3
		.amdhsa_float_denorm_mode_16_64 3
		.amdhsa_dx10_clamp 1
		.amdhsa_ieee_mode 1
		.amdhsa_fp16_overflow 0
		.amdhsa_exception_fp_ieee_invalid_op 0
		.amdhsa_exception_fp_denorm_src 0
		.amdhsa_exception_fp_ieee_div_zero 0
		.amdhsa_exception_fp_ieee_overflow 0
		.amdhsa_exception_fp_ieee_underflow 0
		.amdhsa_exception_fp_ieee_inexact 0
		.amdhsa_exception_int_div_zero 0
	.end_amdhsa_kernel
	.section	.text._ZN9rocsolver6v33100L18trti2_kernel_smallILi17EdPdEEv13rocblas_fill_17rocblas_diagonal_T1_iil,"axG",@progbits,_ZN9rocsolver6v33100L18trti2_kernel_smallILi17EdPdEEv13rocblas_fill_17rocblas_diagonal_T1_iil,comdat
.Lfunc_end16:
	.size	_ZN9rocsolver6v33100L18trti2_kernel_smallILi17EdPdEEv13rocblas_fill_17rocblas_diagonal_T1_iil, .Lfunc_end16-_ZN9rocsolver6v33100L18trti2_kernel_smallILi17EdPdEEv13rocblas_fill_17rocblas_diagonal_T1_iil
                                        ; -- End function
	.set _ZN9rocsolver6v33100L18trti2_kernel_smallILi17EdPdEEv13rocblas_fill_17rocblas_diagonal_T1_iil.num_vgpr, 62
	.set _ZN9rocsolver6v33100L18trti2_kernel_smallILi17EdPdEEv13rocblas_fill_17rocblas_diagonal_T1_iil.num_agpr, 0
	.set _ZN9rocsolver6v33100L18trti2_kernel_smallILi17EdPdEEv13rocblas_fill_17rocblas_diagonal_T1_iil.numbered_sgpr, 29
	.set _ZN9rocsolver6v33100L18trti2_kernel_smallILi17EdPdEEv13rocblas_fill_17rocblas_diagonal_T1_iil.num_named_barrier, 0
	.set _ZN9rocsolver6v33100L18trti2_kernel_smallILi17EdPdEEv13rocblas_fill_17rocblas_diagonal_T1_iil.private_seg_size, 144
	.set _ZN9rocsolver6v33100L18trti2_kernel_smallILi17EdPdEEv13rocblas_fill_17rocblas_diagonal_T1_iil.uses_vcc, 1
	.set _ZN9rocsolver6v33100L18trti2_kernel_smallILi17EdPdEEv13rocblas_fill_17rocblas_diagonal_T1_iil.uses_flat_scratch, 0
	.set _ZN9rocsolver6v33100L18trti2_kernel_smallILi17EdPdEEv13rocblas_fill_17rocblas_diagonal_T1_iil.has_dyn_sized_stack, 0
	.set _ZN9rocsolver6v33100L18trti2_kernel_smallILi17EdPdEEv13rocblas_fill_17rocblas_diagonal_T1_iil.has_recursion, 0
	.set _ZN9rocsolver6v33100L18trti2_kernel_smallILi17EdPdEEv13rocblas_fill_17rocblas_diagonal_T1_iil.has_indirect_call, 0
	.section	.AMDGPU.csdata,"",@progbits
; Kernel info:
; codeLenInByte = 9636
; TotalNumSgprs: 33
; NumVgprs: 62
; ScratchSize: 144
; MemoryBound: 0
; FloatMode: 240
; IeeeMode: 1
; LDSByteSize: 280 bytes/workgroup (compile time only)
; SGPRBlocks: 4
; VGPRBlocks: 15
; NumSGPRsForWavesPerEU: 33
; NumVGPRsForWavesPerEU: 62
; Occupancy: 4
; WaveLimiterHint : 0
; COMPUTE_PGM_RSRC2:SCRATCH_EN: 1
; COMPUTE_PGM_RSRC2:USER_SGPR: 6
; COMPUTE_PGM_RSRC2:TRAP_HANDLER: 0
; COMPUTE_PGM_RSRC2:TGID_X_EN: 1
; COMPUTE_PGM_RSRC2:TGID_Y_EN: 0
; COMPUTE_PGM_RSRC2:TGID_Z_EN: 0
; COMPUTE_PGM_RSRC2:TIDIG_COMP_CNT: 0
	.section	.text._ZN9rocsolver6v33100L18trti2_kernel_smallILi18EdPdEEv13rocblas_fill_17rocblas_diagonal_T1_iil,"axG",@progbits,_ZN9rocsolver6v33100L18trti2_kernel_smallILi18EdPdEEv13rocblas_fill_17rocblas_diagonal_T1_iil,comdat
	.globl	_ZN9rocsolver6v33100L18trti2_kernel_smallILi18EdPdEEv13rocblas_fill_17rocblas_diagonal_T1_iil ; -- Begin function _ZN9rocsolver6v33100L18trti2_kernel_smallILi18EdPdEEv13rocblas_fill_17rocblas_diagonal_T1_iil
	.p2align	8
	.type	_ZN9rocsolver6v33100L18trti2_kernel_smallILi18EdPdEEv13rocblas_fill_17rocblas_diagonal_T1_iil,@function
_ZN9rocsolver6v33100L18trti2_kernel_smallILi18EdPdEEv13rocblas_fill_17rocblas_diagonal_T1_iil: ; @_ZN9rocsolver6v33100L18trti2_kernel_smallILi18EdPdEEv13rocblas_fill_17rocblas_diagonal_T1_iil
; %bb.0:
	s_add_u32 s0, s0, s7
	s_addc_u32 s1, s1, 0
	v_cmp_gt_u32_e32 vcc, 18, v0
	s_and_saveexec_b64 s[8:9], vcc
	s_cbranch_execz .LBB17_330
; %bb.1:
	s_load_dwordx8 s[8:15], s[4:5], 0x0
	s_ashr_i32 s7, s6, 31
	v_lshlrev_b32_e32 v39, 3, v0
	s_waitcnt lgkmcnt(0)
	s_ashr_i32 s5, s12, 31
	s_mov_b32 s4, s12
	s_mul_hi_u32 s12, s14, s6
	s_mul_i32 s7, s14, s7
	s_add_i32 s7, s12, s7
	s_mul_i32 s12, s15, s6
	s_add_i32 s7, s7, s12
	s_mul_i32 s6, s14, s6
	s_lshl_b64 s[6:7], s[6:7], 3
	s_add_u32 s6, s10, s6
	s_addc_u32 s7, s11, s7
	s_lshl_b64 s[4:5], s[4:5], 3
	s_add_u32 s4, s6, s4
	s_addc_u32 s5, s7, s5
	v_mov_b32_e32 v2, s5
	v_add_co_u32_e32 v1, vcc, s4, v39
	s_ashr_i32 s7, s13, 31
	s_mov_b32 s6, s13
	v_addc_co_u32_e32 v2, vcc, 0, v2, vcc
	s_lshl_b64 s[6:7], s[6:7], 3
	v_add_co_u32_e32 v3, vcc, s6, v1
	s_add_i32 s6, s13, s13
	v_add_u32_e32 v7, s6, v0
	v_ashrrev_i32_e32 v8, 31, v7
	v_mov_b32_e32 v4, s7
	v_lshlrev_b64 v[5:6], 3, v[7:8]
	v_addc_co_u32_e32 v4, vcc, v2, v4, vcc
	v_add_u32_e32 v9, s13, v7
	v_mov_b32_e32 v8, s5
	v_add_co_u32_e32 v5, vcc, s4, v5
	v_ashrrev_i32_e32 v10, 31, v9
	v_addc_co_u32_e32 v6, vcc, v8, v6, vcc
	v_lshlrev_b64 v[7:8], 3, v[9:10]
	v_mov_b32_e32 v10, s5
	v_add_co_u32_e32 v7, vcc, s4, v7
	global_load_dwordx2 v[15:16], v39, s[4:5]
	v_addc_co_u32_e32 v8, vcc, v10, v8, vcc
	global_load_dwordx2 v[17:18], v[3:4], off
	global_load_dwordx2 v[19:20], v[5:6], off
	global_load_dwordx2 v[21:22], v[7:8], off
	v_add_u32_e32 v11, s13, v9
	v_ashrrev_i32_e32 v12, 31, v11
	v_lshlrev_b64 v[9:10], 3, v[11:12]
	v_mov_b32_e32 v12, s5
	v_add_co_u32_e32 v9, vcc, s4, v9
	v_add_u32_e32 v13, s13, v11
	v_addc_co_u32_e32 v10, vcc, v12, v10, vcc
	v_ashrrev_i32_e32 v14, 31, v13
	global_load_dwordx2 v[23:24], v[9:10], off
	v_lshlrev_b64 v[11:12], 3, v[13:14]
	v_mov_b32_e32 v14, s5
	v_add_co_u32_e32 v11, vcc, s4, v11
	v_addc_co_u32_e32 v12, vcc, v14, v12, vcc
	global_load_dwordx2 v[25:26], v[11:12], off
	v_add_u32_e32 v13, s13, v13
	v_add_u32_e32 v27, s13, v13
	;; [unrolled: 1-line block ×10, first 2 shown]
	v_ashrrev_i32_e32 v14, 31, v13
	v_add_u32_e32 v48, s13, v46
	v_lshlrev_b64 v[28:29], 3, v[13:14]
	v_add_u32_e32 v13, s13, v48
	v_ashrrev_i32_e32 v14, 31, v13
	v_lshlrev_b64 v[13:14], 3, v[13:14]
	v_mov_b32_e32 v31, s5
	v_add_co_u32_e32 v13, vcc, s4, v13
	v_addc_co_u32_e32 v14, vcc, v31, v14, vcc
	global_load_dwordx2 v[50:51], v[13:14], off
	v_ashrrev_i32_e32 v31, 31, v30
	v_ashrrev_i32_e32 v33, 31, v32
	;; [unrolled: 1-line block ×9, first 2 shown]
	s_cmpk_lg_i32 s9, 0x84
	s_cselect_b64 s[10:11], -1, 0
	s_cmpk_eq_i32 s9, 0x84
	s_waitcnt vmcnt(6)
	buffer_store_dword v16, off, s[0:3], 0 offset:4
	buffer_store_dword v15, off, s[0:3], 0
	s_waitcnt vmcnt(7)
	buffer_store_dword v18, off, s[0:3], 0 offset:12
	buffer_store_dword v17, off, s[0:3], 0 offset:8
	s_waitcnt vmcnt(8)
	buffer_store_dword v20, off, s[0:3], 0 offset:20
	buffer_store_dword v19, off, s[0:3], 0 offset:16
	;; [unrolled: 3-line block ×4, first 2 shown]
	v_add_co_u32_e32 v15, vcc, s4, v28
	v_ashrrev_i32_e32 v28, 31, v27
	v_mov_b32_e32 v16, s5
	v_lshlrev_b64 v[17:18], 3, v[27:28]
	v_addc_co_u32_e32 v16, vcc, v16, v29, vcc
	v_mov_b32_e32 v19, s5
	v_add_co_u32_e32 v17, vcc, s4, v17
	v_addc_co_u32_e32 v18, vcc, v19, v18, vcc
	v_lshlrev_b64 v[19:20], 3, v[30:31]
	v_mov_b32_e32 v21, s5
	v_add_co_u32_e32 v19, vcc, s4, v19
	v_addc_co_u32_e32 v20, vcc, v21, v20, vcc
	v_lshlrev_b64 v[21:22], 3, v[32:33]
	;; [unrolled: 4-line block ×3, first 2 shown]
	global_load_dwordx2 v[52:53], v[15:16], off
	global_load_dwordx2 v[54:55], v[17:18], off
	;; [unrolled: 1-line block ×3, first 2 shown]
	s_waitcnt vmcnt(14)
	buffer_store_dword v26, off, s[0:3], 0 offset:44
	buffer_store_dword v25, off, s[0:3], 0 offset:40
	v_mov_b32_e32 v25, s5
	v_add_co_u32_e32 v23, vcc, s4, v23
	v_addc_co_u32_e32 v24, vcc, v25, v24, vcc
	v_lshlrev_b64 v[25:26], 3, v[36:37]
	v_mov_b32_e32 v27, s5
	v_add_co_u32_e32 v25, vcc, s4, v25
	v_addc_co_u32_e32 v26, vcc, v27, v26, vcc
	v_lshlrev_b64 v[27:28], 3, v[40:41]
	v_mov_b32_e32 v29, s5
	v_add_co_u32_e32 v27, vcc, s4, v27
	v_addc_co_u32_e32 v28, vcc, v29, v28, vcc
	global_load_dwordx2 v[37:38], v[21:22], off
	global_load_dwordx2 v[40:41], v[23:24], off
	;; [unrolled: 1-line block ×4, first 2 shown]
	v_lshlrev_b64 v[29:30], 3, v[42:43]
	v_mov_b32_e32 v31, s5
	v_add_co_u32_e32 v29, vcc, s4, v29
	v_addc_co_u32_e32 v30, vcc, v31, v30, vcc
	v_lshlrev_b64 v[31:32], 3, v[44:45]
	v_mov_b32_e32 v33, s5
	v_add_co_u32_e32 v31, vcc, s4, v31
	v_addc_co_u32_e32 v32, vcc, v33, v32, vcc
	v_lshlrev_b64 v[33:34], 3, v[46:47]
	v_mov_b32_e32 v35, s5
	v_add_co_u32_e32 v33, vcc, s4, v33
	v_addc_co_u32_e32 v34, vcc, v35, v34, vcc
	v_lshlrev_b64 v[35:36], 3, v[48:49]
	global_load_dwordx2 v[42:43], v[29:30], off
	global_load_dwordx2 v[46:47], v[33:34], off
	v_mov_b32_e32 v44, s5
	v_add_co_u32_e32 v35, vcc, s4, v35
	v_addc_co_u32_e32 v36, vcc, v44, v36, vcc
	global_load_dwordx2 v[44:45], v[31:32], off
	global_load_dwordx2 v[48:49], v[35:36], off
	s_waitcnt vmcnt(12)
	buffer_store_dword v53, off, s[0:3], 0 offset:52
	buffer_store_dword v52, off, s[0:3], 0 offset:48
	s_waitcnt vmcnt(13)
	buffer_store_dword v55, off, s[0:3], 0 offset:60
	buffer_store_dword v54, off, s[0:3], 0 offset:56
	;; [unrolled: 3-line block ×9, first 2 shown]
	buffer_store_dword v46, off, s[0:3], 0 offset:120
	buffer_store_dword v47, off, s[0:3], 0 offset:124
	s_waitcnt vmcnt(20)
	buffer_store_dword v48, off, s[0:3], 0 offset:128
	buffer_store_dword v49, off, s[0:3], 0 offset:132
	;; [unrolled: 1-line block ×3, first 2 shown]
	v_mov_b32_e32 v37, 0
	v_mov_b32_e32 v38, 0xbff00000
	buffer_store_dword v51, off, s[0:3], 0 offset:140
	s_cbranch_scc1 .LBB17_3
; %bb.2:
	v_mov_b32_e32 v37, 0
	v_lshl_add_u32 v48, v0, 3, v37
	buffer_load_dword v37, v48, s[0:3], 0 offen
	buffer_load_dword v38, v48, s[0:3], 0 offen offset:4
	s_waitcnt vmcnt(0)
	v_div_scale_f64 v[40:41], s[4:5], v[37:38], v[37:38], 1.0
	v_rcp_f64_e32 v[42:43], v[40:41]
	v_fma_f64 v[44:45], -v[40:41], v[42:43], 1.0
	v_fma_f64 v[42:43], v[42:43], v[44:45], v[42:43]
	v_div_scale_f64 v[44:45], vcc, 1.0, v[37:38], 1.0
	v_fma_f64 v[46:47], -v[40:41], v[42:43], 1.0
	v_fma_f64 v[42:43], v[42:43], v[46:47], v[42:43]
	v_mul_f64 v[46:47], v[44:45], v[42:43]
	v_fma_f64 v[40:41], -v[40:41], v[46:47], v[44:45]
	v_div_fmas_f64 v[40:41], v[40:41], v[42:43], v[46:47]
	v_div_fixup_f64 v[37:38], v[40:41], v[37:38], 1.0
	buffer_store_dword v37, v48, s[0:3], 0 offen
	buffer_store_dword v38, v48, s[0:3], 0 offen offset:4
	v_xor_b32_e32 v38, 0x80000000, v38
.LBB17_3:
	s_cmpk_eq_i32 s8, 0x79
	v_add_u32_e32 v40, 0x90, v39
	v_mov_b32_e32 v41, v39
	s_mov_b64 s[4:5], -1
	ds_write_b64 v39, v[37:38]
	s_cbranch_scc1 .LBB17_167
; %bb.4:
	buffer_load_dword v37, off, s[0:3], 0 offset:128
	buffer_load_dword v38, off, s[0:3], 0 offset:132
	s_movk_i32 s12, 0x48
	s_movk_i32 s13, 0x50
	;; [unrolled: 1-line block ×7, first 2 shown]
	v_cmp_eq_u32_e64 s[4:5], 17, v0
	s_waitcnt vmcnt(0)
	ds_write_b64 v40, v[37:38]
	s_waitcnt lgkmcnt(0)
	; wave barrier
	s_and_saveexec_b64 s[6:7], s[4:5]
	s_cbranch_execz .LBB17_10
; %bb.5:
	s_and_b64 vcc, exec, s[10:11]
	s_cbranch_vccz .LBB17_7
; %bb.6:
	buffer_load_dword v37, v41, s[0:3], 0 offen
	buffer_load_dword v38, v41, s[0:3], 0 offen offset:4
	ds_read_b64 v[42:43], v40
	s_waitcnt vmcnt(0) lgkmcnt(0)
	v_mul_f64 v[37:38], v[37:38], v[42:43]
	s_cbranch_execz .LBB17_8
	s_branch .LBB17_9
.LBB17_7:
                                        ; implicit-def: $vgpr37_vgpr38
.LBB17_8:
	ds_read_b64 v[37:38], v40
.LBB17_9:
	v_mov_b32_e32 v42, 0
	ds_read_b64 v[42:43], v42 offset:128
	s_waitcnt lgkmcnt(0)
	v_mul_f64 v[37:38], v[37:38], v[42:43]
	buffer_store_dword v38, off, s[0:3], 0 offset:132
	buffer_store_dword v37, off, s[0:3], 0 offset:128
.LBB17_10:
	s_or_b64 exec, exec, s[6:7]
	buffer_load_dword v37, off, s[0:3], 0 offset:120
	buffer_load_dword v38, off, s[0:3], 0 offset:124
	s_or_b32 s14, 0, 8
	s_mov_b32 s15, 16
	s_mov_b32 s16, 24
	;; [unrolled: 1-line block ×9, first 2 shown]
	v_cmp_lt_u32_e64 s[6:7], 15, v0
	s_waitcnt vmcnt(0)
	ds_write_b64 v40, v[37:38]
	s_waitcnt lgkmcnt(0)
	; wave barrier
	s_and_saveexec_b64 s[8:9], s[6:7]
	s_cbranch_execz .LBB17_16
; %bb.11:
	s_andn2_b64 vcc, exec, s[10:11]
	s_cbranch_vccnz .LBB17_13
; %bb.12:
	buffer_load_dword v37, v41, s[0:3], 0 offen
	buffer_load_dword v38, v41, s[0:3], 0 offen offset:4
	ds_read_b64 v[42:43], v40
	s_waitcnt vmcnt(0) lgkmcnt(0)
	v_mul_f64 v[37:38], v[37:38], v[42:43]
	s_cbranch_execz .LBB17_14
	s_branch .LBB17_15
.LBB17_13:
                                        ; implicit-def: $vgpr37_vgpr38
.LBB17_14:
	ds_read_b64 v[37:38], v40
.LBB17_15:
	buffer_load_dword v46, off, s[0:3], 0 offset:128
	buffer_load_dword v47, off, s[0:3], 0 offset:132
	v_mov_b32_e32 v42, 0
	ds_read2_b64 v[42:45], v42 offset0:15 offset1:34
	s_waitcnt vmcnt(0) lgkmcnt(0)
	v_fma_f64 v[44:45], v[46:47], v[44:45], v[37:38]
	v_cndmask_b32_e64 v38, v38, v45, s[4:5]
	v_cndmask_b32_e64 v37, v37, v44, s[4:5]
	v_mul_f64 v[37:38], v[37:38], v[42:43]
	buffer_store_dword v38, off, s[0:3], 0 offset:124
	buffer_store_dword v37, off, s[0:3], 0 offset:120
.LBB17_16:
	s_or_b64 exec, exec, s[8:9]
	buffer_load_dword v37, off, s[0:3], 0 offset:112
	buffer_load_dword v38, off, s[0:3], 0 offset:116
	v_cmp_lt_u32_e64 s[4:5], 14, v0
	s_waitcnt vmcnt(0)
	ds_write_b64 v40, v[37:38]
	s_waitcnt lgkmcnt(0)
	; wave barrier
	s_and_saveexec_b64 s[8:9], s[4:5]
	s_cbranch_execz .LBB17_26
; %bb.17:
	s_andn2_b64 vcc, exec, s[10:11]
	s_cbranch_vccnz .LBB17_19
; %bb.18:
	buffer_load_dword v37, v41, s[0:3], 0 offen
	buffer_load_dword v38, v41, s[0:3], 0 offen offset:4
	ds_read_b64 v[42:43], v40
	s_waitcnt vmcnt(0) lgkmcnt(0)
	v_mul_f64 v[37:38], v[37:38], v[42:43]
	s_cbranch_execz .LBB17_20
	s_branch .LBB17_21
.LBB17_19:
                                        ; implicit-def: $vgpr37_vgpr38
.LBB17_20:
	ds_read_b64 v[37:38], v40
.LBB17_21:
	s_and_saveexec_b64 s[12:13], s[6:7]
	s_cbranch_execz .LBB17_25
; %bb.22:
	v_add_u32_e32 v42, -15, v0
	s_movk_i32 s29, 0x108
	s_mov_b64 s[6:7], 0
.LBB17_23:                              ; =>This Inner Loop Header: Depth=1
	v_mov_b32_e32 v45, s28
	buffer_load_dword v43, v45, s[0:3], 0 offen
	buffer_load_dword v44, v45, s[0:3], 0 offen offset:4
	v_mov_b32_e32 v45, s29
	ds_read_b64 v[45:46], v45
	v_add_u32_e32 v42, -1, v42
	s_add_i32 s29, s29, 8
	s_add_i32 s28, s28, 8
	v_cmp_eq_u32_e32 vcc, 0, v42
	s_or_b64 s[6:7], vcc, s[6:7]
	s_waitcnt vmcnt(0) lgkmcnt(0)
	v_fma_f64 v[37:38], v[43:44], v[45:46], v[37:38]
	s_andn2_b64 exec, exec, s[6:7]
	s_cbranch_execnz .LBB17_23
; %bb.24:
	s_or_b64 exec, exec, s[6:7]
.LBB17_25:
	s_or_b64 exec, exec, s[12:13]
	v_mov_b32_e32 v42, 0
	ds_read_b64 v[42:43], v42 offset:112
	s_waitcnt lgkmcnt(0)
	v_mul_f64 v[37:38], v[37:38], v[42:43]
	buffer_store_dword v38, off, s[0:3], 0 offset:116
	buffer_store_dword v37, off, s[0:3], 0 offset:112
.LBB17_26:
	s_or_b64 exec, exec, s[8:9]
	buffer_load_dword v37, off, s[0:3], 0 offset:104
	buffer_load_dword v38, off, s[0:3], 0 offset:108
	v_cmp_lt_u32_e64 s[6:7], 13, v0
	s_waitcnt vmcnt(0)
	ds_write_b64 v40, v[37:38]
	s_waitcnt lgkmcnt(0)
	; wave barrier
	s_and_saveexec_b64 s[8:9], s[6:7]
	s_cbranch_execz .LBB17_36
; %bb.27:
	s_andn2_b64 vcc, exec, s[10:11]
	s_cbranch_vccnz .LBB17_29
; %bb.28:
	buffer_load_dword v37, v41, s[0:3], 0 offen
	buffer_load_dword v38, v41, s[0:3], 0 offen offset:4
	ds_read_b64 v[42:43], v40
	s_waitcnt vmcnt(0) lgkmcnt(0)
	v_mul_f64 v[37:38], v[37:38], v[42:43]
	s_cbranch_execz .LBB17_30
	s_branch .LBB17_31
.LBB17_29:
                                        ; implicit-def: $vgpr37_vgpr38
.LBB17_30:
	ds_read_b64 v[37:38], v40
.LBB17_31:
	s_and_saveexec_b64 s[12:13], s[4:5]
	s_cbranch_execz .LBB17_35
; %bb.32:
	v_add_u32_e32 v42, -14, v0
	s_movk_i32 s28, 0x100
	s_mov_b64 s[4:5], 0
.LBB17_33:                              ; =>This Inner Loop Header: Depth=1
	v_mov_b32_e32 v45, s27
	buffer_load_dword v43, v45, s[0:3], 0 offen
	buffer_load_dword v44, v45, s[0:3], 0 offen offset:4
	v_mov_b32_e32 v45, s28
	ds_read_b64 v[45:46], v45
	v_add_u32_e32 v42, -1, v42
	s_add_i32 s28, s28, 8
	s_add_i32 s27, s27, 8
	v_cmp_eq_u32_e32 vcc, 0, v42
	s_or_b64 s[4:5], vcc, s[4:5]
	s_waitcnt vmcnt(0) lgkmcnt(0)
	v_fma_f64 v[37:38], v[43:44], v[45:46], v[37:38]
	s_andn2_b64 exec, exec, s[4:5]
	s_cbranch_execnz .LBB17_33
; %bb.34:
	s_or_b64 exec, exec, s[4:5]
.LBB17_35:
	s_or_b64 exec, exec, s[12:13]
	v_mov_b32_e32 v42, 0
	ds_read_b64 v[42:43], v42 offset:104
	s_waitcnt lgkmcnt(0)
	v_mul_f64 v[37:38], v[37:38], v[42:43]
	buffer_store_dword v38, off, s[0:3], 0 offset:108
	buffer_store_dword v37, off, s[0:3], 0 offset:104
.LBB17_36:
	s_or_b64 exec, exec, s[8:9]
	buffer_load_dword v37, off, s[0:3], 0 offset:96
	buffer_load_dword v38, off, s[0:3], 0 offset:100
	v_cmp_lt_u32_e64 s[4:5], 12, v0
	s_waitcnt vmcnt(0)
	ds_write_b64 v40, v[37:38]
	s_waitcnt lgkmcnt(0)
	; wave barrier
	s_and_saveexec_b64 s[8:9], s[4:5]
	s_cbranch_execz .LBB17_46
; %bb.37:
	s_andn2_b64 vcc, exec, s[10:11]
	s_cbranch_vccnz .LBB17_39
; %bb.38:
	buffer_load_dword v37, v41, s[0:3], 0 offen
	buffer_load_dword v38, v41, s[0:3], 0 offen offset:4
	ds_read_b64 v[42:43], v40
	s_waitcnt vmcnt(0) lgkmcnt(0)
	v_mul_f64 v[37:38], v[37:38], v[42:43]
	s_cbranch_execz .LBB17_40
	s_branch .LBB17_41
.LBB17_39:
                                        ; implicit-def: $vgpr37_vgpr38
.LBB17_40:
	ds_read_b64 v[37:38], v40
.LBB17_41:
	s_and_saveexec_b64 s[12:13], s[6:7]
	s_cbranch_execz .LBB17_45
; %bb.42:
	v_add_u32_e32 v42, -13, v0
	s_movk_i32 s27, 0xf8
	s_mov_b64 s[6:7], 0
.LBB17_43:                              ; =>This Inner Loop Header: Depth=1
	v_mov_b32_e32 v45, s26
	buffer_load_dword v43, v45, s[0:3], 0 offen
	buffer_load_dword v44, v45, s[0:3], 0 offen offset:4
	v_mov_b32_e32 v45, s27
	ds_read_b64 v[45:46], v45
	v_add_u32_e32 v42, -1, v42
	s_add_i32 s27, s27, 8
	s_add_i32 s26, s26, 8
	v_cmp_eq_u32_e32 vcc, 0, v42
	s_or_b64 s[6:7], vcc, s[6:7]
	s_waitcnt vmcnt(0) lgkmcnt(0)
	v_fma_f64 v[37:38], v[43:44], v[45:46], v[37:38]
	s_andn2_b64 exec, exec, s[6:7]
	s_cbranch_execnz .LBB17_43
; %bb.44:
	s_or_b64 exec, exec, s[6:7]
.LBB17_45:
	s_or_b64 exec, exec, s[12:13]
	v_mov_b32_e32 v42, 0
	ds_read_b64 v[42:43], v42 offset:96
	s_waitcnt lgkmcnt(0)
	v_mul_f64 v[37:38], v[37:38], v[42:43]
	buffer_store_dword v38, off, s[0:3], 0 offset:100
	buffer_store_dword v37, off, s[0:3], 0 offset:96
.LBB17_46:
	s_or_b64 exec, exec, s[8:9]
	buffer_load_dword v37, off, s[0:3], 0 offset:88
	buffer_load_dword v38, off, s[0:3], 0 offset:92
	v_cmp_lt_u32_e64 s[6:7], 11, v0
	s_waitcnt vmcnt(0)
	ds_write_b64 v40, v[37:38]
	s_waitcnt lgkmcnt(0)
	; wave barrier
	s_and_saveexec_b64 s[8:9], s[6:7]
	s_cbranch_execz .LBB17_56
; %bb.47:
	s_andn2_b64 vcc, exec, s[10:11]
	s_cbranch_vccnz .LBB17_49
; %bb.48:
	buffer_load_dword v37, v41, s[0:3], 0 offen
	buffer_load_dword v38, v41, s[0:3], 0 offen offset:4
	ds_read_b64 v[42:43], v40
	s_waitcnt vmcnt(0) lgkmcnt(0)
	v_mul_f64 v[37:38], v[37:38], v[42:43]
	s_cbranch_execz .LBB17_50
	s_branch .LBB17_51
.LBB17_49:
                                        ; implicit-def: $vgpr37_vgpr38
.LBB17_50:
	ds_read_b64 v[37:38], v40
.LBB17_51:
	s_and_saveexec_b64 s[12:13], s[4:5]
	s_cbranch_execz .LBB17_55
; %bb.52:
	v_add_u32_e32 v42, -12, v0
	s_movk_i32 s26, 0xf0
	s_mov_b64 s[4:5], 0
.LBB17_53:                              ; =>This Inner Loop Header: Depth=1
	v_mov_b32_e32 v45, s25
	buffer_load_dword v43, v45, s[0:3], 0 offen
	buffer_load_dword v44, v45, s[0:3], 0 offen offset:4
	v_mov_b32_e32 v45, s26
	ds_read_b64 v[45:46], v45
	v_add_u32_e32 v42, -1, v42
	s_add_i32 s26, s26, 8
	s_add_i32 s25, s25, 8
	v_cmp_eq_u32_e32 vcc, 0, v42
	s_or_b64 s[4:5], vcc, s[4:5]
	s_waitcnt vmcnt(0) lgkmcnt(0)
	v_fma_f64 v[37:38], v[43:44], v[45:46], v[37:38]
	s_andn2_b64 exec, exec, s[4:5]
	s_cbranch_execnz .LBB17_53
; %bb.54:
	s_or_b64 exec, exec, s[4:5]
.LBB17_55:
	s_or_b64 exec, exec, s[12:13]
	v_mov_b32_e32 v42, 0
	ds_read_b64 v[42:43], v42 offset:88
	s_waitcnt lgkmcnt(0)
	v_mul_f64 v[37:38], v[37:38], v[42:43]
	buffer_store_dword v38, off, s[0:3], 0 offset:92
	buffer_store_dword v37, off, s[0:3], 0 offset:88
.LBB17_56:
	s_or_b64 exec, exec, s[8:9]
	buffer_load_dword v37, off, s[0:3], 0 offset:80
	buffer_load_dword v38, off, s[0:3], 0 offset:84
	v_cmp_lt_u32_e64 s[4:5], 10, v0
	s_waitcnt vmcnt(0)
	ds_write_b64 v40, v[37:38]
	s_waitcnt lgkmcnt(0)
	; wave barrier
	s_and_saveexec_b64 s[8:9], s[4:5]
	s_cbranch_execz .LBB17_66
; %bb.57:
	s_andn2_b64 vcc, exec, s[10:11]
	s_cbranch_vccnz .LBB17_59
; %bb.58:
	buffer_load_dword v37, v41, s[0:3], 0 offen
	buffer_load_dword v38, v41, s[0:3], 0 offen offset:4
	ds_read_b64 v[42:43], v40
	s_waitcnt vmcnt(0) lgkmcnt(0)
	v_mul_f64 v[37:38], v[37:38], v[42:43]
	s_cbranch_execz .LBB17_60
	s_branch .LBB17_61
.LBB17_59:
                                        ; implicit-def: $vgpr37_vgpr38
.LBB17_60:
	ds_read_b64 v[37:38], v40
.LBB17_61:
	s_and_saveexec_b64 s[12:13], s[6:7]
	s_cbranch_execz .LBB17_65
; %bb.62:
	v_add_u32_e32 v42, -11, v0
	s_movk_i32 s25, 0xe8
	s_mov_b64 s[6:7], 0
.LBB17_63:                              ; =>This Inner Loop Header: Depth=1
	v_mov_b32_e32 v45, s24
	buffer_load_dword v43, v45, s[0:3], 0 offen
	buffer_load_dword v44, v45, s[0:3], 0 offen offset:4
	v_mov_b32_e32 v45, s25
	ds_read_b64 v[45:46], v45
	v_add_u32_e32 v42, -1, v42
	s_add_i32 s25, s25, 8
	s_add_i32 s24, s24, 8
	v_cmp_eq_u32_e32 vcc, 0, v42
	s_or_b64 s[6:7], vcc, s[6:7]
	s_waitcnt vmcnt(0) lgkmcnt(0)
	v_fma_f64 v[37:38], v[43:44], v[45:46], v[37:38]
	s_andn2_b64 exec, exec, s[6:7]
	s_cbranch_execnz .LBB17_63
; %bb.64:
	s_or_b64 exec, exec, s[6:7]
.LBB17_65:
	s_or_b64 exec, exec, s[12:13]
	v_mov_b32_e32 v42, 0
	ds_read_b64 v[42:43], v42 offset:80
	s_waitcnt lgkmcnt(0)
	v_mul_f64 v[37:38], v[37:38], v[42:43]
	buffer_store_dword v38, off, s[0:3], 0 offset:84
	buffer_store_dword v37, off, s[0:3], 0 offset:80
.LBB17_66:
	s_or_b64 exec, exec, s[8:9]
	buffer_load_dword v37, off, s[0:3], 0 offset:72
	buffer_load_dword v38, off, s[0:3], 0 offset:76
	v_cmp_lt_u32_e64 s[6:7], 9, v0
	s_waitcnt vmcnt(0)
	ds_write_b64 v40, v[37:38]
	s_waitcnt lgkmcnt(0)
	; wave barrier
	s_and_saveexec_b64 s[8:9], s[6:7]
	s_cbranch_execz .LBB17_76
; %bb.67:
	s_andn2_b64 vcc, exec, s[10:11]
	s_cbranch_vccnz .LBB17_69
; %bb.68:
	buffer_load_dword v37, v41, s[0:3], 0 offen
	buffer_load_dword v38, v41, s[0:3], 0 offen offset:4
	ds_read_b64 v[42:43], v40
	s_waitcnt vmcnt(0) lgkmcnt(0)
	v_mul_f64 v[37:38], v[37:38], v[42:43]
	s_cbranch_execz .LBB17_70
	s_branch .LBB17_71
.LBB17_69:
                                        ; implicit-def: $vgpr37_vgpr38
.LBB17_70:
	ds_read_b64 v[37:38], v40
.LBB17_71:
	s_and_saveexec_b64 s[12:13], s[4:5]
	s_cbranch_execz .LBB17_75
; %bb.72:
	v_add_u32_e32 v42, -10, v0
	s_movk_i32 s24, 0xe0
	s_mov_b64 s[4:5], 0
.LBB17_73:                              ; =>This Inner Loop Header: Depth=1
	v_mov_b32_e32 v45, s23
	buffer_load_dword v43, v45, s[0:3], 0 offen
	buffer_load_dword v44, v45, s[0:3], 0 offen offset:4
	v_mov_b32_e32 v45, s24
	ds_read_b64 v[45:46], v45
	v_add_u32_e32 v42, -1, v42
	s_add_i32 s24, s24, 8
	s_add_i32 s23, s23, 8
	v_cmp_eq_u32_e32 vcc, 0, v42
	s_or_b64 s[4:5], vcc, s[4:5]
	s_waitcnt vmcnt(0) lgkmcnt(0)
	v_fma_f64 v[37:38], v[43:44], v[45:46], v[37:38]
	s_andn2_b64 exec, exec, s[4:5]
	s_cbranch_execnz .LBB17_73
; %bb.74:
	s_or_b64 exec, exec, s[4:5]
.LBB17_75:
	s_or_b64 exec, exec, s[12:13]
	v_mov_b32_e32 v42, 0
	ds_read_b64 v[42:43], v42 offset:72
	s_waitcnt lgkmcnt(0)
	v_mul_f64 v[37:38], v[37:38], v[42:43]
	buffer_store_dword v38, off, s[0:3], 0 offset:76
	buffer_store_dword v37, off, s[0:3], 0 offset:72
.LBB17_76:
	s_or_b64 exec, exec, s[8:9]
	buffer_load_dword v37, off, s[0:3], 0 offset:64
	buffer_load_dword v38, off, s[0:3], 0 offset:68
	v_cmp_lt_u32_e64 s[4:5], 8, v0
	s_waitcnt vmcnt(0)
	ds_write_b64 v40, v[37:38]
	s_waitcnt lgkmcnt(0)
	; wave barrier
	s_and_saveexec_b64 s[8:9], s[4:5]
	s_cbranch_execz .LBB17_86
; %bb.77:
	s_andn2_b64 vcc, exec, s[10:11]
	s_cbranch_vccnz .LBB17_79
; %bb.78:
	buffer_load_dword v37, v41, s[0:3], 0 offen
	buffer_load_dword v38, v41, s[0:3], 0 offen offset:4
	ds_read_b64 v[42:43], v40
	s_waitcnt vmcnt(0) lgkmcnt(0)
	v_mul_f64 v[37:38], v[37:38], v[42:43]
	s_cbranch_execz .LBB17_80
	s_branch .LBB17_81
.LBB17_79:
                                        ; implicit-def: $vgpr37_vgpr38
.LBB17_80:
	ds_read_b64 v[37:38], v40
.LBB17_81:
	s_and_saveexec_b64 s[12:13], s[6:7]
	s_cbranch_execz .LBB17_85
; %bb.82:
	v_add_u32_e32 v42, -9, v0
	s_movk_i32 s23, 0xd8
	s_mov_b64 s[6:7], 0
.LBB17_83:                              ; =>This Inner Loop Header: Depth=1
	v_mov_b32_e32 v45, s22
	buffer_load_dword v43, v45, s[0:3], 0 offen
	buffer_load_dword v44, v45, s[0:3], 0 offen offset:4
	v_mov_b32_e32 v45, s23
	ds_read_b64 v[45:46], v45
	v_add_u32_e32 v42, -1, v42
	s_add_i32 s23, s23, 8
	s_add_i32 s22, s22, 8
	v_cmp_eq_u32_e32 vcc, 0, v42
	s_or_b64 s[6:7], vcc, s[6:7]
	s_waitcnt vmcnt(0) lgkmcnt(0)
	v_fma_f64 v[37:38], v[43:44], v[45:46], v[37:38]
	s_andn2_b64 exec, exec, s[6:7]
	s_cbranch_execnz .LBB17_83
; %bb.84:
	s_or_b64 exec, exec, s[6:7]
.LBB17_85:
	s_or_b64 exec, exec, s[12:13]
	v_mov_b32_e32 v42, 0
	ds_read_b64 v[42:43], v42 offset:64
	s_waitcnt lgkmcnt(0)
	v_mul_f64 v[37:38], v[37:38], v[42:43]
	buffer_store_dword v38, off, s[0:3], 0 offset:68
	buffer_store_dword v37, off, s[0:3], 0 offset:64
.LBB17_86:
	s_or_b64 exec, exec, s[8:9]
	buffer_load_dword v37, off, s[0:3], 0 offset:56
	buffer_load_dword v38, off, s[0:3], 0 offset:60
	v_cmp_lt_u32_e64 s[6:7], 7, v0
	s_waitcnt vmcnt(0)
	ds_write_b64 v40, v[37:38]
	s_waitcnt lgkmcnt(0)
	; wave barrier
	s_and_saveexec_b64 s[8:9], s[6:7]
	s_cbranch_execz .LBB17_96
; %bb.87:
	s_andn2_b64 vcc, exec, s[10:11]
	s_cbranch_vccnz .LBB17_89
; %bb.88:
	buffer_load_dword v37, v41, s[0:3], 0 offen
	buffer_load_dword v38, v41, s[0:3], 0 offen offset:4
	ds_read_b64 v[42:43], v40
	s_waitcnt vmcnt(0) lgkmcnt(0)
	v_mul_f64 v[37:38], v[37:38], v[42:43]
	s_cbranch_execz .LBB17_90
	s_branch .LBB17_91
.LBB17_89:
                                        ; implicit-def: $vgpr37_vgpr38
.LBB17_90:
	ds_read_b64 v[37:38], v40
.LBB17_91:
	s_and_saveexec_b64 s[12:13], s[4:5]
	s_cbranch_execz .LBB17_95
; %bb.92:
	v_add_u32_e32 v42, -8, v0
	s_movk_i32 s22, 0xd0
	s_mov_b64 s[4:5], 0
.LBB17_93:                              ; =>This Inner Loop Header: Depth=1
	v_mov_b32_e32 v45, s21
	buffer_load_dword v43, v45, s[0:3], 0 offen
	buffer_load_dword v44, v45, s[0:3], 0 offen offset:4
	v_mov_b32_e32 v45, s22
	ds_read_b64 v[45:46], v45
	v_add_u32_e32 v42, -1, v42
	s_add_i32 s22, s22, 8
	s_add_i32 s21, s21, 8
	v_cmp_eq_u32_e32 vcc, 0, v42
	s_or_b64 s[4:5], vcc, s[4:5]
	s_waitcnt vmcnt(0) lgkmcnt(0)
	v_fma_f64 v[37:38], v[43:44], v[45:46], v[37:38]
	s_andn2_b64 exec, exec, s[4:5]
	s_cbranch_execnz .LBB17_93
; %bb.94:
	s_or_b64 exec, exec, s[4:5]
.LBB17_95:
	s_or_b64 exec, exec, s[12:13]
	v_mov_b32_e32 v42, 0
	ds_read_b64 v[42:43], v42 offset:56
	s_waitcnt lgkmcnt(0)
	v_mul_f64 v[37:38], v[37:38], v[42:43]
	buffer_store_dword v38, off, s[0:3], 0 offset:60
	buffer_store_dword v37, off, s[0:3], 0 offset:56
.LBB17_96:
	s_or_b64 exec, exec, s[8:9]
	buffer_load_dword v37, off, s[0:3], 0 offset:48
	buffer_load_dword v38, off, s[0:3], 0 offset:52
	v_cmp_lt_u32_e64 s[4:5], 6, v0
	s_waitcnt vmcnt(0)
	ds_write_b64 v40, v[37:38]
	s_waitcnt lgkmcnt(0)
	; wave barrier
	s_and_saveexec_b64 s[8:9], s[4:5]
	s_cbranch_execz .LBB17_106
; %bb.97:
	s_andn2_b64 vcc, exec, s[10:11]
	s_cbranch_vccnz .LBB17_99
; %bb.98:
	buffer_load_dword v37, v41, s[0:3], 0 offen
	buffer_load_dword v38, v41, s[0:3], 0 offen offset:4
	ds_read_b64 v[42:43], v40
	s_waitcnt vmcnt(0) lgkmcnt(0)
	v_mul_f64 v[37:38], v[37:38], v[42:43]
	s_cbranch_execz .LBB17_100
	s_branch .LBB17_101
.LBB17_99:
                                        ; implicit-def: $vgpr37_vgpr38
.LBB17_100:
	ds_read_b64 v[37:38], v40
.LBB17_101:
	s_and_saveexec_b64 s[12:13], s[6:7]
	s_cbranch_execz .LBB17_105
; %bb.102:
	v_add_u32_e32 v42, -7, v0
	s_movk_i32 s21, 0xc8
	s_mov_b64 s[6:7], 0
.LBB17_103:                             ; =>This Inner Loop Header: Depth=1
	v_mov_b32_e32 v45, s20
	buffer_load_dword v43, v45, s[0:3], 0 offen
	buffer_load_dword v44, v45, s[0:3], 0 offen offset:4
	v_mov_b32_e32 v45, s21
	ds_read_b64 v[45:46], v45
	v_add_u32_e32 v42, -1, v42
	s_add_i32 s21, s21, 8
	s_add_i32 s20, s20, 8
	v_cmp_eq_u32_e32 vcc, 0, v42
	s_or_b64 s[6:7], vcc, s[6:7]
	s_waitcnt vmcnt(0) lgkmcnt(0)
	v_fma_f64 v[37:38], v[43:44], v[45:46], v[37:38]
	s_andn2_b64 exec, exec, s[6:7]
	s_cbranch_execnz .LBB17_103
; %bb.104:
	s_or_b64 exec, exec, s[6:7]
.LBB17_105:
	s_or_b64 exec, exec, s[12:13]
	v_mov_b32_e32 v42, 0
	ds_read_b64 v[42:43], v42 offset:48
	s_waitcnt lgkmcnt(0)
	v_mul_f64 v[37:38], v[37:38], v[42:43]
	buffer_store_dword v38, off, s[0:3], 0 offset:52
	buffer_store_dword v37, off, s[0:3], 0 offset:48
.LBB17_106:
	s_or_b64 exec, exec, s[8:9]
	buffer_load_dword v37, off, s[0:3], 0 offset:40
	buffer_load_dword v38, off, s[0:3], 0 offset:44
	v_cmp_lt_u32_e64 s[6:7], 5, v0
	s_waitcnt vmcnt(0)
	ds_write_b64 v40, v[37:38]
	s_waitcnt lgkmcnt(0)
	; wave barrier
	s_and_saveexec_b64 s[8:9], s[6:7]
	s_cbranch_execz .LBB17_116
; %bb.107:
	s_andn2_b64 vcc, exec, s[10:11]
	s_cbranch_vccnz .LBB17_109
; %bb.108:
	buffer_load_dword v37, v41, s[0:3], 0 offen
	buffer_load_dword v38, v41, s[0:3], 0 offen offset:4
	ds_read_b64 v[42:43], v40
	s_waitcnt vmcnt(0) lgkmcnt(0)
	v_mul_f64 v[37:38], v[37:38], v[42:43]
	s_cbranch_execz .LBB17_110
	s_branch .LBB17_111
.LBB17_109:
                                        ; implicit-def: $vgpr37_vgpr38
.LBB17_110:
	ds_read_b64 v[37:38], v40
.LBB17_111:
	s_and_saveexec_b64 s[12:13], s[4:5]
	s_cbranch_execz .LBB17_115
; %bb.112:
	v_add_u32_e32 v42, -6, v0
	s_movk_i32 s20, 0xc0
	s_mov_b64 s[4:5], 0
.LBB17_113:                             ; =>This Inner Loop Header: Depth=1
	v_mov_b32_e32 v45, s19
	buffer_load_dword v43, v45, s[0:3], 0 offen
	buffer_load_dword v44, v45, s[0:3], 0 offen offset:4
	v_mov_b32_e32 v45, s20
	ds_read_b64 v[45:46], v45
	v_add_u32_e32 v42, -1, v42
	s_add_i32 s20, s20, 8
	s_add_i32 s19, s19, 8
	v_cmp_eq_u32_e32 vcc, 0, v42
	s_or_b64 s[4:5], vcc, s[4:5]
	s_waitcnt vmcnt(0) lgkmcnt(0)
	v_fma_f64 v[37:38], v[43:44], v[45:46], v[37:38]
	s_andn2_b64 exec, exec, s[4:5]
	s_cbranch_execnz .LBB17_113
; %bb.114:
	s_or_b64 exec, exec, s[4:5]
.LBB17_115:
	s_or_b64 exec, exec, s[12:13]
	v_mov_b32_e32 v42, 0
	ds_read_b64 v[42:43], v42 offset:40
	s_waitcnt lgkmcnt(0)
	v_mul_f64 v[37:38], v[37:38], v[42:43]
	buffer_store_dword v38, off, s[0:3], 0 offset:44
	buffer_store_dword v37, off, s[0:3], 0 offset:40
.LBB17_116:
	;; [unrolled: 58-line block ×6, first 2 shown]
	s_or_b64 exec, exec, s[8:9]
	buffer_load_dword v37, off, s[0:3], 0
	buffer_load_dword v38, off, s[0:3], 0 offset:4
	v_cmp_ne_u32_e32 vcc, 0, v0
	s_waitcnt vmcnt(0)
	ds_write_b64 v40, v[37:38]
	s_waitcnt lgkmcnt(0)
	; wave barrier
	s_and_saveexec_b64 s[4:5], vcc
	s_cbranch_execz .LBB17_166
; %bb.157:
	s_andn2_b64 vcc, exec, s[10:11]
	s_cbranch_vccnz .LBB17_159
; %bb.158:
	buffer_load_dword v37, v41, s[0:3], 0 offen
	buffer_load_dword v38, v41, s[0:3], 0 offen offset:4
	ds_read_b64 v[42:43], v40
	s_waitcnt vmcnt(0) lgkmcnt(0)
	v_mul_f64 v[37:38], v[37:38], v[42:43]
	s_cbranch_execz .LBB17_160
	s_branch .LBB17_161
.LBB17_159:
                                        ; implicit-def: $vgpr37_vgpr38
.LBB17_160:
	ds_read_b64 v[37:38], v40
.LBB17_161:
	s_and_saveexec_b64 s[8:9], s[6:7]
	s_cbranch_execz .LBB17_165
; %bb.162:
	v_add_u32_e32 v42, -1, v0
	s_movk_i32 s12, 0x98
	s_mov_b64 s[6:7], 0
.LBB17_163:                             ; =>This Inner Loop Header: Depth=1
	v_mov_b32_e32 v45, s14
	buffer_load_dword v43, v45, s[0:3], 0 offen
	buffer_load_dword v44, v45, s[0:3], 0 offen offset:4
	v_mov_b32_e32 v45, s12
	ds_read_b64 v[45:46], v45
	v_add_u32_e32 v42, -1, v42
	s_add_i32 s12, s12, 8
	s_add_i32 s14, s14, 8
	v_cmp_eq_u32_e32 vcc, 0, v42
	s_or_b64 s[6:7], vcc, s[6:7]
	s_waitcnt vmcnt(0) lgkmcnt(0)
	v_fma_f64 v[37:38], v[43:44], v[45:46], v[37:38]
	s_andn2_b64 exec, exec, s[6:7]
	s_cbranch_execnz .LBB17_163
; %bb.164:
	s_or_b64 exec, exec, s[6:7]
.LBB17_165:
	s_or_b64 exec, exec, s[8:9]
	v_mov_b32_e32 v42, 0
	ds_read_b64 v[42:43], v42
	s_waitcnt lgkmcnt(0)
	v_mul_f64 v[37:38], v[37:38], v[42:43]
	buffer_store_dword v38, off, s[0:3], 0 offset:4
	buffer_store_dword v37, off, s[0:3], 0
.LBB17_166:
	s_or_b64 exec, exec, s[4:5]
	s_mov_b64 s[4:5], 0
.LBB17_167:
	s_and_b64 vcc, exec, s[4:5]
	s_cbranch_vccz .LBB17_329
; %bb.168:
	buffer_load_dword v37, off, s[0:3], 0 offset:8
	buffer_load_dword v38, off, s[0:3], 0 offset:12
	v_cmp_eq_u32_e64 s[6:7], 0, v0
	s_waitcnt vmcnt(0)
	ds_write_b64 v40, v[37:38]
	s_waitcnt lgkmcnt(0)
	; wave barrier
	s_and_saveexec_b64 s[4:5], s[6:7]
	s_cbranch_execz .LBB17_174
; %bb.169:
	s_and_b64 vcc, exec, s[10:11]
	s_cbranch_vccz .LBB17_171
; %bb.170:
	buffer_load_dword v37, v41, s[0:3], 0 offen
	buffer_load_dword v38, v41, s[0:3], 0 offen offset:4
	ds_read_b64 v[42:43], v40
	s_waitcnt vmcnt(0) lgkmcnt(0)
	v_mul_f64 v[37:38], v[37:38], v[42:43]
	s_cbranch_execz .LBB17_172
	s_branch .LBB17_173
.LBB17_171:
                                        ; implicit-def: $vgpr37_vgpr38
.LBB17_172:
	ds_read_b64 v[37:38], v40
.LBB17_173:
	v_mov_b32_e32 v42, 0
	ds_read_b64 v[42:43], v42 offset:8
	s_waitcnt lgkmcnt(0)
	v_mul_f64 v[37:38], v[37:38], v[42:43]
	buffer_store_dword v38, off, s[0:3], 0 offset:12
	buffer_store_dword v37, off, s[0:3], 0 offset:8
.LBB17_174:
	s_or_b64 exec, exec, s[4:5]
	buffer_load_dword v37, off, s[0:3], 0 offset:16
	buffer_load_dword v38, off, s[0:3], 0 offset:20
	v_cndmask_b32_e64 v42, 0, 1, s[10:11]
	v_cmp_gt_u32_e32 vcc, 2, v0
	v_cmp_ne_u32_e64 s[4:5], 1, v42
	s_waitcnt vmcnt(0)
	ds_write_b64 v40, v[37:38]
	s_waitcnt lgkmcnt(0)
	; wave barrier
	s_and_saveexec_b64 s[8:9], vcc
	s_cbranch_execz .LBB17_180
; %bb.175:
	s_and_b64 vcc, exec, s[4:5]
	s_cbranch_vccnz .LBB17_177
; %bb.176:
	buffer_load_dword v37, v41, s[0:3], 0 offen
	buffer_load_dword v38, v41, s[0:3], 0 offen offset:4
	ds_read_b64 v[42:43], v40
	s_waitcnt vmcnt(0) lgkmcnt(0)
	v_mul_f64 v[37:38], v[37:38], v[42:43]
	s_cbranch_execz .LBB17_178
	s_branch .LBB17_179
.LBB17_177:
                                        ; implicit-def: $vgpr37_vgpr38
.LBB17_178:
	ds_read_b64 v[37:38], v40
.LBB17_179:
	buffer_load_dword v46, off, s[0:3], 0 offset:8
	buffer_load_dword v47, off, s[0:3], 0 offset:12
	v_mov_b32_e32 v42, 0
	ds_read2_b64 v[42:45], v42 offset0:2 offset1:19
	s_waitcnt vmcnt(0) lgkmcnt(0)
	v_fma_f64 v[44:45], v[46:47], v[44:45], v[37:38]
	v_cndmask_b32_e64 v38, v38, v45, s[6:7]
	v_cndmask_b32_e64 v37, v37, v44, s[6:7]
	v_mul_f64 v[37:38], v[37:38], v[42:43]
	buffer_store_dword v38, off, s[0:3], 0 offset:20
	buffer_store_dword v37, off, s[0:3], 0 offset:16
.LBB17_180:
	s_or_b64 exec, exec, s[8:9]
	buffer_load_dword v37, off, s[0:3], 0 offset:24
	buffer_load_dword v38, off, s[0:3], 0 offset:28
	v_cmp_gt_u32_e32 vcc, 3, v0
	s_waitcnt vmcnt(0)
	ds_write_b64 v40, v[37:38]
	s_waitcnt lgkmcnt(0)
	; wave barrier
	s_and_saveexec_b64 s[8:9], vcc
	s_cbranch_execz .LBB17_188
; %bb.181:
	s_and_b64 vcc, exec, s[4:5]
	s_cbranch_vccnz .LBB17_183
; %bb.182:
	buffer_load_dword v37, v41, s[0:3], 0 offen
	buffer_load_dword v38, v41, s[0:3], 0 offen offset:4
	ds_read_b64 v[42:43], v40
	s_waitcnt vmcnt(0) lgkmcnt(0)
	v_mul_f64 v[37:38], v[37:38], v[42:43]
	s_cbranch_execz .LBB17_184
	s_branch .LBB17_185
.LBB17_183:
                                        ; implicit-def: $vgpr37_vgpr38
.LBB17_184:
	ds_read_b64 v[37:38], v40
.LBB17_185:
	v_cmp_ne_u32_e32 vcc, 2, v0
	s_and_saveexec_b64 s[10:11], vcc
	s_cbranch_execz .LBB17_187
; %bb.186:
	buffer_load_dword v42, v41, s[0:3], 0 offen offset:8
	buffer_load_dword v43, v41, s[0:3], 0 offen offset:12
	buffer_load_dword v44, off, s[0:3], 0 offset:16
	buffer_load_dword v45, off, s[0:3], 0 offset:20
	ds_read_b64 v[46:47], v40 offset:8
	v_mov_b32_e32 v48, 0
	ds_read_b64 v[48:49], v48 offset:160
	s_waitcnt vmcnt(2) lgkmcnt(1)
	v_fma_f64 v[37:38], v[42:43], v[46:47], v[37:38]
	s_waitcnt vmcnt(0) lgkmcnt(0)
	v_fma_f64 v[42:43], v[44:45], v[48:49], v[37:38]
	v_cndmask_b32_e64 v38, v38, v43, s[6:7]
	v_cndmask_b32_e64 v37, v37, v42, s[6:7]
.LBB17_187:
	s_or_b64 exec, exec, s[10:11]
	v_mov_b32_e32 v42, 0
	ds_read_b64 v[42:43], v42 offset:24
	s_waitcnt lgkmcnt(0)
	v_mul_f64 v[37:38], v[37:38], v[42:43]
	buffer_store_dword v38, off, s[0:3], 0 offset:28
	buffer_store_dword v37, off, s[0:3], 0 offset:24
.LBB17_188:
	s_or_b64 exec, exec, s[8:9]
	buffer_load_dword v37, off, s[0:3], 0 offset:32
	buffer_load_dword v38, off, s[0:3], 0 offset:36
	v_cmp_gt_u32_e32 vcc, 4, v0
	s_waitcnt vmcnt(0)
	ds_write_b64 v40, v[37:38]
	s_waitcnt lgkmcnt(0)
	; wave barrier
	s_and_saveexec_b64 s[6:7], vcc
	s_cbranch_execz .LBB17_198
; %bb.189:
	s_and_b64 vcc, exec, s[4:5]
	s_cbranch_vccnz .LBB17_191
; %bb.190:
	buffer_load_dword v37, v41, s[0:3], 0 offen
	buffer_load_dword v38, v41, s[0:3], 0 offen offset:4
	ds_read_b64 v[42:43], v40
	s_waitcnt vmcnt(0) lgkmcnt(0)
	v_mul_f64 v[37:38], v[37:38], v[42:43]
	s_cbranch_execz .LBB17_192
	s_branch .LBB17_193
.LBB17_191:
                                        ; implicit-def: $vgpr37_vgpr38
.LBB17_192:
	ds_read_b64 v[37:38], v40
.LBB17_193:
	v_cmp_ne_u32_e32 vcc, 3, v0
	s_and_saveexec_b64 s[8:9], vcc
	s_cbranch_execz .LBB17_197
; %bb.194:
	s_mov_b32 s10, 0
	v_add_u32_e32 v42, 0x98, v39
	v_add3_u32 v43, v39, s10, 8
	s_mov_b64 s[10:11], 0
	v_mov_b32_e32 v44, v0
.LBB17_195:                             ; =>This Inner Loop Header: Depth=1
	buffer_load_dword v45, v43, s[0:3], 0 offen
	buffer_load_dword v46, v43, s[0:3], 0 offen offset:4
	ds_read_b64 v[47:48], v42
	v_add_u32_e32 v44, 1, v44
	v_cmp_lt_u32_e32 vcc, 2, v44
	v_add_u32_e32 v42, 8, v42
	s_or_b64 s[10:11], vcc, s[10:11]
	v_add_u32_e32 v43, 8, v43
	s_waitcnt vmcnt(0) lgkmcnt(0)
	v_fma_f64 v[37:38], v[45:46], v[47:48], v[37:38]
	s_andn2_b64 exec, exec, s[10:11]
	s_cbranch_execnz .LBB17_195
; %bb.196:
	s_or_b64 exec, exec, s[10:11]
.LBB17_197:
	s_or_b64 exec, exec, s[8:9]
	v_mov_b32_e32 v42, 0
	ds_read_b64 v[42:43], v42 offset:32
	s_waitcnt lgkmcnt(0)
	v_mul_f64 v[37:38], v[37:38], v[42:43]
	buffer_store_dword v38, off, s[0:3], 0 offset:36
	buffer_store_dword v37, off, s[0:3], 0 offset:32
.LBB17_198:
	s_or_b64 exec, exec, s[6:7]
	buffer_load_dword v37, off, s[0:3], 0 offset:40
	buffer_load_dword v38, off, s[0:3], 0 offset:44
	v_cmp_gt_u32_e32 vcc, 5, v0
	s_waitcnt vmcnt(0)
	ds_write_b64 v40, v[37:38]
	s_waitcnt lgkmcnt(0)
	; wave barrier
	s_and_saveexec_b64 s[6:7], vcc
	s_cbranch_execz .LBB17_208
; %bb.199:
	s_and_b64 vcc, exec, s[4:5]
	s_cbranch_vccnz .LBB17_201
; %bb.200:
	buffer_load_dword v37, v41, s[0:3], 0 offen
	buffer_load_dword v38, v41, s[0:3], 0 offen offset:4
	ds_read_b64 v[42:43], v40
	s_waitcnt vmcnt(0) lgkmcnt(0)
	v_mul_f64 v[37:38], v[37:38], v[42:43]
	s_cbranch_execz .LBB17_202
	s_branch .LBB17_203
.LBB17_201:
                                        ; implicit-def: $vgpr37_vgpr38
.LBB17_202:
	ds_read_b64 v[37:38], v40
.LBB17_203:
	v_cmp_ne_u32_e32 vcc, 4, v0
	s_and_saveexec_b64 s[8:9], vcc
	s_cbranch_execz .LBB17_207
; %bb.204:
	s_mov_b32 s10, 0
	v_add_u32_e32 v42, 0x98, v39
	v_add3_u32 v43, v39, s10, 8
	s_mov_b64 s[10:11], 0
	v_mov_b32_e32 v44, v0
.LBB17_205:                             ; =>This Inner Loop Header: Depth=1
	buffer_load_dword v45, v43, s[0:3], 0 offen
	buffer_load_dword v46, v43, s[0:3], 0 offen offset:4
	ds_read_b64 v[47:48], v42
	v_add_u32_e32 v44, 1, v44
	v_cmp_lt_u32_e32 vcc, 3, v44
	v_add_u32_e32 v42, 8, v42
	s_or_b64 s[10:11], vcc, s[10:11]
	v_add_u32_e32 v43, 8, v43
	s_waitcnt vmcnt(0) lgkmcnt(0)
	v_fma_f64 v[37:38], v[45:46], v[47:48], v[37:38]
	s_andn2_b64 exec, exec, s[10:11]
	s_cbranch_execnz .LBB17_205
; %bb.206:
	s_or_b64 exec, exec, s[10:11]
.LBB17_207:
	s_or_b64 exec, exec, s[8:9]
	v_mov_b32_e32 v42, 0
	ds_read_b64 v[42:43], v42 offset:40
	s_waitcnt lgkmcnt(0)
	v_mul_f64 v[37:38], v[37:38], v[42:43]
	buffer_store_dword v38, off, s[0:3], 0 offset:44
	buffer_store_dword v37, off, s[0:3], 0 offset:40
.LBB17_208:
	;; [unrolled: 59-line block ×12, first 2 shown]
	s_or_b64 exec, exec, s[6:7]
	buffer_load_dword v37, off, s[0:3], 0 offset:128
	buffer_load_dword v38, off, s[0:3], 0 offset:132
	v_cmp_gt_u32_e64 s[6:7], 16, v0
	s_waitcnt vmcnt(0)
	ds_write_b64 v40, v[37:38]
	s_waitcnt lgkmcnt(0)
	; wave barrier
	s_and_saveexec_b64 s[8:9], s[6:7]
	s_cbranch_execz .LBB17_318
; %bb.309:
	s_and_b64 vcc, exec, s[4:5]
	s_cbranch_vccnz .LBB17_311
; %bb.310:
	buffer_load_dword v37, v41, s[0:3], 0 offen
	buffer_load_dword v38, v41, s[0:3], 0 offen offset:4
	ds_read_b64 v[42:43], v40
	s_waitcnt vmcnt(0) lgkmcnt(0)
	v_mul_f64 v[37:38], v[37:38], v[42:43]
	s_cbranch_execz .LBB17_312
	s_branch .LBB17_313
.LBB17_311:
                                        ; implicit-def: $vgpr37_vgpr38
.LBB17_312:
	ds_read_b64 v[37:38], v40
.LBB17_313:
	v_cmp_ne_u32_e32 vcc, 15, v0
	s_and_saveexec_b64 s[10:11], vcc
	s_cbranch_execz .LBB17_317
; %bb.314:
	s_mov_b32 s12, 0
	v_add_u32_e32 v42, 0x98, v39
	v_add3_u32 v43, v39, s12, 8
	s_mov_b64 s[12:13], 0
	v_mov_b32_e32 v44, v0
.LBB17_315:                             ; =>This Inner Loop Header: Depth=1
	buffer_load_dword v45, v43, s[0:3], 0 offen
	buffer_load_dword v46, v43, s[0:3], 0 offen offset:4
	ds_read_b64 v[47:48], v42
	v_add_u32_e32 v44, 1, v44
	v_cmp_lt_u32_e32 vcc, 14, v44
	v_add_u32_e32 v42, 8, v42
	s_or_b64 s[12:13], vcc, s[12:13]
	v_add_u32_e32 v43, 8, v43
	s_waitcnt vmcnt(0) lgkmcnt(0)
	v_fma_f64 v[37:38], v[45:46], v[47:48], v[37:38]
	s_andn2_b64 exec, exec, s[12:13]
	s_cbranch_execnz .LBB17_315
; %bb.316:
	s_or_b64 exec, exec, s[12:13]
.LBB17_317:
	s_or_b64 exec, exec, s[10:11]
	v_mov_b32_e32 v42, 0
	ds_read_b64 v[42:43], v42 offset:128
	s_waitcnt lgkmcnt(0)
	v_mul_f64 v[37:38], v[37:38], v[42:43]
	buffer_store_dword v38, off, s[0:3], 0 offset:132
	buffer_store_dword v37, off, s[0:3], 0 offset:128
.LBB17_318:
	s_or_b64 exec, exec, s[8:9]
	buffer_load_dword v37, off, s[0:3], 0 offset:136
	buffer_load_dword v38, off, s[0:3], 0 offset:140
	v_cmp_ne_u32_e32 vcc, 17, v0
	s_waitcnt vmcnt(0)
	ds_write_b64 v40, v[37:38]
	s_waitcnt lgkmcnt(0)
	; wave barrier
	s_and_saveexec_b64 s[8:9], vcc
	s_cbranch_execz .LBB17_328
; %bb.319:
	s_and_b64 vcc, exec, s[4:5]
	s_cbranch_vccnz .LBB17_321
; %bb.320:
	buffer_load_dword v37, v41, s[0:3], 0 offen
	buffer_load_dword v38, v41, s[0:3], 0 offen offset:4
	ds_read_b64 v[41:42], v40
	s_waitcnt vmcnt(0) lgkmcnt(0)
	v_mul_f64 v[37:38], v[37:38], v[41:42]
	s_cbranch_execz .LBB17_322
	s_branch .LBB17_323
.LBB17_321:
                                        ; implicit-def: $vgpr37_vgpr38
.LBB17_322:
	ds_read_b64 v[37:38], v40
.LBB17_323:
	s_and_saveexec_b64 s[4:5], s[6:7]
	s_cbranch_execz .LBB17_327
; %bb.324:
	s_mov_b32 s6, 0
	v_add_u32_e32 v40, 0x98, v39
	v_add3_u32 v39, v39, s6, 8
	s_mov_b64 s[6:7], 0
.LBB17_325:                             ; =>This Inner Loop Header: Depth=1
	buffer_load_dword v41, v39, s[0:3], 0 offen
	buffer_load_dword v42, v39, s[0:3], 0 offen offset:4
	ds_read_b64 v[43:44], v40
	v_add_u32_e32 v0, 1, v0
	v_cmp_lt_u32_e32 vcc, 15, v0
	v_add_u32_e32 v40, 8, v40
	s_or_b64 s[6:7], vcc, s[6:7]
	v_add_u32_e32 v39, 8, v39
	s_waitcnt vmcnt(0) lgkmcnt(0)
	v_fma_f64 v[37:38], v[41:42], v[43:44], v[37:38]
	s_andn2_b64 exec, exec, s[6:7]
	s_cbranch_execnz .LBB17_325
; %bb.326:
	s_or_b64 exec, exec, s[6:7]
.LBB17_327:
	s_or_b64 exec, exec, s[4:5]
	v_mov_b32_e32 v0, 0
	ds_read_b64 v[39:40], v0 offset:136
	s_waitcnt lgkmcnt(0)
	v_mul_f64 v[37:38], v[37:38], v[39:40]
	buffer_store_dword v38, off, s[0:3], 0 offset:140
	buffer_store_dword v37, off, s[0:3], 0 offset:136
.LBB17_328:
	s_or_b64 exec, exec, s[8:9]
.LBB17_329:
	buffer_load_dword v37, off, s[0:3], 0
	buffer_load_dword v38, off, s[0:3], 0 offset:4
	buffer_load_dword v39, off, s[0:3], 0 offset:8
	;; [unrolled: 1-line block ×23, first 2 shown]
	s_waitcnt vmcnt(22)
	global_store_dwordx2 v[1:2], v[37:38], off
	s_waitcnt vmcnt(21)
	global_store_dwordx2 v[3:4], v[39:40], off
	buffer_load_dword v0, off, s[0:3], 0 offset:96
	buffer_load_dword v1, off, s[0:3], 0 offset:100
	buffer_load_dword v2, off, s[0:3], 0 offset:104
	s_nop 0
	buffer_load_dword v3, off, s[0:3], 0 offset:108
	buffer_load_dword v37, off, s[0:3], 0 offset:112
	;; [unrolled: 1-line block ×5, first 2 shown]
	s_waitcnt vmcnt(28)
	global_store_dwordx2 v[5:6], v[41:42], off
	buffer_load_dword v4, off, s[0:3], 0 offset:128
	s_nop 0
	buffer_load_dword v5, off, s[0:3], 0 offset:132
	buffer_load_dword v41, off, s[0:3], 0 offset:136
	;; [unrolled: 1-line block ×3, first 2 shown]
	s_waitcnt vmcnt(31)
	global_store_dwordx2 v[7:8], v[43:44], off
	s_waitcnt vmcnt(30)
	global_store_dwordx2 v[9:10], v[45:46], off
	;; [unrolled: 2-line block ×6, first 2 shown]
	global_store_dwordx2 v[21:22], v[55:56], off
	global_store_dwordx2 v[23:24], v[57:58], off
	;; [unrolled: 1-line block ×3, first 2 shown]
	s_waitcnt vmcnt(20)
	global_store_dwordx2 v[27:28], v[0:1], off
	s_waitcnt vmcnt(19)
	global_store_dwordx2 v[29:30], v[2:3], off
	;; [unrolled: 2-line block ×6, first 2 shown]
.LBB17_330:
	s_endpgm
	.section	.rodata,"a",@progbits
	.p2align	6, 0x0
	.amdhsa_kernel _ZN9rocsolver6v33100L18trti2_kernel_smallILi18EdPdEEv13rocblas_fill_17rocblas_diagonal_T1_iil
		.amdhsa_group_segment_fixed_size 288
		.amdhsa_private_segment_fixed_size 160
		.amdhsa_kernarg_size 32
		.amdhsa_user_sgpr_count 6
		.amdhsa_user_sgpr_private_segment_buffer 1
		.amdhsa_user_sgpr_dispatch_ptr 0
		.amdhsa_user_sgpr_queue_ptr 0
		.amdhsa_user_sgpr_kernarg_segment_ptr 1
		.amdhsa_user_sgpr_dispatch_id 0
		.amdhsa_user_sgpr_flat_scratch_init 0
		.amdhsa_user_sgpr_private_segment_size 0
		.amdhsa_uses_dynamic_stack 0
		.amdhsa_system_sgpr_private_segment_wavefront_offset 1
		.amdhsa_system_sgpr_workgroup_id_x 1
		.amdhsa_system_sgpr_workgroup_id_y 0
		.amdhsa_system_sgpr_workgroup_id_z 0
		.amdhsa_system_sgpr_workgroup_info 0
		.amdhsa_system_vgpr_workitem_id 0
		.amdhsa_next_free_vgpr 62
		.amdhsa_next_free_sgpr 30
		.amdhsa_reserve_vcc 1
		.amdhsa_reserve_flat_scratch 0
		.amdhsa_float_round_mode_32 0
		.amdhsa_float_round_mode_16_64 0
		.amdhsa_float_denorm_mode_32 3
		.amdhsa_float_denorm_mode_16_64 3
		.amdhsa_dx10_clamp 1
		.amdhsa_ieee_mode 1
		.amdhsa_fp16_overflow 0
		.amdhsa_exception_fp_ieee_invalid_op 0
		.amdhsa_exception_fp_denorm_src 0
		.amdhsa_exception_fp_ieee_div_zero 0
		.amdhsa_exception_fp_ieee_overflow 0
		.amdhsa_exception_fp_ieee_underflow 0
		.amdhsa_exception_fp_ieee_inexact 0
		.amdhsa_exception_int_div_zero 0
	.end_amdhsa_kernel
	.section	.text._ZN9rocsolver6v33100L18trti2_kernel_smallILi18EdPdEEv13rocblas_fill_17rocblas_diagonal_T1_iil,"axG",@progbits,_ZN9rocsolver6v33100L18trti2_kernel_smallILi18EdPdEEv13rocblas_fill_17rocblas_diagonal_T1_iil,comdat
.Lfunc_end17:
	.size	_ZN9rocsolver6v33100L18trti2_kernel_smallILi18EdPdEEv13rocblas_fill_17rocblas_diagonal_T1_iil, .Lfunc_end17-_ZN9rocsolver6v33100L18trti2_kernel_smallILi18EdPdEEv13rocblas_fill_17rocblas_diagonal_T1_iil
                                        ; -- End function
	.set _ZN9rocsolver6v33100L18trti2_kernel_smallILi18EdPdEEv13rocblas_fill_17rocblas_diagonal_T1_iil.num_vgpr, 62
	.set _ZN9rocsolver6v33100L18trti2_kernel_smallILi18EdPdEEv13rocblas_fill_17rocblas_diagonal_T1_iil.num_agpr, 0
	.set _ZN9rocsolver6v33100L18trti2_kernel_smallILi18EdPdEEv13rocblas_fill_17rocblas_diagonal_T1_iil.numbered_sgpr, 30
	.set _ZN9rocsolver6v33100L18trti2_kernel_smallILi18EdPdEEv13rocblas_fill_17rocblas_diagonal_T1_iil.num_named_barrier, 0
	.set _ZN9rocsolver6v33100L18trti2_kernel_smallILi18EdPdEEv13rocblas_fill_17rocblas_diagonal_T1_iil.private_seg_size, 160
	.set _ZN9rocsolver6v33100L18trti2_kernel_smallILi18EdPdEEv13rocblas_fill_17rocblas_diagonal_T1_iil.uses_vcc, 1
	.set _ZN9rocsolver6v33100L18trti2_kernel_smallILi18EdPdEEv13rocblas_fill_17rocblas_diagonal_T1_iil.uses_flat_scratch, 0
	.set _ZN9rocsolver6v33100L18trti2_kernel_smallILi18EdPdEEv13rocblas_fill_17rocblas_diagonal_T1_iil.has_dyn_sized_stack, 0
	.set _ZN9rocsolver6v33100L18trti2_kernel_smallILi18EdPdEEv13rocblas_fill_17rocblas_diagonal_T1_iil.has_recursion, 0
	.set _ZN9rocsolver6v33100L18trti2_kernel_smallILi18EdPdEEv13rocblas_fill_17rocblas_diagonal_T1_iil.has_indirect_call, 0
	.section	.AMDGPU.csdata,"",@progbits
; Kernel info:
; codeLenInByte = 10232
; TotalNumSgprs: 34
; NumVgprs: 62
; ScratchSize: 160
; MemoryBound: 0
; FloatMode: 240
; IeeeMode: 1
; LDSByteSize: 288 bytes/workgroup (compile time only)
; SGPRBlocks: 4
; VGPRBlocks: 15
; NumSGPRsForWavesPerEU: 34
; NumVGPRsForWavesPerEU: 62
; Occupancy: 4
; WaveLimiterHint : 0
; COMPUTE_PGM_RSRC2:SCRATCH_EN: 1
; COMPUTE_PGM_RSRC2:USER_SGPR: 6
; COMPUTE_PGM_RSRC2:TRAP_HANDLER: 0
; COMPUTE_PGM_RSRC2:TGID_X_EN: 1
; COMPUTE_PGM_RSRC2:TGID_Y_EN: 0
; COMPUTE_PGM_RSRC2:TGID_Z_EN: 0
; COMPUTE_PGM_RSRC2:TIDIG_COMP_CNT: 0
	.section	.text._ZN9rocsolver6v33100L18trti2_kernel_smallILi19EdPdEEv13rocblas_fill_17rocblas_diagonal_T1_iil,"axG",@progbits,_ZN9rocsolver6v33100L18trti2_kernel_smallILi19EdPdEEv13rocblas_fill_17rocblas_diagonal_T1_iil,comdat
	.globl	_ZN9rocsolver6v33100L18trti2_kernel_smallILi19EdPdEEv13rocblas_fill_17rocblas_diagonal_T1_iil ; -- Begin function _ZN9rocsolver6v33100L18trti2_kernel_smallILi19EdPdEEv13rocblas_fill_17rocblas_diagonal_T1_iil
	.p2align	8
	.type	_ZN9rocsolver6v33100L18trti2_kernel_smallILi19EdPdEEv13rocblas_fill_17rocblas_diagonal_T1_iil,@function
_ZN9rocsolver6v33100L18trti2_kernel_smallILi19EdPdEEv13rocblas_fill_17rocblas_diagonal_T1_iil: ; @_ZN9rocsolver6v33100L18trti2_kernel_smallILi19EdPdEEv13rocblas_fill_17rocblas_diagonal_T1_iil
; %bb.0:
	s_add_u32 s0, s0, s7
	s_addc_u32 s1, s1, 0
	v_cmp_gt_u32_e32 vcc, 19, v0
	s_and_saveexec_b64 s[8:9], vcc
	s_cbranch_execz .LBB18_350
; %bb.1:
	s_load_dwordx8 s[8:15], s[4:5], 0x0
	s_ashr_i32 s7, s6, 31
	v_lshlrev_b32_e32 v41, 3, v0
	s_waitcnt lgkmcnt(0)
	s_ashr_i32 s5, s12, 31
	s_mov_b32 s4, s12
	s_mul_hi_u32 s12, s14, s6
	s_mul_i32 s7, s14, s7
	s_add_i32 s7, s12, s7
	s_mul_i32 s12, s15, s6
	s_add_i32 s7, s7, s12
	s_mul_i32 s6, s14, s6
	s_lshl_b64 s[6:7], s[6:7], 3
	s_add_u32 s6, s10, s6
	s_addc_u32 s7, s11, s7
	s_lshl_b64 s[4:5], s[4:5], 3
	s_add_u32 s4, s6, s4
	s_addc_u32 s5, s7, s5
	v_mov_b32_e32 v1, s5
	v_add_co_u32_e32 v3, vcc, s4, v41
	s_ashr_i32 s7, s13, 31
	s_mov_b32 s6, s13
	v_addc_co_u32_e32 v4, vcc, 0, v1, vcc
	s_lshl_b64 s[6:7], s[6:7], 3
	v_add_co_u32_e32 v1, vcc, s6, v3
	s_add_i32 s6, s13, s13
	v_add_u32_e32 v5, s6, v0
	v_ashrrev_i32_e32 v6, 31, v5
	v_mov_b32_e32 v2, s7
	v_lshlrev_b64 v[7:8], 3, v[5:6]
	v_addc_co_u32_e32 v2, vcc, v4, v2, vcc
	v_add_u32_e32 v9, s13, v5
	v_mov_b32_e32 v6, s5
	v_add_co_u32_e32 v7, vcc, s4, v7
	v_ashrrev_i32_e32 v10, 31, v9
	v_addc_co_u32_e32 v8, vcc, v6, v8, vcc
	v_lshlrev_b64 v[5:6], 3, v[9:10]
	v_add_u32_e32 v11, s13, v9
	v_mov_b32_e32 v10, s5
	v_add_co_u32_e32 v5, vcc, s4, v5
	v_ashrrev_i32_e32 v12, 31, v11
	v_addc_co_u32_e32 v6, vcc, v10, v6, vcc
	v_lshlrev_b64 v[9:10], 3, v[11:12]
	global_load_dwordx2 v[19:20], v41, s[4:5]
	v_mov_b32_e32 v12, s5
	v_add_co_u32_e32 v9, vcc, s4, v9
	v_add_u32_e32 v13, s13, v11
	v_addc_co_u32_e32 v10, vcc, v12, v10, vcc
	global_load_dwordx2 v[21:22], v[1:2], off
	global_load_dwordx2 v[23:24], v[7:8], off
	;; [unrolled: 1-line block ×4, first 2 shown]
	v_ashrrev_i32_e32 v14, 31, v13
	v_lshlrev_b64 v[11:12], 3, v[13:14]
	v_add_u32_e32 v15, s13, v13
	v_mov_b32_e32 v14, s5
	v_add_co_u32_e32 v11, vcc, s4, v11
	v_ashrrev_i32_e32 v16, 31, v15
	v_addc_co_u32_e32 v12, vcc, v14, v12, vcc
	v_lshlrev_b64 v[13:14], 3, v[15:16]
	v_mov_b32_e32 v16, s5
	v_add_co_u32_e32 v13, vcc, s4, v13
	v_addc_co_u32_e32 v14, vcc, v16, v14, vcc
	global_load_dwordx2 v[29:30], v[11:12], off
	global_load_dwordx2 v[31:32], v[13:14], off
	v_add_u32_e32 v17, s13, v15
	v_ashrrev_i32_e32 v18, 31, v17
	v_lshlrev_b64 v[15:16], 3, v[17:18]
	v_mov_b32_e32 v18, s5
	v_add_co_u32_e32 v15, vcc, s4, v15
	v_addc_co_u32_e32 v16, vcc, v18, v16, vcc
	global_load_dwordx2 v[33:34], v[15:16], off
	v_add_u32_e32 v35, s13, v17
	v_add_u32_e32 v37, s13, v35
	v_add_u32_e32 v39, s13, v37
	v_add_u32_e32 v42, s13, v39
	v_add_u32_e32 v44, s13, v42
	v_add_u32_e32 v46, s13, v44
	v_add_u32_e32 v48, s13, v46
	v_add_u32_e32 v50, s13, v48
	v_add_u32_e32 v52, s13, v50
	v_add_u32_e32 v54, s13, v52
	v_add_u32_e32 v17, s13, v54
	v_ashrrev_i32_e32 v18, 31, v17
	v_lshlrev_b64 v[17:18], 3, v[17:18]
	v_mov_b32_e32 v36, s5
	v_add_co_u32_e32 v17, vcc, s4, v17
	v_addc_co_u32_e32 v18, vcc, v36, v18, vcc
	v_ashrrev_i32_e32 v36, 31, v35
	global_load_dwordx2 v[56:57], v[17:18], off
	v_ashrrev_i32_e32 v38, 31, v37
	s_waitcnt vmcnt(8)
	buffer_store_dword v20, off, s[0:3], 0 offset:4
	buffer_store_dword v19, off, s[0:3], 0
	s_waitcnt vmcnt(9)
	buffer_store_dword v22, off, s[0:3], 0 offset:12
	buffer_store_dword v21, off, s[0:3], 0 offset:8
	s_waitcnt vmcnt(10)
	buffer_store_dword v24, off, s[0:3], 0 offset:20
	buffer_store_dword v23, off, s[0:3], 0 offset:16
	s_waitcnt vmcnt(11)
	buffer_store_dword v26, off, s[0:3], 0 offset:28
	v_lshlrev_b64 v[19:20], 3, v[35:36]
	v_mov_b32_e32 v21, s5
	v_add_co_u32_e32 v19, vcc, s4, v19
	v_addc_co_u32_e32 v20, vcc, v21, v20, vcc
	v_lshlrev_b64 v[21:22], 3, v[37:38]
	v_mov_b32_e32 v23, s5
	v_add_co_u32_e32 v21, vcc, s4, v21
	v_ashrrev_i32_e32 v40, 31, v39
	v_addc_co_u32_e32 v22, vcc, v23, v22, vcc
	v_lshlrev_b64 v[23:24], 3, v[39:40]
	global_load_dwordx2 v[58:59], v[19:20], off
	s_nop 0
	buffer_store_dword v25, off, s[0:3], 0 offset:24
	s_waitcnt vmcnt(13)
	buffer_store_dword v28, off, s[0:3], 0 offset:36
	buffer_store_dword v27, off, s[0:3], 0 offset:32
	s_waitcnt vmcnt(14)
	buffer_store_dword v30, off, s[0:3], 0 offset:44
	;; [unrolled: 3-line block ×4, first 2 shown]
	buffer_store_dword v33, off, s[0:3], 0 offset:56
	v_mov_b32_e32 v25, s5
	v_add_co_u32_e32 v23, vcc, s4, v23
	v_ashrrev_i32_e32 v43, 31, v42
	v_addc_co_u32_e32 v24, vcc, v25, v24, vcc
	v_lshlrev_b64 v[25:26], 3, v[42:43]
	v_mov_b32_e32 v27, s5
	v_add_co_u32_e32 v25, vcc, s4, v25
	v_ashrrev_i32_e32 v45, 31, v44
	v_addc_co_u32_e32 v26, vcc, v27, v26, vcc
	v_lshlrev_b64 v[27:28], 3, v[44:45]
	;; [unrolled: 5-line block ×4, first 2 shown]
	v_mov_b32_e32 v33, s5
	v_add_co_u32_e32 v31, vcc, s4, v31
	global_load_dwordx2 v[39:40], v[21:22], off
	global_load_dwordx2 v[42:43], v[23:24], off
	;; [unrolled: 1-line block ×4, first 2 shown]
	v_addc_co_u32_e32 v32, vcc, v33, v32, vcc
	global_load_dwordx2 v[46:47], v[29:30], off
	global_load_dwordx2 v[48:49], v[31:32], off
	v_ashrrev_i32_e32 v51, 31, v50
	v_lshlrev_b64 v[33:34], 3, v[50:51]
	v_mov_b32_e32 v35, s5
	v_add_co_u32_e32 v33, vcc, s4, v33
	v_ashrrev_i32_e32 v53, 31, v52
	v_addc_co_u32_e32 v34, vcc, v35, v34, vcc
	v_lshlrev_b64 v[35:36], 3, v[52:53]
	v_mov_b32_e32 v37, s5
	v_add_co_u32_e32 v35, vcc, s4, v35
	v_ashrrev_i32_e32 v55, 31, v54
	v_addc_co_u32_e32 v36, vcc, v37, v36, vcc
	v_lshlrev_b64 v[37:38], 3, v[54:55]
	v_mov_b32_e32 v50, s5
	v_add_co_u32_e32 v37, vcc, s4, v37
	v_addc_co_u32_e32 v38, vcc, v50, v38, vcc
	global_load_dwordx2 v[50:51], v[33:34], off
	global_load_dwordx2 v[52:53], v[35:36], off
	;; [unrolled: 1-line block ×3, first 2 shown]
	s_cmpk_lg_i32 s9, 0x84
	s_cselect_b64 s[10:11], -1, 0
	s_cmpk_eq_i32 s9, 0x84
	s_waitcnt vmcnt(18)
	buffer_store_dword v59, off, s[0:3], 0 offset:68
	buffer_store_dword v58, off, s[0:3], 0 offset:64
	s_waitcnt vmcnt(10)
	buffer_store_dword v39, off, s[0:3], 0 offset:72
	buffer_store_dword v40, off, s[0:3], 0 offset:76
	;; [unrolled: 3-line block ×10, first 2 shown]
	buffer_store_dword v56, off, s[0:3], 0 offset:144
	v_mov_b32_e32 v39, 0
	v_mov_b32_e32 v40, 0xbff00000
	buffer_store_dword v57, off, s[0:3], 0 offset:148
	s_cbranch_scc1 .LBB18_3
; %bb.2:
	v_mov_b32_e32 v39, 0
	v_lshl_add_u32 v50, v0, 3, v39
	buffer_load_dword v39, v50, s[0:3], 0 offen
	buffer_load_dword v40, v50, s[0:3], 0 offen offset:4
	s_waitcnt vmcnt(0)
	v_div_scale_f64 v[42:43], s[4:5], v[39:40], v[39:40], 1.0
	v_rcp_f64_e32 v[44:45], v[42:43]
	v_fma_f64 v[46:47], -v[42:43], v[44:45], 1.0
	v_fma_f64 v[44:45], v[44:45], v[46:47], v[44:45]
	v_div_scale_f64 v[46:47], vcc, 1.0, v[39:40], 1.0
	v_fma_f64 v[48:49], -v[42:43], v[44:45], 1.0
	v_fma_f64 v[44:45], v[44:45], v[48:49], v[44:45]
	v_mul_f64 v[48:49], v[46:47], v[44:45]
	v_fma_f64 v[42:43], -v[42:43], v[48:49], v[46:47]
	v_div_fmas_f64 v[42:43], v[42:43], v[44:45], v[48:49]
	v_div_fixup_f64 v[39:40], v[42:43], v[39:40], 1.0
	buffer_store_dword v39, v50, s[0:3], 0 offen
	buffer_store_dword v40, v50, s[0:3], 0 offen offset:4
	v_xor_b32_e32 v40, 0x80000000, v40
.LBB18_3:
	s_cmpk_eq_i32 s8, 0x79
	v_add_u32_e32 v42, 0xa0, v41
	v_mov_b32_e32 v43, v41
	s_mov_b64 s[4:5], -1
	ds_write_b64 v41, v[39:40]
	s_cbranch_scc1 .LBB18_177
; %bb.4:
	buffer_load_dword v39, off, s[0:3], 0 offset:136
	buffer_load_dword v40, off, s[0:3], 0 offset:140
	s_movk_i32 s12, 0x48
	s_movk_i32 s13, 0x50
	;; [unrolled: 1-line block ×8, first 2 shown]
	v_cmp_eq_u32_e64 s[4:5], 18, v0
	s_waitcnt vmcnt(0)
	ds_write_b64 v42, v[39:40]
	s_waitcnt lgkmcnt(0)
	; wave barrier
	s_and_saveexec_b64 s[6:7], s[4:5]
	s_cbranch_execz .LBB18_10
; %bb.5:
	s_and_b64 vcc, exec, s[10:11]
	s_cbranch_vccz .LBB18_7
; %bb.6:
	buffer_load_dword v39, v43, s[0:3], 0 offen
	buffer_load_dword v40, v43, s[0:3], 0 offen offset:4
	ds_read_b64 v[44:45], v42
	s_waitcnt vmcnt(0) lgkmcnt(0)
	v_mul_f64 v[39:40], v[39:40], v[44:45]
	s_cbranch_execz .LBB18_8
	s_branch .LBB18_9
.LBB18_7:
                                        ; implicit-def: $vgpr39_vgpr40
.LBB18_8:
	ds_read_b64 v[39:40], v42
.LBB18_9:
	v_mov_b32_e32 v44, 0
	ds_read_b64 v[44:45], v44 offset:136
	s_waitcnt lgkmcnt(0)
	v_mul_f64 v[39:40], v[39:40], v[44:45]
	buffer_store_dword v40, off, s[0:3], 0 offset:140
	buffer_store_dword v39, off, s[0:3], 0 offset:136
.LBB18_10:
	s_or_b64 exec, exec, s[6:7]
	buffer_load_dword v39, off, s[0:3], 0 offset:128
	buffer_load_dword v40, off, s[0:3], 0 offset:132
	s_or_b32 s14, 0, 8
	s_mov_b32 s15, 16
	s_mov_b32 s16, 24
	;; [unrolled: 1-line block ×9, first 2 shown]
	v_cmp_lt_u32_e64 s[6:7], 16, v0
	s_waitcnt vmcnt(0)
	ds_write_b64 v42, v[39:40]
	s_waitcnt lgkmcnt(0)
	; wave barrier
	s_and_saveexec_b64 s[8:9], s[6:7]
	s_cbranch_execz .LBB18_16
; %bb.11:
	s_andn2_b64 vcc, exec, s[10:11]
	s_cbranch_vccnz .LBB18_13
; %bb.12:
	buffer_load_dword v39, v43, s[0:3], 0 offen
	buffer_load_dword v40, v43, s[0:3], 0 offen offset:4
	ds_read_b64 v[44:45], v42
	s_waitcnt vmcnt(0) lgkmcnt(0)
	v_mul_f64 v[39:40], v[39:40], v[44:45]
	s_cbranch_execz .LBB18_14
	s_branch .LBB18_15
.LBB18_13:
                                        ; implicit-def: $vgpr39_vgpr40
.LBB18_14:
	ds_read_b64 v[39:40], v42
.LBB18_15:
	buffer_load_dword v48, off, s[0:3], 0 offset:136
	buffer_load_dword v49, off, s[0:3], 0 offset:140
	v_mov_b32_e32 v44, 0
	ds_read2_b64 v[44:47], v44 offset0:16 offset1:37
	s_waitcnt vmcnt(0) lgkmcnt(0)
	v_fma_f64 v[46:47], v[48:49], v[46:47], v[39:40]
	v_cndmask_b32_e64 v40, v40, v47, s[4:5]
	v_cndmask_b32_e64 v39, v39, v46, s[4:5]
	v_mul_f64 v[39:40], v[39:40], v[44:45]
	buffer_store_dword v40, off, s[0:3], 0 offset:132
	buffer_store_dword v39, off, s[0:3], 0 offset:128
.LBB18_16:
	s_or_b64 exec, exec, s[8:9]
	buffer_load_dword v39, off, s[0:3], 0 offset:120
	buffer_load_dword v40, off, s[0:3], 0 offset:124
	v_cmp_lt_u32_e64 s[4:5], 15, v0
	s_waitcnt vmcnt(0)
	ds_write_b64 v42, v[39:40]
	s_waitcnt lgkmcnt(0)
	; wave barrier
	s_and_saveexec_b64 s[8:9], s[4:5]
	s_cbranch_execz .LBB18_26
; %bb.17:
	s_andn2_b64 vcc, exec, s[10:11]
	s_cbranch_vccnz .LBB18_19
; %bb.18:
	buffer_load_dword v39, v43, s[0:3], 0 offen
	buffer_load_dword v40, v43, s[0:3], 0 offen offset:4
	ds_read_b64 v[44:45], v42
	s_waitcnt vmcnt(0) lgkmcnt(0)
	v_mul_f64 v[39:40], v[39:40], v[44:45]
	s_cbranch_execz .LBB18_20
	s_branch .LBB18_21
.LBB18_19:
                                        ; implicit-def: $vgpr39_vgpr40
.LBB18_20:
	ds_read_b64 v[39:40], v42
.LBB18_21:
	s_and_saveexec_b64 s[12:13], s[6:7]
	s_cbranch_execz .LBB18_25
; %bb.22:
	v_add_u32_e32 v44, -16, v0
	s_movk_i32 s30, 0x120
	s_mov_b64 s[6:7], 0
.LBB18_23:                              ; =>This Inner Loop Header: Depth=1
	v_mov_b32_e32 v47, s29
	buffer_load_dword v45, v47, s[0:3], 0 offen
	buffer_load_dword v46, v47, s[0:3], 0 offen offset:4
	v_mov_b32_e32 v47, s30
	ds_read_b64 v[47:48], v47
	v_add_u32_e32 v44, -1, v44
	s_add_i32 s30, s30, 8
	s_add_i32 s29, s29, 8
	v_cmp_eq_u32_e32 vcc, 0, v44
	s_or_b64 s[6:7], vcc, s[6:7]
	s_waitcnt vmcnt(0) lgkmcnt(0)
	v_fma_f64 v[39:40], v[45:46], v[47:48], v[39:40]
	s_andn2_b64 exec, exec, s[6:7]
	s_cbranch_execnz .LBB18_23
; %bb.24:
	s_or_b64 exec, exec, s[6:7]
.LBB18_25:
	s_or_b64 exec, exec, s[12:13]
	v_mov_b32_e32 v44, 0
	ds_read_b64 v[44:45], v44 offset:120
	s_waitcnt lgkmcnt(0)
	v_mul_f64 v[39:40], v[39:40], v[44:45]
	buffer_store_dword v40, off, s[0:3], 0 offset:124
	buffer_store_dword v39, off, s[0:3], 0 offset:120
.LBB18_26:
	s_or_b64 exec, exec, s[8:9]
	buffer_load_dword v39, off, s[0:3], 0 offset:112
	buffer_load_dword v40, off, s[0:3], 0 offset:116
	v_cmp_lt_u32_e64 s[6:7], 14, v0
	s_waitcnt vmcnt(0)
	ds_write_b64 v42, v[39:40]
	s_waitcnt lgkmcnt(0)
	; wave barrier
	s_and_saveexec_b64 s[8:9], s[6:7]
	s_cbranch_execz .LBB18_36
; %bb.27:
	s_andn2_b64 vcc, exec, s[10:11]
	s_cbranch_vccnz .LBB18_29
; %bb.28:
	buffer_load_dword v39, v43, s[0:3], 0 offen
	buffer_load_dword v40, v43, s[0:3], 0 offen offset:4
	ds_read_b64 v[44:45], v42
	s_waitcnt vmcnt(0) lgkmcnt(0)
	v_mul_f64 v[39:40], v[39:40], v[44:45]
	s_cbranch_execz .LBB18_30
	s_branch .LBB18_31
.LBB18_29:
                                        ; implicit-def: $vgpr39_vgpr40
.LBB18_30:
	ds_read_b64 v[39:40], v42
.LBB18_31:
	s_and_saveexec_b64 s[12:13], s[4:5]
	s_cbranch_execz .LBB18_35
; %bb.32:
	v_add_u32_e32 v44, -15, v0
	s_movk_i32 s29, 0x118
	s_mov_b64 s[4:5], 0
.LBB18_33:                              ; =>This Inner Loop Header: Depth=1
	v_mov_b32_e32 v47, s28
	buffer_load_dword v45, v47, s[0:3], 0 offen
	buffer_load_dword v46, v47, s[0:3], 0 offen offset:4
	v_mov_b32_e32 v47, s29
	ds_read_b64 v[47:48], v47
	v_add_u32_e32 v44, -1, v44
	s_add_i32 s29, s29, 8
	s_add_i32 s28, s28, 8
	v_cmp_eq_u32_e32 vcc, 0, v44
	s_or_b64 s[4:5], vcc, s[4:5]
	s_waitcnt vmcnt(0) lgkmcnt(0)
	v_fma_f64 v[39:40], v[45:46], v[47:48], v[39:40]
	s_andn2_b64 exec, exec, s[4:5]
	s_cbranch_execnz .LBB18_33
; %bb.34:
	s_or_b64 exec, exec, s[4:5]
.LBB18_35:
	s_or_b64 exec, exec, s[12:13]
	v_mov_b32_e32 v44, 0
	ds_read_b64 v[44:45], v44 offset:112
	s_waitcnt lgkmcnt(0)
	v_mul_f64 v[39:40], v[39:40], v[44:45]
	buffer_store_dword v40, off, s[0:3], 0 offset:116
	buffer_store_dword v39, off, s[0:3], 0 offset:112
.LBB18_36:
	;; [unrolled: 58-line block ×8, first 2 shown]
	s_or_b64 exec, exec, s[8:9]
	buffer_load_dword v39, off, s[0:3], 0 offset:56
	buffer_load_dword v40, off, s[0:3], 0 offset:60
	v_cmp_lt_u32_e64 s[4:5], 7, v0
	s_waitcnt vmcnt(0)
	ds_write_b64 v42, v[39:40]
	s_waitcnt lgkmcnt(0)
	; wave barrier
	s_and_saveexec_b64 s[8:9], s[4:5]
	s_cbranch_execz .LBB18_106
; %bb.97:
	s_andn2_b64 vcc, exec, s[10:11]
	s_cbranch_vccnz .LBB18_99
; %bb.98:
	buffer_load_dword v39, v43, s[0:3], 0 offen
	buffer_load_dword v40, v43, s[0:3], 0 offen offset:4
	ds_read_b64 v[44:45], v42
	s_waitcnt vmcnt(0) lgkmcnt(0)
	v_mul_f64 v[39:40], v[39:40], v[44:45]
	s_cbranch_execz .LBB18_100
	s_branch .LBB18_101
.LBB18_99:
                                        ; implicit-def: $vgpr39_vgpr40
.LBB18_100:
	ds_read_b64 v[39:40], v42
.LBB18_101:
	s_and_saveexec_b64 s[12:13], s[6:7]
	s_cbranch_execz .LBB18_105
; %bb.102:
	v_add_u32_e32 v44, -8, v0
	s_movk_i32 s22, 0xe0
	s_mov_b64 s[6:7], 0
.LBB18_103:                             ; =>This Inner Loop Header: Depth=1
	v_mov_b32_e32 v47, s21
	buffer_load_dword v45, v47, s[0:3], 0 offen
	buffer_load_dword v46, v47, s[0:3], 0 offen offset:4
	v_mov_b32_e32 v47, s22
	ds_read_b64 v[47:48], v47
	v_add_u32_e32 v44, -1, v44
	s_add_i32 s22, s22, 8
	s_add_i32 s21, s21, 8
	v_cmp_eq_u32_e32 vcc, 0, v44
	s_or_b64 s[6:7], vcc, s[6:7]
	s_waitcnt vmcnt(0) lgkmcnt(0)
	v_fma_f64 v[39:40], v[45:46], v[47:48], v[39:40]
	s_andn2_b64 exec, exec, s[6:7]
	s_cbranch_execnz .LBB18_103
; %bb.104:
	s_or_b64 exec, exec, s[6:7]
.LBB18_105:
	s_or_b64 exec, exec, s[12:13]
	v_mov_b32_e32 v44, 0
	ds_read_b64 v[44:45], v44 offset:56
	s_waitcnt lgkmcnt(0)
	v_mul_f64 v[39:40], v[39:40], v[44:45]
	buffer_store_dword v40, off, s[0:3], 0 offset:60
	buffer_store_dword v39, off, s[0:3], 0 offset:56
.LBB18_106:
	s_or_b64 exec, exec, s[8:9]
	buffer_load_dword v39, off, s[0:3], 0 offset:48
	buffer_load_dword v40, off, s[0:3], 0 offset:52
	v_cmp_lt_u32_e64 s[6:7], 6, v0
	s_waitcnt vmcnt(0)
	ds_write_b64 v42, v[39:40]
	s_waitcnt lgkmcnt(0)
	; wave barrier
	s_and_saveexec_b64 s[8:9], s[6:7]
	s_cbranch_execz .LBB18_116
; %bb.107:
	s_andn2_b64 vcc, exec, s[10:11]
	s_cbranch_vccnz .LBB18_109
; %bb.108:
	buffer_load_dword v39, v43, s[0:3], 0 offen
	buffer_load_dword v40, v43, s[0:3], 0 offen offset:4
	ds_read_b64 v[44:45], v42
	s_waitcnt vmcnt(0) lgkmcnt(0)
	v_mul_f64 v[39:40], v[39:40], v[44:45]
	s_cbranch_execz .LBB18_110
	s_branch .LBB18_111
.LBB18_109:
                                        ; implicit-def: $vgpr39_vgpr40
.LBB18_110:
	ds_read_b64 v[39:40], v42
.LBB18_111:
	s_and_saveexec_b64 s[12:13], s[4:5]
	s_cbranch_execz .LBB18_115
; %bb.112:
	v_add_u32_e32 v44, -7, v0
	s_movk_i32 s21, 0xd8
	s_mov_b64 s[4:5], 0
.LBB18_113:                             ; =>This Inner Loop Header: Depth=1
	v_mov_b32_e32 v47, s20
	buffer_load_dword v45, v47, s[0:3], 0 offen
	buffer_load_dword v46, v47, s[0:3], 0 offen offset:4
	v_mov_b32_e32 v47, s21
	ds_read_b64 v[47:48], v47
	v_add_u32_e32 v44, -1, v44
	s_add_i32 s21, s21, 8
	s_add_i32 s20, s20, 8
	v_cmp_eq_u32_e32 vcc, 0, v44
	s_or_b64 s[4:5], vcc, s[4:5]
	s_waitcnt vmcnt(0) lgkmcnt(0)
	v_fma_f64 v[39:40], v[45:46], v[47:48], v[39:40]
	s_andn2_b64 exec, exec, s[4:5]
	s_cbranch_execnz .LBB18_113
; %bb.114:
	s_or_b64 exec, exec, s[4:5]
.LBB18_115:
	s_or_b64 exec, exec, s[12:13]
	v_mov_b32_e32 v44, 0
	ds_read_b64 v[44:45], v44 offset:48
	s_waitcnt lgkmcnt(0)
	v_mul_f64 v[39:40], v[39:40], v[44:45]
	buffer_store_dword v40, off, s[0:3], 0 offset:52
	buffer_store_dword v39, off, s[0:3], 0 offset:48
.LBB18_116:
	;; [unrolled: 58-line block ×7, first 2 shown]
	s_or_b64 exec, exec, s[8:9]
	buffer_load_dword v39, off, s[0:3], 0
	buffer_load_dword v40, off, s[0:3], 0 offset:4
	v_cmp_ne_u32_e32 vcc, 0, v0
	s_waitcnt vmcnt(0)
	ds_write_b64 v42, v[39:40]
	s_waitcnt lgkmcnt(0)
	; wave barrier
	s_and_saveexec_b64 s[6:7], vcc
	s_cbranch_execz .LBB18_176
; %bb.167:
	s_andn2_b64 vcc, exec, s[10:11]
	s_cbranch_vccnz .LBB18_169
; %bb.168:
	buffer_load_dword v39, v43, s[0:3], 0 offen
	buffer_load_dword v40, v43, s[0:3], 0 offen offset:4
	ds_read_b64 v[44:45], v42
	s_waitcnt vmcnt(0) lgkmcnt(0)
	v_mul_f64 v[39:40], v[39:40], v[44:45]
	s_cbranch_execz .LBB18_170
	s_branch .LBB18_171
.LBB18_169:
                                        ; implicit-def: $vgpr39_vgpr40
.LBB18_170:
	ds_read_b64 v[39:40], v42
.LBB18_171:
	s_and_saveexec_b64 s[8:9], s[4:5]
	s_cbranch_execz .LBB18_175
; %bb.172:
	v_add_u32_e32 v44, -1, v0
	s_movk_i32 s12, 0xa8
	s_mov_b64 s[4:5], 0
.LBB18_173:                             ; =>This Inner Loop Header: Depth=1
	v_mov_b32_e32 v47, s14
	buffer_load_dword v45, v47, s[0:3], 0 offen
	buffer_load_dword v46, v47, s[0:3], 0 offen offset:4
	v_mov_b32_e32 v47, s12
	ds_read_b64 v[47:48], v47
	v_add_u32_e32 v44, -1, v44
	s_add_i32 s12, s12, 8
	s_add_i32 s14, s14, 8
	v_cmp_eq_u32_e32 vcc, 0, v44
	s_or_b64 s[4:5], vcc, s[4:5]
	s_waitcnt vmcnt(0) lgkmcnt(0)
	v_fma_f64 v[39:40], v[45:46], v[47:48], v[39:40]
	s_andn2_b64 exec, exec, s[4:5]
	s_cbranch_execnz .LBB18_173
; %bb.174:
	s_or_b64 exec, exec, s[4:5]
.LBB18_175:
	s_or_b64 exec, exec, s[8:9]
	v_mov_b32_e32 v44, 0
	ds_read_b64 v[44:45], v44
	s_waitcnt lgkmcnt(0)
	v_mul_f64 v[39:40], v[39:40], v[44:45]
	buffer_store_dword v40, off, s[0:3], 0 offset:4
	buffer_store_dword v39, off, s[0:3], 0
.LBB18_176:
	s_or_b64 exec, exec, s[6:7]
	s_mov_b64 s[4:5], 0
.LBB18_177:
	s_and_b64 vcc, exec, s[4:5]
	s_cbranch_vccz .LBB18_349
; %bb.178:
	buffer_load_dword v39, off, s[0:3], 0 offset:8
	buffer_load_dword v40, off, s[0:3], 0 offset:12
	v_cmp_eq_u32_e64 s[6:7], 0, v0
	s_waitcnt vmcnt(0)
	ds_write_b64 v42, v[39:40]
	s_waitcnt lgkmcnt(0)
	; wave barrier
	s_and_saveexec_b64 s[4:5], s[6:7]
	s_cbranch_execz .LBB18_184
; %bb.179:
	s_and_b64 vcc, exec, s[10:11]
	s_cbranch_vccz .LBB18_181
; %bb.180:
	buffer_load_dword v39, v43, s[0:3], 0 offen
	buffer_load_dword v40, v43, s[0:3], 0 offen offset:4
	ds_read_b64 v[44:45], v42
	s_waitcnt vmcnt(0) lgkmcnt(0)
	v_mul_f64 v[39:40], v[39:40], v[44:45]
	s_cbranch_execz .LBB18_182
	s_branch .LBB18_183
.LBB18_181:
                                        ; implicit-def: $vgpr39_vgpr40
.LBB18_182:
	ds_read_b64 v[39:40], v42
.LBB18_183:
	v_mov_b32_e32 v44, 0
	ds_read_b64 v[44:45], v44 offset:8
	s_waitcnt lgkmcnt(0)
	v_mul_f64 v[39:40], v[39:40], v[44:45]
	buffer_store_dword v40, off, s[0:3], 0 offset:12
	buffer_store_dword v39, off, s[0:3], 0 offset:8
.LBB18_184:
	s_or_b64 exec, exec, s[4:5]
	buffer_load_dword v39, off, s[0:3], 0 offset:16
	buffer_load_dword v40, off, s[0:3], 0 offset:20
	v_cndmask_b32_e64 v44, 0, 1, s[10:11]
	v_cmp_gt_u32_e32 vcc, 2, v0
	v_cmp_ne_u32_e64 s[4:5], 1, v44
	s_waitcnt vmcnt(0)
	ds_write_b64 v42, v[39:40]
	s_waitcnt lgkmcnt(0)
	; wave barrier
	s_and_saveexec_b64 s[8:9], vcc
	s_cbranch_execz .LBB18_190
; %bb.185:
	s_and_b64 vcc, exec, s[4:5]
	s_cbranch_vccnz .LBB18_187
; %bb.186:
	buffer_load_dword v39, v43, s[0:3], 0 offen
	buffer_load_dword v40, v43, s[0:3], 0 offen offset:4
	ds_read_b64 v[44:45], v42
	s_waitcnt vmcnt(0) lgkmcnt(0)
	v_mul_f64 v[39:40], v[39:40], v[44:45]
	s_cbranch_execz .LBB18_188
	s_branch .LBB18_189
.LBB18_187:
                                        ; implicit-def: $vgpr39_vgpr40
.LBB18_188:
	ds_read_b64 v[39:40], v42
.LBB18_189:
	buffer_load_dword v48, off, s[0:3], 0 offset:8
	buffer_load_dword v49, off, s[0:3], 0 offset:12
	v_mov_b32_e32 v44, 0
	ds_read2_b64 v[44:47], v44 offset0:2 offset1:21
	s_waitcnt vmcnt(0) lgkmcnt(0)
	v_fma_f64 v[46:47], v[48:49], v[46:47], v[39:40]
	v_cndmask_b32_e64 v40, v40, v47, s[6:7]
	v_cndmask_b32_e64 v39, v39, v46, s[6:7]
	v_mul_f64 v[39:40], v[39:40], v[44:45]
	buffer_store_dword v40, off, s[0:3], 0 offset:20
	buffer_store_dword v39, off, s[0:3], 0 offset:16
.LBB18_190:
	s_or_b64 exec, exec, s[8:9]
	buffer_load_dword v39, off, s[0:3], 0 offset:24
	buffer_load_dword v40, off, s[0:3], 0 offset:28
	v_cmp_gt_u32_e32 vcc, 3, v0
	s_waitcnt vmcnt(0)
	ds_write_b64 v42, v[39:40]
	s_waitcnt lgkmcnt(0)
	; wave barrier
	s_and_saveexec_b64 s[8:9], vcc
	s_cbranch_execz .LBB18_198
; %bb.191:
	s_and_b64 vcc, exec, s[4:5]
	s_cbranch_vccnz .LBB18_193
; %bb.192:
	buffer_load_dword v39, v43, s[0:3], 0 offen
	buffer_load_dword v40, v43, s[0:3], 0 offen offset:4
	ds_read_b64 v[44:45], v42
	s_waitcnt vmcnt(0) lgkmcnt(0)
	v_mul_f64 v[39:40], v[39:40], v[44:45]
	s_cbranch_execz .LBB18_194
	s_branch .LBB18_195
.LBB18_193:
                                        ; implicit-def: $vgpr39_vgpr40
.LBB18_194:
	ds_read_b64 v[39:40], v42
.LBB18_195:
	v_cmp_ne_u32_e32 vcc, 2, v0
	s_and_saveexec_b64 s[10:11], vcc
	s_cbranch_execz .LBB18_197
; %bb.196:
	buffer_load_dword v44, v43, s[0:3], 0 offen offset:8
	buffer_load_dword v45, v43, s[0:3], 0 offen offset:12
	buffer_load_dword v46, off, s[0:3], 0 offset:16
	buffer_load_dword v47, off, s[0:3], 0 offset:20
	ds_read_b64 v[48:49], v42 offset:8
	v_mov_b32_e32 v50, 0
	ds_read_b64 v[50:51], v50 offset:176
	s_waitcnt vmcnt(2) lgkmcnt(1)
	v_fma_f64 v[39:40], v[44:45], v[48:49], v[39:40]
	s_waitcnt vmcnt(0) lgkmcnt(0)
	v_fma_f64 v[44:45], v[46:47], v[50:51], v[39:40]
	v_cndmask_b32_e64 v40, v40, v45, s[6:7]
	v_cndmask_b32_e64 v39, v39, v44, s[6:7]
.LBB18_197:
	s_or_b64 exec, exec, s[10:11]
	v_mov_b32_e32 v44, 0
	ds_read_b64 v[44:45], v44 offset:24
	s_waitcnt lgkmcnt(0)
	v_mul_f64 v[39:40], v[39:40], v[44:45]
	buffer_store_dword v40, off, s[0:3], 0 offset:28
	buffer_store_dword v39, off, s[0:3], 0 offset:24
.LBB18_198:
	s_or_b64 exec, exec, s[8:9]
	buffer_load_dword v39, off, s[0:3], 0 offset:32
	buffer_load_dword v40, off, s[0:3], 0 offset:36
	v_cmp_gt_u32_e32 vcc, 4, v0
	s_waitcnt vmcnt(0)
	ds_write_b64 v42, v[39:40]
	s_waitcnt lgkmcnt(0)
	; wave barrier
	s_and_saveexec_b64 s[6:7], vcc
	s_cbranch_execz .LBB18_208
; %bb.199:
	s_and_b64 vcc, exec, s[4:5]
	s_cbranch_vccnz .LBB18_201
; %bb.200:
	buffer_load_dword v39, v43, s[0:3], 0 offen
	buffer_load_dword v40, v43, s[0:3], 0 offen offset:4
	ds_read_b64 v[44:45], v42
	s_waitcnt vmcnt(0) lgkmcnt(0)
	v_mul_f64 v[39:40], v[39:40], v[44:45]
	s_cbranch_execz .LBB18_202
	s_branch .LBB18_203
.LBB18_201:
                                        ; implicit-def: $vgpr39_vgpr40
.LBB18_202:
	ds_read_b64 v[39:40], v42
.LBB18_203:
	v_cmp_ne_u32_e32 vcc, 3, v0
	s_and_saveexec_b64 s[8:9], vcc
	s_cbranch_execz .LBB18_207
; %bb.204:
	s_mov_b32 s10, 0
	v_add_u32_e32 v44, 0xa8, v41
	v_add3_u32 v45, v41, s10, 8
	s_mov_b64 s[10:11], 0
	v_mov_b32_e32 v46, v0
.LBB18_205:                             ; =>This Inner Loop Header: Depth=1
	buffer_load_dword v47, v45, s[0:3], 0 offen
	buffer_load_dword v48, v45, s[0:3], 0 offen offset:4
	ds_read_b64 v[49:50], v44
	v_add_u32_e32 v46, 1, v46
	v_cmp_lt_u32_e32 vcc, 2, v46
	v_add_u32_e32 v44, 8, v44
	s_or_b64 s[10:11], vcc, s[10:11]
	v_add_u32_e32 v45, 8, v45
	s_waitcnt vmcnt(0) lgkmcnt(0)
	v_fma_f64 v[39:40], v[47:48], v[49:50], v[39:40]
	s_andn2_b64 exec, exec, s[10:11]
	s_cbranch_execnz .LBB18_205
; %bb.206:
	s_or_b64 exec, exec, s[10:11]
.LBB18_207:
	s_or_b64 exec, exec, s[8:9]
	v_mov_b32_e32 v44, 0
	ds_read_b64 v[44:45], v44 offset:32
	s_waitcnt lgkmcnt(0)
	v_mul_f64 v[39:40], v[39:40], v[44:45]
	buffer_store_dword v40, off, s[0:3], 0 offset:36
	buffer_store_dword v39, off, s[0:3], 0 offset:32
.LBB18_208:
	s_or_b64 exec, exec, s[6:7]
	buffer_load_dword v39, off, s[0:3], 0 offset:40
	buffer_load_dword v40, off, s[0:3], 0 offset:44
	v_cmp_gt_u32_e32 vcc, 5, v0
	s_waitcnt vmcnt(0)
	ds_write_b64 v42, v[39:40]
	s_waitcnt lgkmcnt(0)
	; wave barrier
	s_and_saveexec_b64 s[6:7], vcc
	s_cbranch_execz .LBB18_218
; %bb.209:
	s_and_b64 vcc, exec, s[4:5]
	s_cbranch_vccnz .LBB18_211
; %bb.210:
	buffer_load_dword v39, v43, s[0:3], 0 offen
	buffer_load_dword v40, v43, s[0:3], 0 offen offset:4
	ds_read_b64 v[44:45], v42
	s_waitcnt vmcnt(0) lgkmcnt(0)
	v_mul_f64 v[39:40], v[39:40], v[44:45]
	s_cbranch_execz .LBB18_212
	s_branch .LBB18_213
.LBB18_211:
                                        ; implicit-def: $vgpr39_vgpr40
.LBB18_212:
	ds_read_b64 v[39:40], v42
.LBB18_213:
	v_cmp_ne_u32_e32 vcc, 4, v0
	s_and_saveexec_b64 s[8:9], vcc
	s_cbranch_execz .LBB18_217
; %bb.214:
	s_mov_b32 s10, 0
	v_add_u32_e32 v44, 0xa8, v41
	v_add3_u32 v45, v41, s10, 8
	s_mov_b64 s[10:11], 0
	v_mov_b32_e32 v46, v0
.LBB18_215:                             ; =>This Inner Loop Header: Depth=1
	buffer_load_dword v47, v45, s[0:3], 0 offen
	buffer_load_dword v48, v45, s[0:3], 0 offen offset:4
	ds_read_b64 v[49:50], v44
	v_add_u32_e32 v46, 1, v46
	v_cmp_lt_u32_e32 vcc, 3, v46
	v_add_u32_e32 v44, 8, v44
	s_or_b64 s[10:11], vcc, s[10:11]
	v_add_u32_e32 v45, 8, v45
	s_waitcnt vmcnt(0) lgkmcnt(0)
	v_fma_f64 v[39:40], v[47:48], v[49:50], v[39:40]
	s_andn2_b64 exec, exec, s[10:11]
	s_cbranch_execnz .LBB18_215
; %bb.216:
	s_or_b64 exec, exec, s[10:11]
.LBB18_217:
	s_or_b64 exec, exec, s[8:9]
	v_mov_b32_e32 v44, 0
	ds_read_b64 v[44:45], v44 offset:40
	s_waitcnt lgkmcnt(0)
	v_mul_f64 v[39:40], v[39:40], v[44:45]
	buffer_store_dword v40, off, s[0:3], 0 offset:44
	buffer_store_dword v39, off, s[0:3], 0 offset:40
.LBB18_218:
	;; [unrolled: 59-line block ×13, first 2 shown]
	s_or_b64 exec, exec, s[6:7]
	buffer_load_dword v39, off, s[0:3], 0 offset:136
	buffer_load_dword v40, off, s[0:3], 0 offset:140
	v_cmp_gt_u32_e64 s[6:7], 17, v0
	s_waitcnt vmcnt(0)
	ds_write_b64 v42, v[39:40]
	s_waitcnt lgkmcnt(0)
	; wave barrier
	s_and_saveexec_b64 s[8:9], s[6:7]
	s_cbranch_execz .LBB18_338
; %bb.329:
	s_and_b64 vcc, exec, s[4:5]
	s_cbranch_vccnz .LBB18_331
; %bb.330:
	buffer_load_dword v39, v43, s[0:3], 0 offen
	buffer_load_dword v40, v43, s[0:3], 0 offen offset:4
	ds_read_b64 v[44:45], v42
	s_waitcnt vmcnt(0) lgkmcnt(0)
	v_mul_f64 v[39:40], v[39:40], v[44:45]
	s_cbranch_execz .LBB18_332
	s_branch .LBB18_333
.LBB18_331:
                                        ; implicit-def: $vgpr39_vgpr40
.LBB18_332:
	ds_read_b64 v[39:40], v42
.LBB18_333:
	v_cmp_ne_u32_e32 vcc, 16, v0
	s_and_saveexec_b64 s[10:11], vcc
	s_cbranch_execz .LBB18_337
; %bb.334:
	s_mov_b32 s12, 0
	v_add_u32_e32 v44, 0xa8, v41
	v_add3_u32 v45, v41, s12, 8
	s_mov_b64 s[12:13], 0
	v_mov_b32_e32 v46, v0
.LBB18_335:                             ; =>This Inner Loop Header: Depth=1
	buffer_load_dword v47, v45, s[0:3], 0 offen
	buffer_load_dword v48, v45, s[0:3], 0 offen offset:4
	ds_read_b64 v[49:50], v44
	v_add_u32_e32 v46, 1, v46
	v_cmp_lt_u32_e32 vcc, 15, v46
	v_add_u32_e32 v44, 8, v44
	s_or_b64 s[12:13], vcc, s[12:13]
	v_add_u32_e32 v45, 8, v45
	s_waitcnt vmcnt(0) lgkmcnt(0)
	v_fma_f64 v[39:40], v[47:48], v[49:50], v[39:40]
	s_andn2_b64 exec, exec, s[12:13]
	s_cbranch_execnz .LBB18_335
; %bb.336:
	s_or_b64 exec, exec, s[12:13]
.LBB18_337:
	s_or_b64 exec, exec, s[10:11]
	v_mov_b32_e32 v44, 0
	ds_read_b64 v[44:45], v44 offset:136
	s_waitcnt lgkmcnt(0)
	v_mul_f64 v[39:40], v[39:40], v[44:45]
	buffer_store_dword v40, off, s[0:3], 0 offset:140
	buffer_store_dword v39, off, s[0:3], 0 offset:136
.LBB18_338:
	s_or_b64 exec, exec, s[8:9]
	buffer_load_dword v39, off, s[0:3], 0 offset:144
	buffer_load_dword v40, off, s[0:3], 0 offset:148
	v_cmp_ne_u32_e32 vcc, 18, v0
	s_waitcnt vmcnt(0)
	ds_write_b64 v42, v[39:40]
	s_waitcnt lgkmcnt(0)
	; wave barrier
	s_and_saveexec_b64 s[8:9], vcc
	s_cbranch_execz .LBB18_348
; %bb.339:
	s_and_b64 vcc, exec, s[4:5]
	s_cbranch_vccnz .LBB18_341
; %bb.340:
	buffer_load_dword v39, v43, s[0:3], 0 offen
	buffer_load_dword v40, v43, s[0:3], 0 offen offset:4
	ds_read_b64 v[43:44], v42
	s_waitcnt vmcnt(0) lgkmcnt(0)
	v_mul_f64 v[39:40], v[39:40], v[43:44]
	s_cbranch_execz .LBB18_342
	s_branch .LBB18_343
.LBB18_341:
                                        ; implicit-def: $vgpr39_vgpr40
.LBB18_342:
	ds_read_b64 v[39:40], v42
.LBB18_343:
	s_and_saveexec_b64 s[4:5], s[6:7]
	s_cbranch_execz .LBB18_347
; %bb.344:
	s_mov_b32 s6, 0
	v_add_u32_e32 v42, 0xa8, v41
	v_add3_u32 v41, v41, s6, 8
	s_mov_b64 s[6:7], 0
.LBB18_345:                             ; =>This Inner Loop Header: Depth=1
	buffer_load_dword v43, v41, s[0:3], 0 offen
	buffer_load_dword v44, v41, s[0:3], 0 offen offset:4
	ds_read_b64 v[45:46], v42
	v_add_u32_e32 v0, 1, v0
	v_cmp_lt_u32_e32 vcc, 16, v0
	v_add_u32_e32 v42, 8, v42
	s_or_b64 s[6:7], vcc, s[6:7]
	v_add_u32_e32 v41, 8, v41
	s_waitcnt vmcnt(0) lgkmcnt(0)
	v_fma_f64 v[39:40], v[43:44], v[45:46], v[39:40]
	s_andn2_b64 exec, exec, s[6:7]
	s_cbranch_execnz .LBB18_345
; %bb.346:
	s_or_b64 exec, exec, s[6:7]
.LBB18_347:
	s_or_b64 exec, exec, s[4:5]
	v_mov_b32_e32 v0, 0
	ds_read_b64 v[41:42], v0 offset:144
	s_waitcnt lgkmcnt(0)
	v_mul_f64 v[39:40], v[39:40], v[41:42]
	buffer_store_dword v40, off, s[0:3], 0 offset:148
	buffer_store_dword v39, off, s[0:3], 0 offset:144
.LBB18_348:
	s_or_b64 exec, exec, s[8:9]
.LBB18_349:
	buffer_load_dword v39, off, s[0:3], 0
	buffer_load_dword v40, off, s[0:3], 0 offset:4
	buffer_load_dword v41, off, s[0:3], 0 offset:8
	;; [unrolled: 1-line block ×15, first 2 shown]
	s_waitcnt vmcnt(14)
	global_store_dwordx2 v[3:4], v[39:40], off
	buffer_load_dword v4, off, s[0:3], 0 offset:68
	s_nop 0
	buffer_load_dword v39, off, s[0:3], 0 offset:72
	buffer_load_dword v40, off, s[0:3], 0 offset:76
	;; [unrolled: 1-line block ×7, first 2 shown]
	s_waitcnt vmcnt(21)
	global_store_dwordx2 v[1:2], v[41:42], off
	s_waitcnt vmcnt(20)
	global_store_dwordx2 v[7:8], v[43:44], off
	buffer_load_dword v0, off, s[0:3], 0 offset:96
	buffer_load_dword v1, off, s[0:3], 0 offset:100
	s_nop 0
	buffer_load_dword v7, off, s[0:3], 0 offset:104
	buffer_load_dword v8, off, s[0:3], 0 offset:108
	;; [unrolled: 1-line block ×6, first 2 shown]
	s_waitcnt vmcnt(27)
	global_store_dwordx2 v[5:6], v[45:46], off
	buffer_load_dword v5, off, s[0:3], 0 offset:128
	s_nop 0
	buffer_load_dword v6, off, s[0:3], 0 offset:132
	buffer_load_dword v45, off, s[0:3], 0 offset:136
	;; [unrolled: 1-line block ×5, first 2 shown]
	s_waitcnt vmcnt(32)
	global_store_dwordx2 v[9:10], v[47:48], off
	s_waitcnt vmcnt(31)
	global_store_dwordx2 v[11:12], v[49:50], off
	;; [unrolled: 2-line block ×5, first 2 shown]
	global_store_dwordx2 v[21:22], v[39:40], off
	global_store_dwordx2 v[23:24], v[55:56], off
	;; [unrolled: 1-line block ×3, first 2 shown]
	s_waitcnt vmcnt(21)
	global_store_dwordx2 v[27:28], v[0:1], off
	s_waitcnt vmcnt(20)
	global_store_dwordx2 v[29:30], v[7:8], off
	;; [unrolled: 2-line block ×7, first 2 shown]
.LBB18_350:
	s_endpgm
	.section	.rodata,"a",@progbits
	.p2align	6, 0x0
	.amdhsa_kernel _ZN9rocsolver6v33100L18trti2_kernel_smallILi19EdPdEEv13rocblas_fill_17rocblas_diagonal_T1_iil
		.amdhsa_group_segment_fixed_size 312
		.amdhsa_private_segment_fixed_size 160
		.amdhsa_kernarg_size 32
		.amdhsa_user_sgpr_count 6
		.amdhsa_user_sgpr_private_segment_buffer 1
		.amdhsa_user_sgpr_dispatch_ptr 0
		.amdhsa_user_sgpr_queue_ptr 0
		.amdhsa_user_sgpr_kernarg_segment_ptr 1
		.amdhsa_user_sgpr_dispatch_id 0
		.amdhsa_user_sgpr_flat_scratch_init 0
		.amdhsa_user_sgpr_private_segment_size 0
		.amdhsa_uses_dynamic_stack 0
		.amdhsa_system_sgpr_private_segment_wavefront_offset 1
		.amdhsa_system_sgpr_workgroup_id_x 1
		.amdhsa_system_sgpr_workgroup_id_y 0
		.amdhsa_system_sgpr_workgroup_id_z 0
		.amdhsa_system_sgpr_workgroup_info 0
		.amdhsa_system_vgpr_workitem_id 0
		.amdhsa_next_free_vgpr 62
		.amdhsa_next_free_sgpr 31
		.amdhsa_reserve_vcc 1
		.amdhsa_reserve_flat_scratch 0
		.amdhsa_float_round_mode_32 0
		.amdhsa_float_round_mode_16_64 0
		.amdhsa_float_denorm_mode_32 3
		.amdhsa_float_denorm_mode_16_64 3
		.amdhsa_dx10_clamp 1
		.amdhsa_ieee_mode 1
		.amdhsa_fp16_overflow 0
		.amdhsa_exception_fp_ieee_invalid_op 0
		.amdhsa_exception_fp_denorm_src 0
		.amdhsa_exception_fp_ieee_div_zero 0
		.amdhsa_exception_fp_ieee_overflow 0
		.amdhsa_exception_fp_ieee_underflow 0
		.amdhsa_exception_fp_ieee_inexact 0
		.amdhsa_exception_int_div_zero 0
	.end_amdhsa_kernel
	.section	.text._ZN9rocsolver6v33100L18trti2_kernel_smallILi19EdPdEEv13rocblas_fill_17rocblas_diagonal_T1_iil,"axG",@progbits,_ZN9rocsolver6v33100L18trti2_kernel_smallILi19EdPdEEv13rocblas_fill_17rocblas_diagonal_T1_iil,comdat
.Lfunc_end18:
	.size	_ZN9rocsolver6v33100L18trti2_kernel_smallILi19EdPdEEv13rocblas_fill_17rocblas_diagonal_T1_iil, .Lfunc_end18-_ZN9rocsolver6v33100L18trti2_kernel_smallILi19EdPdEEv13rocblas_fill_17rocblas_diagonal_T1_iil
                                        ; -- End function
	.set _ZN9rocsolver6v33100L18trti2_kernel_smallILi19EdPdEEv13rocblas_fill_17rocblas_diagonal_T1_iil.num_vgpr, 62
	.set _ZN9rocsolver6v33100L18trti2_kernel_smallILi19EdPdEEv13rocblas_fill_17rocblas_diagonal_T1_iil.num_agpr, 0
	.set _ZN9rocsolver6v33100L18trti2_kernel_smallILi19EdPdEEv13rocblas_fill_17rocblas_diagonal_T1_iil.numbered_sgpr, 31
	.set _ZN9rocsolver6v33100L18trti2_kernel_smallILi19EdPdEEv13rocblas_fill_17rocblas_diagonal_T1_iil.num_named_barrier, 0
	.set _ZN9rocsolver6v33100L18trti2_kernel_smallILi19EdPdEEv13rocblas_fill_17rocblas_diagonal_T1_iil.private_seg_size, 160
	.set _ZN9rocsolver6v33100L18trti2_kernel_smallILi19EdPdEEv13rocblas_fill_17rocblas_diagonal_T1_iil.uses_vcc, 1
	.set _ZN9rocsolver6v33100L18trti2_kernel_smallILi19EdPdEEv13rocblas_fill_17rocblas_diagonal_T1_iil.uses_flat_scratch, 0
	.set _ZN9rocsolver6v33100L18trti2_kernel_smallILi19EdPdEEv13rocblas_fill_17rocblas_diagonal_T1_iil.has_dyn_sized_stack, 0
	.set _ZN9rocsolver6v33100L18trti2_kernel_smallILi19EdPdEEv13rocblas_fill_17rocblas_diagonal_T1_iil.has_recursion, 0
	.set _ZN9rocsolver6v33100L18trti2_kernel_smallILi19EdPdEEv13rocblas_fill_17rocblas_diagonal_T1_iil.has_indirect_call, 0
	.section	.AMDGPU.csdata,"",@progbits
; Kernel info:
; codeLenInByte = 10844
; TotalNumSgprs: 35
; NumVgprs: 62
; ScratchSize: 160
; MemoryBound: 0
; FloatMode: 240
; IeeeMode: 1
; LDSByteSize: 312 bytes/workgroup (compile time only)
; SGPRBlocks: 4
; VGPRBlocks: 15
; NumSGPRsForWavesPerEU: 35
; NumVGPRsForWavesPerEU: 62
; Occupancy: 4
; WaveLimiterHint : 0
; COMPUTE_PGM_RSRC2:SCRATCH_EN: 1
; COMPUTE_PGM_RSRC2:USER_SGPR: 6
; COMPUTE_PGM_RSRC2:TRAP_HANDLER: 0
; COMPUTE_PGM_RSRC2:TGID_X_EN: 1
; COMPUTE_PGM_RSRC2:TGID_Y_EN: 0
; COMPUTE_PGM_RSRC2:TGID_Z_EN: 0
; COMPUTE_PGM_RSRC2:TIDIG_COMP_CNT: 0
	.section	.text._ZN9rocsolver6v33100L18trti2_kernel_smallILi20EdPdEEv13rocblas_fill_17rocblas_diagonal_T1_iil,"axG",@progbits,_ZN9rocsolver6v33100L18trti2_kernel_smallILi20EdPdEEv13rocblas_fill_17rocblas_diagonal_T1_iil,comdat
	.globl	_ZN9rocsolver6v33100L18trti2_kernel_smallILi20EdPdEEv13rocblas_fill_17rocblas_diagonal_T1_iil ; -- Begin function _ZN9rocsolver6v33100L18trti2_kernel_smallILi20EdPdEEv13rocblas_fill_17rocblas_diagonal_T1_iil
	.p2align	8
	.type	_ZN9rocsolver6v33100L18trti2_kernel_smallILi20EdPdEEv13rocblas_fill_17rocblas_diagonal_T1_iil,@function
_ZN9rocsolver6v33100L18trti2_kernel_smallILi20EdPdEEv13rocblas_fill_17rocblas_diagonal_T1_iil: ; @_ZN9rocsolver6v33100L18trti2_kernel_smallILi20EdPdEEv13rocblas_fill_17rocblas_diagonal_T1_iil
; %bb.0:
	s_add_u32 s0, s0, s7
	s_addc_u32 s1, s1, 0
	v_cmp_gt_u32_e32 vcc, 20, v0
	s_and_saveexec_b64 s[8:9], vcc
	s_cbranch_execz .LBB19_370
; %bb.1:
	s_load_dwordx8 s[8:15], s[4:5], 0x0
	s_ashr_i32 s7, s6, 31
	v_lshlrev_b32_e32 v43, 3, v0
	s_waitcnt lgkmcnt(0)
	s_ashr_i32 s5, s12, 31
	s_mov_b32 s4, s12
	s_mul_hi_u32 s12, s14, s6
	s_mul_i32 s7, s14, s7
	s_add_i32 s7, s12, s7
	s_mul_i32 s12, s15, s6
	s_add_i32 s7, s7, s12
	s_mul_i32 s6, s14, s6
	s_lshl_b64 s[6:7], s[6:7], 3
	s_add_u32 s6, s10, s6
	s_addc_u32 s7, s11, s7
	s_lshl_b64 s[4:5], s[4:5], 3
	s_add_u32 s4, s6, s4
	s_addc_u32 s5, s7, s5
	v_mov_b32_e32 v1, s5
	v_add_co_u32_e32 v3, vcc, s4, v43
	s_ashr_i32 s7, s13, 31
	s_mov_b32 s6, s13
	v_addc_co_u32_e32 v4, vcc, 0, v1, vcc
	s_lshl_b64 s[6:7], s[6:7], 3
	v_add_co_u32_e32 v1, vcc, s6, v3
	s_add_i32 s6, s13, s13
	v_add_u32_e32 v5, s6, v0
	v_ashrrev_i32_e32 v6, 31, v5
	v_mov_b32_e32 v2, s7
	v_lshlrev_b64 v[7:8], 3, v[5:6]
	v_addc_co_u32_e32 v2, vcc, v4, v2, vcc
	v_add_u32_e32 v9, s13, v5
	v_mov_b32_e32 v6, s5
	v_add_co_u32_e32 v7, vcc, s4, v7
	v_ashrrev_i32_e32 v10, 31, v9
	global_load_dwordx2 v[25:26], v43, s[4:5]
	v_addc_co_u32_e32 v8, vcc, v6, v8, vcc
	v_lshlrev_b64 v[5:6], 3, v[9:10]
	v_add_u32_e32 v11, s13, v9
	v_mov_b32_e32 v10, s5
	v_add_co_u32_e32 v5, vcc, s4, v5
	v_ashrrev_i32_e32 v12, 31, v11
	v_addc_co_u32_e32 v6, vcc, v10, v6, vcc
	v_lshlrev_b64 v[9:10], 3, v[11:12]
	v_mov_b32_e32 v12, s5
	v_add_co_u32_e32 v9, vcc, s4, v9
	v_addc_co_u32_e32 v10, vcc, v12, v10, vcc
	global_load_dwordx2 v[27:28], v[1:2], off
	global_load_dwordx2 v[29:30], v[7:8], off
	;; [unrolled: 1-line block ×4, first 2 shown]
	v_add_u32_e32 v13, s13, v11
	v_ashrrev_i32_e32 v14, 31, v13
	v_lshlrev_b64 v[11:12], 3, v[13:14]
	v_add_u32_e32 v15, s13, v13
	v_mov_b32_e32 v14, s5
	v_add_co_u32_e32 v11, vcc, s4, v11
	v_ashrrev_i32_e32 v16, 31, v15
	v_addc_co_u32_e32 v12, vcc, v14, v12, vcc
	v_lshlrev_b64 v[13:14], 3, v[15:16]
	v_add_u32_e32 v17, s13, v15
	v_mov_b32_e32 v16, s5
	v_add_co_u32_e32 v13, vcc, s4, v13
	v_ashrrev_i32_e32 v18, 31, v17
	v_addc_co_u32_e32 v14, vcc, v16, v14, vcc
	v_lshlrev_b64 v[15:16], 3, v[17:18]
	v_add_u32_e32 v19, s13, v17
	v_add_u32_e32 v21, s13, v19
	v_mov_b32_e32 v18, s5
	v_add_co_u32_e32 v15, vcc, s4, v15
	v_ashrrev_i32_e32 v20, 31, v19
	v_add_u32_e32 v23, s13, v21
	v_addc_co_u32_e32 v16, vcc, v18, v16, vcc
	v_lshlrev_b64 v[17:18], 3, v[19:20]
	v_add_u32_e32 v39, s13, v23
	v_add_u32_e32 v41, s13, v39
	v_mov_b32_e32 v20, s5
	v_add_co_u32_e32 v17, vcc, s4, v17
	v_ashrrev_i32_e32 v22, 31, v21
	v_add_u32_e32 v44, s13, v41
	v_addc_co_u32_e32 v18, vcc, v20, v18, vcc
	v_lshlrev_b64 v[19:20], 3, v[21:22]
	v_add_u32_e32 v46, s13, v44
	global_load_dwordx2 v[35:36], v[11:12], off
	global_load_dwordx2 v[37:38], v[13:14], off
	v_add_u32_e32 v48, s13, v46
	v_mov_b32_e32 v22, s5
	v_add_co_u32_e32 v19, vcc, s4, v19
	v_ashrrev_i32_e32 v24, 31, v23
	v_add_u32_e32 v50, s13, v48
	v_addc_co_u32_e32 v20, vcc, v22, v20, vcc
	v_lshlrev_b64 v[21:22], 3, v[23:24]
	v_add_u32_e32 v52, s13, v50
	v_add_u32_e32 v54, s13, v52
	v_mov_b32_e32 v24, s5
	v_add_co_u32_e32 v21, vcc, s4, v21
	v_add_u32_e32 v23, s13, v54
	v_addc_co_u32_e32 v22, vcc, v24, v22, vcc
	v_ashrrev_i32_e32 v24, 31, v23
	v_lshlrev_b64 v[23:24], 3, v[23:24]
	v_mov_b32_e32 v40, s5
	v_add_co_u32_e32 v23, vcc, s4, v23
	global_load_dwordx2 v[58:59], v[15:16], off
	v_addc_co_u32_e32 v24, vcc, v40, v24, vcc
	global_load_dwordx2 v[56:57], v[23:24], off
	v_ashrrev_i32_e32 v40, 31, v39
	s_waitcnt vmcnt(8)
	buffer_store_dword v26, off, s[0:3], 0 offset:4
	buffer_store_dword v25, off, s[0:3], 0
	global_load_dwordx2 v[25:26], v[17:18], off
	s_waitcnt vmcnt(10)
	buffer_store_dword v28, off, s[0:3], 0 offset:12
	buffer_store_dword v27, off, s[0:3], 0 offset:8
	global_load_dwordx2 v[60:61], v[19:20], off
	s_waitcnt vmcnt(12)
	buffer_store_dword v30, off, s[0:3], 0 offset:20
	buffer_store_dword v29, off, s[0:3], 0 offset:16
	global_load_dwordx2 v[62:63], v[21:22], off
	v_mov_b32_e32 v27, s5
	v_ashrrev_i32_e32 v42, 31, v41
	v_mov_b32_e32 v29, s5
	v_ashrrev_i32_e32 v45, 31, v44
	v_ashrrev_i32_e32 v47, 31, v46
	;; [unrolled: 1-line block ×6, first 2 shown]
	s_cmpk_lg_i32 s9, 0x84
	s_cselect_b64 s[10:11], -1, 0
	s_cmpk_eq_i32 s9, 0x84
	s_waitcnt vmcnt(14)
	buffer_store_dword v32, off, s[0:3], 0 offset:28
	buffer_store_dword v31, off, s[0:3], 0 offset:24
	s_waitcnt vmcnt(15)
	buffer_store_dword v34, off, s[0:3], 0 offset:36
	buffer_store_dword v33, off, s[0:3], 0 offset:32
	;; [unrolled: 3-line block ×6, first 2 shown]
	v_lshlrev_b64 v[25:26], 3, v[39:40]
	v_mov_b32_e32 v31, s5
	v_add_co_u32_e32 v25, vcc, s4, v25
	v_addc_co_u32_e32 v26, vcc, v27, v26, vcc
	v_lshlrev_b64 v[27:28], 3, v[41:42]
	v_mov_b32_e32 v33, s5
	v_add_co_u32_e32 v27, vcc, s4, v27
	v_addc_co_u32_e32 v28, vcc, v29, v28, vcc
	v_lshlrev_b64 v[29:30], 3, v[44:45]
	global_load_dwordx2 v[41:42], v[25:26], off
	global_load_dwordx2 v[58:59], v[27:28], off
	v_add_co_u32_e32 v29, vcc, s4, v29
	v_addc_co_u32_e32 v30, vcc, v31, v30, vcc
	v_lshlrev_b64 v[31:32], 3, v[46:47]
	s_waitcnt vmcnt(17)
	buffer_store_dword v60, off, s[0:3], 0 offset:72
	buffer_store_dword v61, off, s[0:3], 0 offset:76
	v_add_co_u32_e32 v31, vcc, s4, v31
	v_addc_co_u32_e32 v32, vcc, v33, v32, vcc
	v_lshlrev_b64 v[33:34], 3, v[48:49]
	v_mov_b32_e32 v35, s5
	v_add_co_u32_e32 v33, vcc, s4, v33
	v_addc_co_u32_e32 v34, vcc, v35, v34, vcc
	global_load_dwordx2 v[44:45], v[29:30], off
	global_load_dwordx2 v[46:47], v[31:32], off
	;; [unrolled: 1-line block ×3, first 2 shown]
	v_lshlrev_b64 v[35:36], 3, v[50:51]
	v_mov_b32_e32 v37, s5
	v_add_co_u32_e32 v35, vcc, s4, v35
	v_addc_co_u32_e32 v36, vcc, v37, v36, vcc
	v_lshlrev_b64 v[37:38], 3, v[52:53]
	v_mov_b32_e32 v39, s5
	v_add_co_u32_e32 v37, vcc, s4, v37
	v_addc_co_u32_e32 v38, vcc, v39, v38, vcc
	;; [unrolled: 4-line block ×3, first 2 shown]
	global_load_dwordx2 v[50:51], v[35:36], off
	global_load_dwordx2 v[52:53], v[37:38], off
	;; [unrolled: 1-line block ×3, first 2 shown]
	s_waitcnt vmcnt(22)
	buffer_store_dword v62, off, s[0:3], 0 offset:80
	buffer_store_dword v63, off, s[0:3], 0 offset:84
	s_waitcnt vmcnt(11)
	buffer_store_dword v41, off, s[0:3], 0 offset:88
	buffer_store_dword v42, off, s[0:3], 0 offset:92
	;; [unrolled: 3-line block ×9, first 2 shown]
	buffer_store_dword v57, off, s[0:3], 0 offset:156
	v_mov_b32_e32 v41, 0
	v_mov_b32_e32 v42, 0xbff00000
	buffer_store_dword v56, off, s[0:3], 0 offset:152
	s_cbranch_scc1 .LBB19_3
; %bb.2:
	v_mov_b32_e32 v41, 0
	v_lshl_add_u32 v52, v0, 3, v41
	buffer_load_dword v41, v52, s[0:3], 0 offen
	buffer_load_dword v42, v52, s[0:3], 0 offen offset:4
	s_waitcnt vmcnt(0)
	v_div_scale_f64 v[44:45], s[4:5], v[41:42], v[41:42], 1.0
	v_rcp_f64_e32 v[46:47], v[44:45]
	v_fma_f64 v[48:49], -v[44:45], v[46:47], 1.0
	v_fma_f64 v[46:47], v[46:47], v[48:49], v[46:47]
	v_div_scale_f64 v[48:49], vcc, 1.0, v[41:42], 1.0
	v_fma_f64 v[50:51], -v[44:45], v[46:47], 1.0
	v_fma_f64 v[46:47], v[46:47], v[50:51], v[46:47]
	v_mul_f64 v[50:51], v[48:49], v[46:47]
	v_fma_f64 v[44:45], -v[44:45], v[50:51], v[48:49]
	v_div_fmas_f64 v[44:45], v[44:45], v[46:47], v[50:51]
	v_div_fixup_f64 v[41:42], v[44:45], v[41:42], 1.0
	buffer_store_dword v41, v52, s[0:3], 0 offen
	buffer_store_dword v42, v52, s[0:3], 0 offen offset:4
	v_xor_b32_e32 v42, 0x80000000, v42
.LBB19_3:
	s_cmpk_eq_i32 s8, 0x79
	v_add_u32_e32 v44, 0xa0, v43
	v_mov_b32_e32 v45, v43
	s_mov_b64 s[4:5], -1
	ds_write_b64 v43, v[41:42]
	s_cbranch_scc1 .LBB19_187
; %bb.4:
	buffer_load_dword v41, off, s[0:3], 0 offset:144
	buffer_load_dword v42, off, s[0:3], 0 offset:148
	s_movk_i32 s12, 0x48
	s_movk_i32 s13, 0x50
	;; [unrolled: 1-line block ×9, first 2 shown]
	v_cmp_eq_u32_e64 s[4:5], 19, v0
	s_waitcnt vmcnt(0)
	ds_write_b64 v44, v[41:42]
	s_waitcnt lgkmcnt(0)
	; wave barrier
	s_and_saveexec_b64 s[6:7], s[4:5]
	s_cbranch_execz .LBB19_10
; %bb.5:
	s_and_b64 vcc, exec, s[10:11]
	s_cbranch_vccz .LBB19_7
; %bb.6:
	buffer_load_dword v41, v45, s[0:3], 0 offen
	buffer_load_dword v42, v45, s[0:3], 0 offen offset:4
	ds_read_b64 v[46:47], v44
	s_waitcnt vmcnt(0) lgkmcnt(0)
	v_mul_f64 v[41:42], v[41:42], v[46:47]
	s_cbranch_execz .LBB19_8
	s_branch .LBB19_9
.LBB19_7:
                                        ; implicit-def: $vgpr41_vgpr42
.LBB19_8:
	ds_read_b64 v[41:42], v44
.LBB19_9:
	v_mov_b32_e32 v46, 0
	ds_read_b64 v[46:47], v46 offset:144
	s_waitcnt lgkmcnt(0)
	v_mul_f64 v[41:42], v[41:42], v[46:47]
	buffer_store_dword v42, off, s[0:3], 0 offset:148
	buffer_store_dword v41, off, s[0:3], 0 offset:144
.LBB19_10:
	s_or_b64 exec, exec, s[6:7]
	buffer_load_dword v41, off, s[0:3], 0 offset:136
	buffer_load_dword v42, off, s[0:3], 0 offset:140
	s_or_b32 s14, 0, 8
	s_mov_b32 s15, 16
	s_mov_b32 s16, 24
	;; [unrolled: 1-line block ×9, first 2 shown]
	v_cmp_lt_u32_e64 s[6:7], 17, v0
	s_waitcnt vmcnt(0)
	ds_write_b64 v44, v[41:42]
	s_waitcnt lgkmcnt(0)
	; wave barrier
	s_and_saveexec_b64 s[8:9], s[6:7]
	s_cbranch_execz .LBB19_16
; %bb.11:
	s_andn2_b64 vcc, exec, s[10:11]
	s_cbranch_vccnz .LBB19_13
; %bb.12:
	buffer_load_dword v41, v45, s[0:3], 0 offen
	buffer_load_dword v42, v45, s[0:3], 0 offen offset:4
	ds_read_b64 v[46:47], v44
	s_waitcnt vmcnt(0) lgkmcnt(0)
	v_mul_f64 v[41:42], v[41:42], v[46:47]
	s_cbranch_execz .LBB19_14
	s_branch .LBB19_15
.LBB19_13:
                                        ; implicit-def: $vgpr41_vgpr42
.LBB19_14:
	ds_read_b64 v[41:42], v44
.LBB19_15:
	buffer_load_dword v50, off, s[0:3], 0 offset:144
	buffer_load_dword v51, off, s[0:3], 0 offset:148
	v_mov_b32_e32 v46, 0
	ds_read2_b64 v[46:49], v46 offset0:17 offset1:38
	s_waitcnt vmcnt(0) lgkmcnt(0)
	v_fma_f64 v[48:49], v[50:51], v[48:49], v[41:42]
	v_cndmask_b32_e64 v42, v42, v49, s[4:5]
	v_cndmask_b32_e64 v41, v41, v48, s[4:5]
	v_mul_f64 v[41:42], v[41:42], v[46:47]
	buffer_store_dword v42, off, s[0:3], 0 offset:140
	buffer_store_dword v41, off, s[0:3], 0 offset:136
.LBB19_16:
	s_or_b64 exec, exec, s[8:9]
	buffer_load_dword v41, off, s[0:3], 0 offset:128
	buffer_load_dword v42, off, s[0:3], 0 offset:132
	v_cmp_lt_u32_e64 s[4:5], 16, v0
	s_waitcnt vmcnt(0)
	ds_write_b64 v44, v[41:42]
	s_waitcnt lgkmcnt(0)
	; wave barrier
	s_and_saveexec_b64 s[8:9], s[4:5]
	s_cbranch_execz .LBB19_26
; %bb.17:
	s_andn2_b64 vcc, exec, s[10:11]
	s_cbranch_vccnz .LBB19_19
; %bb.18:
	buffer_load_dword v41, v45, s[0:3], 0 offen
	buffer_load_dword v42, v45, s[0:3], 0 offen offset:4
	ds_read_b64 v[46:47], v44
	s_waitcnt vmcnt(0) lgkmcnt(0)
	v_mul_f64 v[41:42], v[41:42], v[46:47]
	s_cbranch_execz .LBB19_20
	s_branch .LBB19_21
.LBB19_19:
                                        ; implicit-def: $vgpr41_vgpr42
.LBB19_20:
	ds_read_b64 v[41:42], v44
.LBB19_21:
	s_and_saveexec_b64 s[12:13], s[6:7]
	s_cbranch_execz .LBB19_25
; %bb.22:
	v_subrev_u32_e32 v46, 17, v0
	s_movk_i32 s31, 0x128
	s_mov_b64 s[6:7], 0
.LBB19_23:                              ; =>This Inner Loop Header: Depth=1
	v_mov_b32_e32 v49, s30
	buffer_load_dword v47, v49, s[0:3], 0 offen
	buffer_load_dword v48, v49, s[0:3], 0 offen offset:4
	v_mov_b32_e32 v49, s31
	ds_read_b64 v[49:50], v49
	v_add_u32_e32 v46, -1, v46
	s_add_i32 s31, s31, 8
	s_add_i32 s30, s30, 8
	v_cmp_eq_u32_e32 vcc, 0, v46
	s_or_b64 s[6:7], vcc, s[6:7]
	s_waitcnt vmcnt(0) lgkmcnt(0)
	v_fma_f64 v[41:42], v[47:48], v[49:50], v[41:42]
	s_andn2_b64 exec, exec, s[6:7]
	s_cbranch_execnz .LBB19_23
; %bb.24:
	s_or_b64 exec, exec, s[6:7]
.LBB19_25:
	s_or_b64 exec, exec, s[12:13]
	v_mov_b32_e32 v46, 0
	ds_read_b64 v[46:47], v46 offset:128
	s_waitcnt lgkmcnt(0)
	v_mul_f64 v[41:42], v[41:42], v[46:47]
	buffer_store_dword v42, off, s[0:3], 0 offset:132
	buffer_store_dword v41, off, s[0:3], 0 offset:128
.LBB19_26:
	s_or_b64 exec, exec, s[8:9]
	buffer_load_dword v41, off, s[0:3], 0 offset:120
	buffer_load_dword v42, off, s[0:3], 0 offset:124
	v_cmp_lt_u32_e64 s[6:7], 15, v0
	s_waitcnt vmcnt(0)
	ds_write_b64 v44, v[41:42]
	s_waitcnt lgkmcnt(0)
	; wave barrier
	s_and_saveexec_b64 s[8:9], s[6:7]
	s_cbranch_execz .LBB19_36
; %bb.27:
	s_andn2_b64 vcc, exec, s[10:11]
	s_cbranch_vccnz .LBB19_29
; %bb.28:
	buffer_load_dword v41, v45, s[0:3], 0 offen
	buffer_load_dword v42, v45, s[0:3], 0 offen offset:4
	ds_read_b64 v[46:47], v44
	s_waitcnt vmcnt(0) lgkmcnt(0)
	v_mul_f64 v[41:42], v[41:42], v[46:47]
	s_cbranch_execz .LBB19_30
	s_branch .LBB19_31
.LBB19_29:
                                        ; implicit-def: $vgpr41_vgpr42
.LBB19_30:
	ds_read_b64 v[41:42], v44
.LBB19_31:
	s_and_saveexec_b64 s[12:13], s[4:5]
	s_cbranch_execz .LBB19_35
; %bb.32:
	v_add_u32_e32 v46, -16, v0
	s_movk_i32 s30, 0x120
	s_mov_b64 s[4:5], 0
.LBB19_33:                              ; =>This Inner Loop Header: Depth=1
	v_mov_b32_e32 v49, s29
	buffer_load_dword v47, v49, s[0:3], 0 offen
	buffer_load_dword v48, v49, s[0:3], 0 offen offset:4
	v_mov_b32_e32 v49, s30
	ds_read_b64 v[49:50], v49
	v_add_u32_e32 v46, -1, v46
	s_add_i32 s30, s30, 8
	s_add_i32 s29, s29, 8
	v_cmp_eq_u32_e32 vcc, 0, v46
	s_or_b64 s[4:5], vcc, s[4:5]
	s_waitcnt vmcnt(0) lgkmcnt(0)
	v_fma_f64 v[41:42], v[47:48], v[49:50], v[41:42]
	s_andn2_b64 exec, exec, s[4:5]
	s_cbranch_execnz .LBB19_33
; %bb.34:
	s_or_b64 exec, exec, s[4:5]
.LBB19_35:
	s_or_b64 exec, exec, s[12:13]
	v_mov_b32_e32 v46, 0
	ds_read_b64 v[46:47], v46 offset:120
	s_waitcnt lgkmcnt(0)
	v_mul_f64 v[41:42], v[41:42], v[46:47]
	buffer_store_dword v42, off, s[0:3], 0 offset:124
	buffer_store_dword v41, off, s[0:3], 0 offset:120
.LBB19_36:
	s_or_b64 exec, exec, s[8:9]
	buffer_load_dword v41, off, s[0:3], 0 offset:112
	buffer_load_dword v42, off, s[0:3], 0 offset:116
	v_cmp_lt_u32_e64 s[4:5], 14, v0
	s_waitcnt vmcnt(0)
	ds_write_b64 v44, v[41:42]
	s_waitcnt lgkmcnt(0)
	; wave barrier
	s_and_saveexec_b64 s[8:9], s[4:5]
	s_cbranch_execz .LBB19_46
; %bb.37:
	s_andn2_b64 vcc, exec, s[10:11]
	s_cbranch_vccnz .LBB19_39
; %bb.38:
	buffer_load_dword v41, v45, s[0:3], 0 offen
	buffer_load_dword v42, v45, s[0:3], 0 offen offset:4
	ds_read_b64 v[46:47], v44
	s_waitcnt vmcnt(0) lgkmcnt(0)
	v_mul_f64 v[41:42], v[41:42], v[46:47]
	s_cbranch_execz .LBB19_40
	s_branch .LBB19_41
.LBB19_39:
                                        ; implicit-def: $vgpr41_vgpr42
.LBB19_40:
	ds_read_b64 v[41:42], v44
.LBB19_41:
	s_and_saveexec_b64 s[12:13], s[6:7]
	s_cbranch_execz .LBB19_45
; %bb.42:
	v_add_u32_e32 v46, -15, v0
	s_movk_i32 s29, 0x118
	s_mov_b64 s[6:7], 0
.LBB19_43:                              ; =>This Inner Loop Header: Depth=1
	v_mov_b32_e32 v49, s28
	buffer_load_dword v47, v49, s[0:3], 0 offen
	buffer_load_dword v48, v49, s[0:3], 0 offen offset:4
	v_mov_b32_e32 v49, s29
	ds_read_b64 v[49:50], v49
	v_add_u32_e32 v46, -1, v46
	s_add_i32 s29, s29, 8
	s_add_i32 s28, s28, 8
	v_cmp_eq_u32_e32 vcc, 0, v46
	s_or_b64 s[6:7], vcc, s[6:7]
	s_waitcnt vmcnt(0) lgkmcnt(0)
	v_fma_f64 v[41:42], v[47:48], v[49:50], v[41:42]
	s_andn2_b64 exec, exec, s[6:7]
	s_cbranch_execnz .LBB19_43
; %bb.44:
	s_or_b64 exec, exec, s[6:7]
.LBB19_45:
	s_or_b64 exec, exec, s[12:13]
	v_mov_b32_e32 v46, 0
	ds_read_b64 v[46:47], v46 offset:112
	s_waitcnt lgkmcnt(0)
	v_mul_f64 v[41:42], v[41:42], v[46:47]
	buffer_store_dword v42, off, s[0:3], 0 offset:116
	buffer_store_dword v41, off, s[0:3], 0 offset:112
.LBB19_46:
	;; [unrolled: 58-line block ×7, first 2 shown]
	s_or_b64 exec, exec, s[8:9]
	buffer_load_dword v41, off, s[0:3], 0 offset:64
	buffer_load_dword v42, off, s[0:3], 0 offset:68
	v_cmp_lt_u32_e64 s[4:5], 8, v0
	s_waitcnt vmcnt(0)
	ds_write_b64 v44, v[41:42]
	s_waitcnt lgkmcnt(0)
	; wave barrier
	s_and_saveexec_b64 s[8:9], s[4:5]
	s_cbranch_execz .LBB19_106
; %bb.97:
	s_andn2_b64 vcc, exec, s[10:11]
	s_cbranch_vccnz .LBB19_99
; %bb.98:
	buffer_load_dword v41, v45, s[0:3], 0 offen
	buffer_load_dword v42, v45, s[0:3], 0 offen offset:4
	ds_read_b64 v[46:47], v44
	s_waitcnt vmcnt(0) lgkmcnt(0)
	v_mul_f64 v[41:42], v[41:42], v[46:47]
	s_cbranch_execz .LBB19_100
	s_branch .LBB19_101
.LBB19_99:
                                        ; implicit-def: $vgpr41_vgpr42
.LBB19_100:
	ds_read_b64 v[41:42], v44
.LBB19_101:
	s_and_saveexec_b64 s[12:13], s[6:7]
	s_cbranch_execz .LBB19_105
; %bb.102:
	v_add_u32_e32 v46, -9, v0
	s_movk_i32 s23, 0xe8
	s_mov_b64 s[6:7], 0
.LBB19_103:                             ; =>This Inner Loop Header: Depth=1
	v_mov_b32_e32 v49, s22
	buffer_load_dword v47, v49, s[0:3], 0 offen
	buffer_load_dword v48, v49, s[0:3], 0 offen offset:4
	v_mov_b32_e32 v49, s23
	ds_read_b64 v[49:50], v49
	v_add_u32_e32 v46, -1, v46
	s_add_i32 s23, s23, 8
	s_add_i32 s22, s22, 8
	v_cmp_eq_u32_e32 vcc, 0, v46
	s_or_b64 s[6:7], vcc, s[6:7]
	s_waitcnt vmcnt(0) lgkmcnt(0)
	v_fma_f64 v[41:42], v[47:48], v[49:50], v[41:42]
	s_andn2_b64 exec, exec, s[6:7]
	s_cbranch_execnz .LBB19_103
; %bb.104:
	s_or_b64 exec, exec, s[6:7]
.LBB19_105:
	s_or_b64 exec, exec, s[12:13]
	v_mov_b32_e32 v46, 0
	ds_read_b64 v[46:47], v46 offset:64
	s_waitcnt lgkmcnt(0)
	v_mul_f64 v[41:42], v[41:42], v[46:47]
	buffer_store_dword v42, off, s[0:3], 0 offset:68
	buffer_store_dword v41, off, s[0:3], 0 offset:64
.LBB19_106:
	s_or_b64 exec, exec, s[8:9]
	buffer_load_dword v41, off, s[0:3], 0 offset:56
	buffer_load_dword v42, off, s[0:3], 0 offset:60
	v_cmp_lt_u32_e64 s[6:7], 7, v0
	s_waitcnt vmcnt(0)
	ds_write_b64 v44, v[41:42]
	s_waitcnt lgkmcnt(0)
	; wave barrier
	s_and_saveexec_b64 s[8:9], s[6:7]
	s_cbranch_execz .LBB19_116
; %bb.107:
	s_andn2_b64 vcc, exec, s[10:11]
	s_cbranch_vccnz .LBB19_109
; %bb.108:
	buffer_load_dword v41, v45, s[0:3], 0 offen
	buffer_load_dword v42, v45, s[0:3], 0 offen offset:4
	ds_read_b64 v[46:47], v44
	s_waitcnt vmcnt(0) lgkmcnt(0)
	v_mul_f64 v[41:42], v[41:42], v[46:47]
	s_cbranch_execz .LBB19_110
	s_branch .LBB19_111
.LBB19_109:
                                        ; implicit-def: $vgpr41_vgpr42
.LBB19_110:
	ds_read_b64 v[41:42], v44
.LBB19_111:
	s_and_saveexec_b64 s[12:13], s[4:5]
	s_cbranch_execz .LBB19_115
; %bb.112:
	v_add_u32_e32 v46, -8, v0
	s_movk_i32 s22, 0xe0
	s_mov_b64 s[4:5], 0
.LBB19_113:                             ; =>This Inner Loop Header: Depth=1
	v_mov_b32_e32 v49, s21
	buffer_load_dword v47, v49, s[0:3], 0 offen
	buffer_load_dword v48, v49, s[0:3], 0 offen offset:4
	v_mov_b32_e32 v49, s22
	ds_read_b64 v[49:50], v49
	v_add_u32_e32 v46, -1, v46
	s_add_i32 s22, s22, 8
	s_add_i32 s21, s21, 8
	v_cmp_eq_u32_e32 vcc, 0, v46
	s_or_b64 s[4:5], vcc, s[4:5]
	s_waitcnt vmcnt(0) lgkmcnt(0)
	v_fma_f64 v[41:42], v[47:48], v[49:50], v[41:42]
	s_andn2_b64 exec, exec, s[4:5]
	s_cbranch_execnz .LBB19_113
; %bb.114:
	s_or_b64 exec, exec, s[4:5]
.LBB19_115:
	s_or_b64 exec, exec, s[12:13]
	v_mov_b32_e32 v46, 0
	ds_read_b64 v[46:47], v46 offset:56
	s_waitcnt lgkmcnt(0)
	v_mul_f64 v[41:42], v[41:42], v[46:47]
	buffer_store_dword v42, off, s[0:3], 0 offset:60
	buffer_store_dword v41, off, s[0:3], 0 offset:56
.LBB19_116:
	;; [unrolled: 58-line block ×8, first 2 shown]
	s_or_b64 exec, exec, s[8:9]
	buffer_load_dword v41, off, s[0:3], 0
	buffer_load_dword v42, off, s[0:3], 0 offset:4
	v_cmp_ne_u32_e32 vcc, 0, v0
	s_waitcnt vmcnt(0)
	ds_write_b64 v44, v[41:42]
	s_waitcnt lgkmcnt(0)
	; wave barrier
	s_and_saveexec_b64 s[4:5], vcc
	s_cbranch_execz .LBB19_186
; %bb.177:
	s_andn2_b64 vcc, exec, s[10:11]
	s_cbranch_vccnz .LBB19_179
; %bb.178:
	buffer_load_dword v41, v45, s[0:3], 0 offen
	buffer_load_dword v42, v45, s[0:3], 0 offen offset:4
	ds_read_b64 v[46:47], v44
	s_waitcnt vmcnt(0) lgkmcnt(0)
	v_mul_f64 v[41:42], v[41:42], v[46:47]
	s_cbranch_execz .LBB19_180
	s_branch .LBB19_181
.LBB19_179:
                                        ; implicit-def: $vgpr41_vgpr42
.LBB19_180:
	ds_read_b64 v[41:42], v44
.LBB19_181:
	s_and_saveexec_b64 s[8:9], s[6:7]
	s_cbranch_execz .LBB19_185
; %bb.182:
	v_add_u32_e32 v46, -1, v0
	s_movk_i32 s12, 0xa8
	s_mov_b64 s[6:7], 0
.LBB19_183:                             ; =>This Inner Loop Header: Depth=1
	v_mov_b32_e32 v49, s14
	buffer_load_dword v47, v49, s[0:3], 0 offen
	buffer_load_dword v48, v49, s[0:3], 0 offen offset:4
	v_mov_b32_e32 v49, s12
	ds_read_b64 v[49:50], v49
	v_add_u32_e32 v46, -1, v46
	s_add_i32 s12, s12, 8
	s_add_i32 s14, s14, 8
	v_cmp_eq_u32_e32 vcc, 0, v46
	s_or_b64 s[6:7], vcc, s[6:7]
	s_waitcnt vmcnt(0) lgkmcnt(0)
	v_fma_f64 v[41:42], v[47:48], v[49:50], v[41:42]
	s_andn2_b64 exec, exec, s[6:7]
	s_cbranch_execnz .LBB19_183
; %bb.184:
	s_or_b64 exec, exec, s[6:7]
.LBB19_185:
	s_or_b64 exec, exec, s[8:9]
	v_mov_b32_e32 v46, 0
	ds_read_b64 v[46:47], v46
	s_waitcnt lgkmcnt(0)
	v_mul_f64 v[41:42], v[41:42], v[46:47]
	buffer_store_dword v42, off, s[0:3], 0 offset:4
	buffer_store_dword v41, off, s[0:3], 0
.LBB19_186:
	s_or_b64 exec, exec, s[4:5]
	s_mov_b64 s[4:5], 0
.LBB19_187:
	s_and_b64 vcc, exec, s[4:5]
	s_cbranch_vccz .LBB19_369
; %bb.188:
	buffer_load_dword v41, off, s[0:3], 0 offset:8
	buffer_load_dword v42, off, s[0:3], 0 offset:12
	v_cmp_eq_u32_e64 s[6:7], 0, v0
	s_waitcnt vmcnt(0)
	ds_write_b64 v44, v[41:42]
	s_waitcnt lgkmcnt(0)
	; wave barrier
	s_and_saveexec_b64 s[4:5], s[6:7]
	s_cbranch_execz .LBB19_194
; %bb.189:
	s_and_b64 vcc, exec, s[10:11]
	s_cbranch_vccz .LBB19_191
; %bb.190:
	buffer_load_dword v41, v45, s[0:3], 0 offen
	buffer_load_dword v42, v45, s[0:3], 0 offen offset:4
	ds_read_b64 v[46:47], v44
	s_waitcnt vmcnt(0) lgkmcnt(0)
	v_mul_f64 v[41:42], v[41:42], v[46:47]
	s_cbranch_execz .LBB19_192
	s_branch .LBB19_193
.LBB19_191:
                                        ; implicit-def: $vgpr41_vgpr42
.LBB19_192:
	ds_read_b64 v[41:42], v44
.LBB19_193:
	v_mov_b32_e32 v46, 0
	ds_read_b64 v[46:47], v46 offset:8
	s_waitcnt lgkmcnt(0)
	v_mul_f64 v[41:42], v[41:42], v[46:47]
	buffer_store_dword v42, off, s[0:3], 0 offset:12
	buffer_store_dword v41, off, s[0:3], 0 offset:8
.LBB19_194:
	s_or_b64 exec, exec, s[4:5]
	buffer_load_dword v41, off, s[0:3], 0 offset:16
	buffer_load_dword v42, off, s[0:3], 0 offset:20
	v_cndmask_b32_e64 v46, 0, 1, s[10:11]
	v_cmp_gt_u32_e32 vcc, 2, v0
	v_cmp_ne_u32_e64 s[4:5], 1, v46
	s_waitcnt vmcnt(0)
	ds_write_b64 v44, v[41:42]
	s_waitcnt lgkmcnt(0)
	; wave barrier
	s_and_saveexec_b64 s[8:9], vcc
	s_cbranch_execz .LBB19_200
; %bb.195:
	s_and_b64 vcc, exec, s[4:5]
	s_cbranch_vccnz .LBB19_197
; %bb.196:
	buffer_load_dword v41, v45, s[0:3], 0 offen
	buffer_load_dword v42, v45, s[0:3], 0 offen offset:4
	ds_read_b64 v[46:47], v44
	s_waitcnt vmcnt(0) lgkmcnt(0)
	v_mul_f64 v[41:42], v[41:42], v[46:47]
	s_cbranch_execz .LBB19_198
	s_branch .LBB19_199
.LBB19_197:
                                        ; implicit-def: $vgpr41_vgpr42
.LBB19_198:
	ds_read_b64 v[41:42], v44
.LBB19_199:
	buffer_load_dword v50, off, s[0:3], 0 offset:8
	buffer_load_dword v51, off, s[0:3], 0 offset:12
	v_mov_b32_e32 v46, 0
	ds_read2_b64 v[46:49], v46 offset0:2 offset1:21
	s_waitcnt vmcnt(0) lgkmcnt(0)
	v_fma_f64 v[48:49], v[50:51], v[48:49], v[41:42]
	v_cndmask_b32_e64 v42, v42, v49, s[6:7]
	v_cndmask_b32_e64 v41, v41, v48, s[6:7]
	v_mul_f64 v[41:42], v[41:42], v[46:47]
	buffer_store_dword v42, off, s[0:3], 0 offset:20
	buffer_store_dword v41, off, s[0:3], 0 offset:16
.LBB19_200:
	s_or_b64 exec, exec, s[8:9]
	buffer_load_dword v41, off, s[0:3], 0 offset:24
	buffer_load_dword v42, off, s[0:3], 0 offset:28
	v_cmp_gt_u32_e32 vcc, 3, v0
	s_waitcnt vmcnt(0)
	ds_write_b64 v44, v[41:42]
	s_waitcnt lgkmcnt(0)
	; wave barrier
	s_and_saveexec_b64 s[8:9], vcc
	s_cbranch_execz .LBB19_208
; %bb.201:
	s_and_b64 vcc, exec, s[4:5]
	s_cbranch_vccnz .LBB19_203
; %bb.202:
	buffer_load_dword v41, v45, s[0:3], 0 offen
	buffer_load_dword v42, v45, s[0:3], 0 offen offset:4
	ds_read_b64 v[46:47], v44
	s_waitcnt vmcnt(0) lgkmcnt(0)
	v_mul_f64 v[41:42], v[41:42], v[46:47]
	s_cbranch_execz .LBB19_204
	s_branch .LBB19_205
.LBB19_203:
                                        ; implicit-def: $vgpr41_vgpr42
.LBB19_204:
	ds_read_b64 v[41:42], v44
.LBB19_205:
	v_cmp_ne_u32_e32 vcc, 2, v0
	s_and_saveexec_b64 s[10:11], vcc
	s_cbranch_execz .LBB19_207
; %bb.206:
	buffer_load_dword v46, v45, s[0:3], 0 offen offset:8
	buffer_load_dword v47, v45, s[0:3], 0 offen offset:12
	buffer_load_dword v48, off, s[0:3], 0 offset:16
	buffer_load_dword v49, off, s[0:3], 0 offset:20
	ds_read_b64 v[50:51], v44 offset:8
	v_mov_b32_e32 v52, 0
	ds_read_b64 v[52:53], v52 offset:176
	s_waitcnt vmcnt(2) lgkmcnt(1)
	v_fma_f64 v[41:42], v[46:47], v[50:51], v[41:42]
	s_waitcnt vmcnt(0) lgkmcnt(0)
	v_fma_f64 v[46:47], v[48:49], v[52:53], v[41:42]
	v_cndmask_b32_e64 v42, v42, v47, s[6:7]
	v_cndmask_b32_e64 v41, v41, v46, s[6:7]
.LBB19_207:
	s_or_b64 exec, exec, s[10:11]
	v_mov_b32_e32 v46, 0
	ds_read_b64 v[46:47], v46 offset:24
	s_waitcnt lgkmcnt(0)
	v_mul_f64 v[41:42], v[41:42], v[46:47]
	buffer_store_dword v42, off, s[0:3], 0 offset:28
	buffer_store_dword v41, off, s[0:3], 0 offset:24
.LBB19_208:
	s_or_b64 exec, exec, s[8:9]
	buffer_load_dword v41, off, s[0:3], 0 offset:32
	buffer_load_dword v42, off, s[0:3], 0 offset:36
	v_cmp_gt_u32_e32 vcc, 4, v0
	s_waitcnt vmcnt(0)
	ds_write_b64 v44, v[41:42]
	s_waitcnt lgkmcnt(0)
	; wave barrier
	s_and_saveexec_b64 s[6:7], vcc
	s_cbranch_execz .LBB19_218
; %bb.209:
	s_and_b64 vcc, exec, s[4:5]
	s_cbranch_vccnz .LBB19_211
; %bb.210:
	buffer_load_dword v41, v45, s[0:3], 0 offen
	buffer_load_dword v42, v45, s[0:3], 0 offen offset:4
	ds_read_b64 v[46:47], v44
	s_waitcnt vmcnt(0) lgkmcnt(0)
	v_mul_f64 v[41:42], v[41:42], v[46:47]
	s_cbranch_execz .LBB19_212
	s_branch .LBB19_213
.LBB19_211:
                                        ; implicit-def: $vgpr41_vgpr42
.LBB19_212:
	ds_read_b64 v[41:42], v44
.LBB19_213:
	v_cmp_ne_u32_e32 vcc, 3, v0
	s_and_saveexec_b64 s[8:9], vcc
	s_cbranch_execz .LBB19_217
; %bb.214:
	s_mov_b32 s10, 0
	v_add_u32_e32 v46, 0xa8, v43
	v_add3_u32 v47, v43, s10, 8
	s_mov_b64 s[10:11], 0
	v_mov_b32_e32 v48, v0
.LBB19_215:                             ; =>This Inner Loop Header: Depth=1
	buffer_load_dword v49, v47, s[0:3], 0 offen
	buffer_load_dword v50, v47, s[0:3], 0 offen offset:4
	ds_read_b64 v[51:52], v46
	v_add_u32_e32 v48, 1, v48
	v_cmp_lt_u32_e32 vcc, 2, v48
	v_add_u32_e32 v46, 8, v46
	s_or_b64 s[10:11], vcc, s[10:11]
	v_add_u32_e32 v47, 8, v47
	s_waitcnt vmcnt(0) lgkmcnt(0)
	v_fma_f64 v[41:42], v[49:50], v[51:52], v[41:42]
	s_andn2_b64 exec, exec, s[10:11]
	s_cbranch_execnz .LBB19_215
; %bb.216:
	s_or_b64 exec, exec, s[10:11]
.LBB19_217:
	s_or_b64 exec, exec, s[8:9]
	v_mov_b32_e32 v46, 0
	ds_read_b64 v[46:47], v46 offset:32
	s_waitcnt lgkmcnt(0)
	v_mul_f64 v[41:42], v[41:42], v[46:47]
	buffer_store_dword v42, off, s[0:3], 0 offset:36
	buffer_store_dword v41, off, s[0:3], 0 offset:32
.LBB19_218:
	s_or_b64 exec, exec, s[6:7]
	buffer_load_dword v41, off, s[0:3], 0 offset:40
	buffer_load_dword v42, off, s[0:3], 0 offset:44
	v_cmp_gt_u32_e32 vcc, 5, v0
	s_waitcnt vmcnt(0)
	ds_write_b64 v44, v[41:42]
	s_waitcnt lgkmcnt(0)
	; wave barrier
	s_and_saveexec_b64 s[6:7], vcc
	s_cbranch_execz .LBB19_228
; %bb.219:
	s_and_b64 vcc, exec, s[4:5]
	s_cbranch_vccnz .LBB19_221
; %bb.220:
	buffer_load_dword v41, v45, s[0:3], 0 offen
	buffer_load_dword v42, v45, s[0:3], 0 offen offset:4
	ds_read_b64 v[46:47], v44
	s_waitcnt vmcnt(0) lgkmcnt(0)
	v_mul_f64 v[41:42], v[41:42], v[46:47]
	s_cbranch_execz .LBB19_222
	s_branch .LBB19_223
.LBB19_221:
                                        ; implicit-def: $vgpr41_vgpr42
.LBB19_222:
	ds_read_b64 v[41:42], v44
.LBB19_223:
	v_cmp_ne_u32_e32 vcc, 4, v0
	s_and_saveexec_b64 s[8:9], vcc
	s_cbranch_execz .LBB19_227
; %bb.224:
	s_mov_b32 s10, 0
	v_add_u32_e32 v46, 0xa8, v43
	v_add3_u32 v47, v43, s10, 8
	s_mov_b64 s[10:11], 0
	v_mov_b32_e32 v48, v0
.LBB19_225:                             ; =>This Inner Loop Header: Depth=1
	buffer_load_dword v49, v47, s[0:3], 0 offen
	buffer_load_dword v50, v47, s[0:3], 0 offen offset:4
	ds_read_b64 v[51:52], v46
	v_add_u32_e32 v48, 1, v48
	v_cmp_lt_u32_e32 vcc, 3, v48
	v_add_u32_e32 v46, 8, v46
	s_or_b64 s[10:11], vcc, s[10:11]
	v_add_u32_e32 v47, 8, v47
	s_waitcnt vmcnt(0) lgkmcnt(0)
	v_fma_f64 v[41:42], v[49:50], v[51:52], v[41:42]
	s_andn2_b64 exec, exec, s[10:11]
	s_cbranch_execnz .LBB19_225
; %bb.226:
	s_or_b64 exec, exec, s[10:11]
.LBB19_227:
	s_or_b64 exec, exec, s[8:9]
	v_mov_b32_e32 v46, 0
	ds_read_b64 v[46:47], v46 offset:40
	s_waitcnt lgkmcnt(0)
	v_mul_f64 v[41:42], v[41:42], v[46:47]
	buffer_store_dword v42, off, s[0:3], 0 offset:44
	buffer_store_dword v41, off, s[0:3], 0 offset:40
.LBB19_228:
	;; [unrolled: 59-line block ×14, first 2 shown]
	s_or_b64 exec, exec, s[6:7]
	buffer_load_dword v41, off, s[0:3], 0 offset:144
	buffer_load_dword v42, off, s[0:3], 0 offset:148
	v_cmp_gt_u32_e64 s[6:7], 18, v0
	s_waitcnt vmcnt(0)
	ds_write_b64 v44, v[41:42]
	s_waitcnt lgkmcnt(0)
	; wave barrier
	s_and_saveexec_b64 s[8:9], s[6:7]
	s_cbranch_execz .LBB19_358
; %bb.349:
	s_and_b64 vcc, exec, s[4:5]
	s_cbranch_vccnz .LBB19_351
; %bb.350:
	buffer_load_dword v41, v45, s[0:3], 0 offen
	buffer_load_dword v42, v45, s[0:3], 0 offen offset:4
	ds_read_b64 v[46:47], v44
	s_waitcnt vmcnt(0) lgkmcnt(0)
	v_mul_f64 v[41:42], v[41:42], v[46:47]
	s_cbranch_execz .LBB19_352
	s_branch .LBB19_353
.LBB19_351:
                                        ; implicit-def: $vgpr41_vgpr42
.LBB19_352:
	ds_read_b64 v[41:42], v44
.LBB19_353:
	v_cmp_ne_u32_e32 vcc, 17, v0
	s_and_saveexec_b64 s[10:11], vcc
	s_cbranch_execz .LBB19_357
; %bb.354:
	s_mov_b32 s12, 0
	v_add_u32_e32 v46, 0xa8, v43
	v_add3_u32 v47, v43, s12, 8
	s_mov_b64 s[12:13], 0
	v_mov_b32_e32 v48, v0
.LBB19_355:                             ; =>This Inner Loop Header: Depth=1
	buffer_load_dword v49, v47, s[0:3], 0 offen
	buffer_load_dword v50, v47, s[0:3], 0 offen offset:4
	ds_read_b64 v[51:52], v46
	v_add_u32_e32 v48, 1, v48
	v_cmp_lt_u32_e32 vcc, 16, v48
	v_add_u32_e32 v46, 8, v46
	s_or_b64 s[12:13], vcc, s[12:13]
	v_add_u32_e32 v47, 8, v47
	s_waitcnt vmcnt(0) lgkmcnt(0)
	v_fma_f64 v[41:42], v[49:50], v[51:52], v[41:42]
	s_andn2_b64 exec, exec, s[12:13]
	s_cbranch_execnz .LBB19_355
; %bb.356:
	s_or_b64 exec, exec, s[12:13]
.LBB19_357:
	s_or_b64 exec, exec, s[10:11]
	v_mov_b32_e32 v46, 0
	ds_read_b64 v[46:47], v46 offset:144
	s_waitcnt lgkmcnt(0)
	v_mul_f64 v[41:42], v[41:42], v[46:47]
	buffer_store_dword v42, off, s[0:3], 0 offset:148
	buffer_store_dword v41, off, s[0:3], 0 offset:144
.LBB19_358:
	s_or_b64 exec, exec, s[8:9]
	buffer_load_dword v41, off, s[0:3], 0 offset:152
	buffer_load_dword v42, off, s[0:3], 0 offset:156
	v_cmp_ne_u32_e32 vcc, 19, v0
	s_waitcnt vmcnt(0)
	ds_write_b64 v44, v[41:42]
	s_waitcnt lgkmcnt(0)
	; wave barrier
	s_and_saveexec_b64 s[8:9], vcc
	s_cbranch_execz .LBB19_368
; %bb.359:
	s_and_b64 vcc, exec, s[4:5]
	s_cbranch_vccnz .LBB19_361
; %bb.360:
	buffer_load_dword v41, v45, s[0:3], 0 offen
	buffer_load_dword v42, v45, s[0:3], 0 offen offset:4
	ds_read_b64 v[45:46], v44
	s_waitcnt vmcnt(0) lgkmcnt(0)
	v_mul_f64 v[41:42], v[41:42], v[45:46]
	s_cbranch_execz .LBB19_362
	s_branch .LBB19_363
.LBB19_361:
                                        ; implicit-def: $vgpr41_vgpr42
.LBB19_362:
	ds_read_b64 v[41:42], v44
.LBB19_363:
	s_and_saveexec_b64 s[4:5], s[6:7]
	s_cbranch_execz .LBB19_367
; %bb.364:
	s_mov_b32 s6, 0
	v_add_u32_e32 v44, 0xa8, v43
	v_add3_u32 v43, v43, s6, 8
	s_mov_b64 s[6:7], 0
.LBB19_365:                             ; =>This Inner Loop Header: Depth=1
	buffer_load_dword v45, v43, s[0:3], 0 offen
	buffer_load_dword v46, v43, s[0:3], 0 offen offset:4
	ds_read_b64 v[47:48], v44
	v_add_u32_e32 v0, 1, v0
	v_cmp_lt_u32_e32 vcc, 17, v0
	v_add_u32_e32 v44, 8, v44
	s_or_b64 s[6:7], vcc, s[6:7]
	v_add_u32_e32 v43, 8, v43
	s_waitcnt vmcnt(0) lgkmcnt(0)
	v_fma_f64 v[41:42], v[45:46], v[47:48], v[41:42]
	s_andn2_b64 exec, exec, s[6:7]
	s_cbranch_execnz .LBB19_365
; %bb.366:
	s_or_b64 exec, exec, s[6:7]
.LBB19_367:
	s_or_b64 exec, exec, s[4:5]
	v_mov_b32_e32 v0, 0
	ds_read_b64 v[43:44], v0 offset:152
	s_waitcnt lgkmcnt(0)
	v_mul_f64 v[41:42], v[41:42], v[43:44]
	buffer_store_dword v42, off, s[0:3], 0 offset:156
	buffer_store_dword v41, off, s[0:3], 0 offset:152
.LBB19_368:
	s_or_b64 exec, exec, s[8:9]
.LBB19_369:
	buffer_load_dword v41, off, s[0:3], 0
	buffer_load_dword v42, off, s[0:3], 0 offset:4
	buffer_load_dword v43, off, s[0:3], 0 offset:8
	;; [unrolled: 1-line block ×15, first 2 shown]
	s_waitcnt vmcnt(14)
	global_store_dwordx2 v[3:4], v[41:42], off
	buffer_load_dword v4, off, s[0:3], 0 offset:68
	s_nop 0
	buffer_load_dword v41, off, s[0:3], 0 offset:72
	buffer_load_dword v42, off, s[0:3], 0 offset:76
	;; [unrolled: 1-line block ×7, first 2 shown]
	s_waitcnt vmcnt(21)
	global_store_dwordx2 v[1:2], v[43:44], off
	s_waitcnt vmcnt(20)
	global_store_dwordx2 v[7:8], v[45:46], off
	buffer_load_dword v0, off, s[0:3], 0 offset:96
	buffer_load_dword v1, off, s[0:3], 0 offset:100
	s_nop 0
	buffer_load_dword v7, off, s[0:3], 0 offset:104
	buffer_load_dword v8, off, s[0:3], 0 offset:108
	;; [unrolled: 1-line block ×6, first 2 shown]
	s_waitcnt vmcnt(27)
	global_store_dwordx2 v[5:6], v[47:48], off
	s_waitcnt vmcnt(26)
	global_store_dwordx2 v[9:10], v[49:50], off
	buffer_load_dword v5, off, s[0:3], 0 offset:128
	buffer_load_dword v6, off, s[0:3], 0 offset:132
	s_nop 0
	buffer_load_dword v9, off, s[0:3], 0 offset:136
	buffer_load_dword v10, off, s[0:3], 0 offset:140
	;; [unrolled: 1-line block ×6, first 2 shown]
	s_waitcnt vmcnt(33)
	global_store_dwordx2 v[11:12], v[51:52], off
	s_waitcnt vmcnt(32)
	global_store_dwordx2 v[13:14], v[53:54], off
	;; [unrolled: 2-line block ×4, first 2 shown]
	global_store_dwordx2 v[19:20], v[41:42], off
	global_store_dwordx2 v[21:22], v[57:58], off
	;; [unrolled: 1-line block ×3, first 2 shown]
	s_waitcnt vmcnt(23)
	global_store_dwordx2 v[27:28], v[0:1], off
	s_waitcnt vmcnt(22)
	global_store_dwordx2 v[29:30], v[7:8], off
	;; [unrolled: 2-line block ×8, first 2 shown]
.LBB19_370:
	s_endpgm
	.section	.rodata,"a",@progbits
	.p2align	6, 0x0
	.amdhsa_kernel _ZN9rocsolver6v33100L18trti2_kernel_smallILi20EdPdEEv13rocblas_fill_17rocblas_diagonal_T1_iil
		.amdhsa_group_segment_fixed_size 320
		.amdhsa_private_segment_fixed_size 176
		.amdhsa_kernarg_size 32
		.amdhsa_user_sgpr_count 6
		.amdhsa_user_sgpr_private_segment_buffer 1
		.amdhsa_user_sgpr_dispatch_ptr 0
		.amdhsa_user_sgpr_queue_ptr 0
		.amdhsa_user_sgpr_kernarg_segment_ptr 1
		.amdhsa_user_sgpr_dispatch_id 0
		.amdhsa_user_sgpr_flat_scratch_init 0
		.amdhsa_user_sgpr_private_segment_size 0
		.amdhsa_uses_dynamic_stack 0
		.amdhsa_system_sgpr_private_segment_wavefront_offset 1
		.amdhsa_system_sgpr_workgroup_id_x 1
		.amdhsa_system_sgpr_workgroup_id_y 0
		.amdhsa_system_sgpr_workgroup_id_z 0
		.amdhsa_system_sgpr_workgroup_info 0
		.amdhsa_system_vgpr_workitem_id 0
		.amdhsa_next_free_vgpr 64
		.amdhsa_next_free_sgpr 32
		.amdhsa_reserve_vcc 1
		.amdhsa_reserve_flat_scratch 0
		.amdhsa_float_round_mode_32 0
		.amdhsa_float_round_mode_16_64 0
		.amdhsa_float_denorm_mode_32 3
		.amdhsa_float_denorm_mode_16_64 3
		.amdhsa_dx10_clamp 1
		.amdhsa_ieee_mode 1
		.amdhsa_fp16_overflow 0
		.amdhsa_exception_fp_ieee_invalid_op 0
		.amdhsa_exception_fp_denorm_src 0
		.amdhsa_exception_fp_ieee_div_zero 0
		.amdhsa_exception_fp_ieee_overflow 0
		.amdhsa_exception_fp_ieee_underflow 0
		.amdhsa_exception_fp_ieee_inexact 0
		.amdhsa_exception_int_div_zero 0
	.end_amdhsa_kernel
	.section	.text._ZN9rocsolver6v33100L18trti2_kernel_smallILi20EdPdEEv13rocblas_fill_17rocblas_diagonal_T1_iil,"axG",@progbits,_ZN9rocsolver6v33100L18trti2_kernel_smallILi20EdPdEEv13rocblas_fill_17rocblas_diagonal_T1_iil,comdat
.Lfunc_end19:
	.size	_ZN9rocsolver6v33100L18trti2_kernel_smallILi20EdPdEEv13rocblas_fill_17rocblas_diagonal_T1_iil, .Lfunc_end19-_ZN9rocsolver6v33100L18trti2_kernel_smallILi20EdPdEEv13rocblas_fill_17rocblas_diagonal_T1_iil
                                        ; -- End function
	.set _ZN9rocsolver6v33100L18trti2_kernel_smallILi20EdPdEEv13rocblas_fill_17rocblas_diagonal_T1_iil.num_vgpr, 64
	.set _ZN9rocsolver6v33100L18trti2_kernel_smallILi20EdPdEEv13rocblas_fill_17rocblas_diagonal_T1_iil.num_agpr, 0
	.set _ZN9rocsolver6v33100L18trti2_kernel_smallILi20EdPdEEv13rocblas_fill_17rocblas_diagonal_T1_iil.numbered_sgpr, 32
	.set _ZN9rocsolver6v33100L18trti2_kernel_smallILi20EdPdEEv13rocblas_fill_17rocblas_diagonal_T1_iil.num_named_barrier, 0
	.set _ZN9rocsolver6v33100L18trti2_kernel_smallILi20EdPdEEv13rocblas_fill_17rocblas_diagonal_T1_iil.private_seg_size, 176
	.set _ZN9rocsolver6v33100L18trti2_kernel_smallILi20EdPdEEv13rocblas_fill_17rocblas_diagonal_T1_iil.uses_vcc, 1
	.set _ZN9rocsolver6v33100L18trti2_kernel_smallILi20EdPdEEv13rocblas_fill_17rocblas_diagonal_T1_iil.uses_flat_scratch, 0
	.set _ZN9rocsolver6v33100L18trti2_kernel_smallILi20EdPdEEv13rocblas_fill_17rocblas_diagonal_T1_iil.has_dyn_sized_stack, 0
	.set _ZN9rocsolver6v33100L18trti2_kernel_smallILi20EdPdEEv13rocblas_fill_17rocblas_diagonal_T1_iil.has_recursion, 0
	.set _ZN9rocsolver6v33100L18trti2_kernel_smallILi20EdPdEEv13rocblas_fill_17rocblas_diagonal_T1_iil.has_indirect_call, 0
	.section	.AMDGPU.csdata,"",@progbits
; Kernel info:
; codeLenInByte = 11440
; TotalNumSgprs: 36
; NumVgprs: 64
; ScratchSize: 176
; MemoryBound: 0
; FloatMode: 240
; IeeeMode: 1
; LDSByteSize: 320 bytes/workgroup (compile time only)
; SGPRBlocks: 4
; VGPRBlocks: 15
; NumSGPRsForWavesPerEU: 36
; NumVGPRsForWavesPerEU: 64
; Occupancy: 4
; WaveLimiterHint : 0
; COMPUTE_PGM_RSRC2:SCRATCH_EN: 1
; COMPUTE_PGM_RSRC2:USER_SGPR: 6
; COMPUTE_PGM_RSRC2:TRAP_HANDLER: 0
; COMPUTE_PGM_RSRC2:TGID_X_EN: 1
; COMPUTE_PGM_RSRC2:TGID_Y_EN: 0
; COMPUTE_PGM_RSRC2:TGID_Z_EN: 0
; COMPUTE_PGM_RSRC2:TIDIG_COMP_CNT: 0
	.section	.text._ZN9rocsolver6v33100L18trti2_kernel_smallILi21EdPdEEv13rocblas_fill_17rocblas_diagonal_T1_iil,"axG",@progbits,_ZN9rocsolver6v33100L18trti2_kernel_smallILi21EdPdEEv13rocblas_fill_17rocblas_diagonal_T1_iil,comdat
	.globl	_ZN9rocsolver6v33100L18trti2_kernel_smallILi21EdPdEEv13rocblas_fill_17rocblas_diagonal_T1_iil ; -- Begin function _ZN9rocsolver6v33100L18trti2_kernel_smallILi21EdPdEEv13rocblas_fill_17rocblas_diagonal_T1_iil
	.p2align	8
	.type	_ZN9rocsolver6v33100L18trti2_kernel_smallILi21EdPdEEv13rocblas_fill_17rocblas_diagonal_T1_iil,@function
_ZN9rocsolver6v33100L18trti2_kernel_smallILi21EdPdEEv13rocblas_fill_17rocblas_diagonal_T1_iil: ; @_ZN9rocsolver6v33100L18trti2_kernel_smallILi21EdPdEEv13rocblas_fill_17rocblas_diagonal_T1_iil
; %bb.0:
	s_add_u32 s0, s0, s7
	s_addc_u32 s1, s1, 0
	v_cmp_gt_u32_e32 vcc, 21, v0
	s_and_saveexec_b64 s[8:9], vcc
	s_cbranch_execz .LBB20_390
; %bb.1:
	s_load_dwordx8 s[8:15], s[4:5], 0x0
	s_ashr_i32 s7, s6, 31
	v_lshlrev_b32_e32 v45, 3, v0
	s_waitcnt lgkmcnt(0)
	s_ashr_i32 s5, s12, 31
	s_mov_b32 s4, s12
	s_mul_hi_u32 s12, s14, s6
	s_mul_i32 s7, s14, s7
	s_add_i32 s7, s12, s7
	s_mul_i32 s12, s15, s6
	s_add_i32 s7, s7, s12
	s_mul_i32 s6, s14, s6
	s_lshl_b64 s[6:7], s[6:7], 3
	s_add_u32 s6, s10, s6
	s_addc_u32 s7, s11, s7
	s_lshl_b64 s[4:5], s[4:5], 3
	s_add_u32 s4, s6, s4
	s_addc_u32 s5, s7, s5
	v_mov_b32_e32 v2, s5
	v_add_co_u32_e32 v1, vcc, s4, v45
	s_ashr_i32 s7, s13, 31
	s_mov_b32 s6, s13
	v_addc_co_u32_e32 v2, vcc, 0, v2, vcc
	s_lshl_b64 s[6:7], s[6:7], 3
	v_add_co_u32_e32 v3, vcc, s6, v1
	s_add_i32 s6, s13, s13
	v_add_u32_e32 v7, s6, v0
	v_ashrrev_i32_e32 v8, 31, v7
	v_mov_b32_e32 v4, s7
	v_lshlrev_b64 v[5:6], 3, v[7:8]
	v_addc_co_u32_e32 v4, vcc, v2, v4, vcc
	v_mov_b32_e32 v8, s5
	v_add_co_u32_e32 v5, vcc, s4, v5
	v_add_u32_e32 v7, s13, v7
	v_addc_co_u32_e32 v6, vcc, v8, v6, vcc
	v_ashrrev_i32_e32 v8, 31, v7
	v_lshlrev_b64 v[9:10], 3, v[7:8]
	v_add_u32_e32 v11, s13, v7
	v_mov_b32_e32 v8, s5
	v_add_co_u32_e32 v9, vcc, s4, v9
	v_ashrrev_i32_e32 v12, 31, v11
	v_addc_co_u32_e32 v10, vcc, v8, v10, vcc
	v_lshlrev_b64 v[7:8], 3, v[11:12]
	v_mov_b32_e32 v12, s5
	v_add_co_u32_e32 v7, vcc, s4, v7
	v_add_u32_e32 v11, s13, v11
	v_addc_co_u32_e32 v8, vcc, v12, v8, vcc
	v_ashrrev_i32_e32 v12, 31, v11
	v_lshlrev_b64 v[13:14], 3, v[11:12]
	v_add_u32_e32 v15, s13, v11
	v_mov_b32_e32 v12, s5
	v_add_co_u32_e32 v13, vcc, s4, v13
	v_ashrrev_i32_e32 v16, 31, v15
	v_addc_co_u32_e32 v14, vcc, v12, v14, vcc
	v_lshlrev_b64 v[11:12], 3, v[15:16]
	v_add_u32_e32 v17, s13, v15
	v_mov_b32_e32 v16, s5
	v_add_co_u32_e32 v11, vcc, s4, v11
	v_ashrrev_i32_e32 v18, 31, v17
	v_addc_co_u32_e32 v12, vcc, v16, v12, vcc
	;; [unrolled: 6-line block ×3, first 2 shown]
	v_lshlrev_b64 v[17:18], 3, v[19:20]
	global_load_dwordx2 v[25:26], v45, s[4:5]
	global_load_dwordx2 v[27:28], v[3:4], off
	global_load_dwordx2 v[29:30], v[5:6], off
	;; [unrolled: 1-line block ×4, first 2 shown]
	v_mov_b32_e32 v20, s5
	v_add_co_u32_e32 v17, vcc, s4, v17
	v_addc_co_u32_e32 v18, vcc, v20, v18, vcc
	global_load_dwordx2 v[35:36], v[13:14], off
	global_load_dwordx2 v[37:38], v[11:12], off
	;; [unrolled: 1-line block ×4, first 2 shown]
	v_add_u32_e32 v21, s13, v19
	v_ashrrev_i32_e32 v22, 31, v21
	v_lshlrev_b64 v[19:20], 3, v[21:22]
	v_add_u32_e32 v23, s13, v21
	v_mov_b32_e32 v22, s5
	v_add_co_u32_e32 v19, vcc, s4, v19
	v_ashrrev_i32_e32 v24, 31, v23
	v_addc_co_u32_e32 v20, vcc, v22, v20, vcc
	v_lshlrev_b64 v[21:22], 3, v[23:24]
	v_mov_b32_e32 v24, s5
	v_add_co_u32_e32 v21, vcc, s4, v21
	v_addc_co_u32_e32 v22, vcc, v24, v22, vcc
	global_load_dwordx2 v[43:44], v[19:20], off
	global_load_dwordx2 v[46:47], v[21:22], off
	v_add_u32_e32 v48, s13, v23
	v_ashrrev_i32_e32 v49, 31, v48
	v_lshlrev_b64 v[23:24], 3, v[48:49]
	v_mov_b32_e32 v49, s5
	v_add_co_u32_e32 v23, vcc, s4, v23
	v_addc_co_u32_e32 v24, vcc, v49, v24, vcc
	global_load_dwordx2 v[49:50], v[23:24], off
	s_cmpk_lg_i32 s9, 0x84
	s_cselect_b64 s[10:11], -1, 0
	s_waitcnt vmcnt(11)
	buffer_store_dword v26, off, s[0:3], 0 offset:4
	buffer_store_dword v25, off, s[0:3], 0
	s_waitcnt vmcnt(12)
	buffer_store_dword v28, off, s[0:3], 0 offset:12
	buffer_store_dword v27, off, s[0:3], 0 offset:8
	s_waitcnt vmcnt(13)
	buffer_store_dword v30, off, s[0:3], 0 offset:20
	buffer_store_dword v29, off, s[0:3], 0 offset:16
	;; [unrolled: 3-line block ×6, first 2 shown]
	s_waitcnt vmcnt(18)
	buffer_store_dword v40, off, s[0:3], 0 offset:60
	v_add_u32_e32 v27, s13, v48
	v_ashrrev_i32_e32 v28, 31, v27
	v_lshlrev_b64 v[25:26], 3, v[27:28]
	v_mov_b32_e32 v28, s5
	v_add_co_u32_e32 v25, vcc, s4, v25
	v_addc_co_u32_e32 v26, vcc, v28, v26, vcc
	global_load_dwordx2 v[51:52], v[25:26], off
	v_add_u32_e32 v29, s13, v27
	v_ashrrev_i32_e32 v30, 31, v29
	v_lshlrev_b64 v[27:28], 3, v[29:30]
	v_add_u32_e32 v31, s13, v29
	v_mov_b32_e32 v30, s5
	v_add_co_u32_e32 v27, vcc, s4, v27
	v_ashrrev_i32_e32 v32, 31, v31
	v_addc_co_u32_e32 v28, vcc, v30, v28, vcc
	v_lshlrev_b64 v[29:30], 3, v[31:32]
	v_add_u32_e32 v33, s13, v31
	v_mov_b32_e32 v32, s5
	v_add_co_u32_e32 v29, vcc, s4, v29
	v_ashrrev_i32_e32 v34, 31, v33
	v_addc_co_u32_e32 v30, vcc, v32, v30, vcc
	;; [unrolled: 6-line block ×4, first 2 shown]
	v_lshlrev_b64 v[35:36], 3, v[37:38]
	buffer_store_dword v39, off, s[0:3], 0 offset:56
	s_waitcnt vmcnt(20)
	buffer_store_dword v42, off, s[0:3], 0 offset:68
	buffer_store_dword v41, off, s[0:3], 0 offset:64
	s_waitcnt vmcnt(21)
	buffer_store_dword v43, off, s[0:3], 0 offset:72
	;; [unrolled: 3-line block ×4, first 2 shown]
	buffer_store_dword v50, off, s[0:3], 0 offset:92
	v_add_u32_e32 v39, s13, v37
	v_mov_b32_e32 v38, s5
	v_add_co_u32_e32 v35, vcc, s4, v35
	v_ashrrev_i32_e32 v40, 31, v39
	v_addc_co_u32_e32 v36, vcc, v38, v36, vcc
	v_lshlrev_b64 v[37:38], 3, v[39:40]
	v_add_u32_e32 v41, s13, v39
	v_mov_b32_e32 v40, s5
	v_add_co_u32_e32 v37, vcc, s4, v37
	v_ashrrev_i32_e32 v42, 31, v41
	v_addc_co_u32_e32 v38, vcc, v40, v38, vcc
	v_lshlrev_b64 v[39:40], 3, v[41:42]
	v_mov_b32_e32 v42, s5
	v_add_co_u32_e32 v39, vcc, s4, v39
	v_add_u32_e32 v41, s13, v41
	v_addc_co_u32_e32 v40, vcc, v42, v40, vcc
	v_ashrrev_i32_e32 v42, 31, v41
	v_lshlrev_b64 v[41:42], 3, v[41:42]
	global_load_dwordx2 v[43:44], v[27:28], off
	global_load_dwordx2 v[46:47], v[29:30], off
	global_load_dwordx2 v[48:49], v[31:32], off
	global_load_dwordx2 v[53:54], v[33:34], off
	v_mov_b32_e32 v50, s5
	v_add_co_u32_e32 v41, vcc, s4, v41
	v_addc_co_u32_e32 v42, vcc, v50, v42, vcc
	global_load_dwordx2 v[55:56], v[35:36], off
	global_load_dwordx2 v[57:58], v[37:38], off
	;; [unrolled: 1-line block ×3, first 2 shown]
	s_cmpk_eq_i32 s9, 0x84
	s_waitcnt vmcnt(16)
	buffer_store_dword v51, off, s[0:3], 0 offset:96
	global_load_dwordx2 v[50:51], v[39:40], off
	s_nop 0
	buffer_store_dword v52, off, s[0:3], 0 offset:100
	s_waitcnt vmcnt(9)
	buffer_store_dword v43, off, s[0:3], 0 offset:104
	buffer_store_dword v44, off, s[0:3], 0 offset:108
	s_waitcnt vmcnt(10)
	buffer_store_dword v47, off, s[0:3], 0 offset:116
	buffer_store_dword v46, off, s[0:3], 0 offset:112
	s_waitcnt vmcnt(11)
	buffer_store_dword v48, off, s[0:3], 0 offset:120
	buffer_store_dword v49, off, s[0:3], 0 offset:124
	s_waitcnt vmcnt(12)
	buffer_store_dword v53, off, s[0:3], 0 offset:128
	buffer_store_dword v54, off, s[0:3], 0 offset:132
	s_waitcnt vmcnt(13)
	buffer_store_dword v55, off, s[0:3], 0 offset:136
	buffer_store_dword v56, off, s[0:3], 0 offset:140
	s_waitcnt vmcnt(14)
	buffer_store_dword v57, off, s[0:3], 0 offset:144
	buffer_store_dword v58, off, s[0:3], 0 offset:148
	s_waitcnt vmcnt(13)
	buffer_store_dword v51, off, s[0:3], 0 offset:156
	buffer_store_dword v50, off, s[0:3], 0 offset:152
	buffer_store_dword v60, off, s[0:3], 0 offset:164
	v_mov_b32_e32 v43, 0
	v_mov_b32_e32 v44, 0xbff00000
	buffer_store_dword v59, off, s[0:3], 0 offset:160
	s_cbranch_scc1 .LBB20_3
; %bb.2:
	v_mov_b32_e32 v43, 0
	v_lshl_add_u32 v54, v0, 3, v43
	buffer_load_dword v43, v54, s[0:3], 0 offen
	buffer_load_dword v44, v54, s[0:3], 0 offen offset:4
	s_waitcnt vmcnt(0)
	v_div_scale_f64 v[46:47], s[4:5], v[43:44], v[43:44], 1.0
	v_rcp_f64_e32 v[48:49], v[46:47]
	v_fma_f64 v[50:51], -v[46:47], v[48:49], 1.0
	v_fma_f64 v[48:49], v[48:49], v[50:51], v[48:49]
	v_div_scale_f64 v[50:51], vcc, 1.0, v[43:44], 1.0
	v_fma_f64 v[52:53], -v[46:47], v[48:49], 1.0
	v_fma_f64 v[48:49], v[48:49], v[52:53], v[48:49]
	v_mul_f64 v[52:53], v[50:51], v[48:49]
	v_fma_f64 v[46:47], -v[46:47], v[52:53], v[50:51]
	v_div_fmas_f64 v[46:47], v[46:47], v[48:49], v[52:53]
	v_div_fixup_f64 v[43:44], v[46:47], v[43:44], 1.0
	buffer_store_dword v43, v54, s[0:3], 0 offen
	buffer_store_dword v44, v54, s[0:3], 0 offen offset:4
	v_xor_b32_e32 v44, 0x80000000, v44
.LBB20_3:
	s_cmpk_eq_i32 s8, 0x79
	v_add_u32_e32 v46, 0xb0, v45
	v_mov_b32_e32 v47, v45
	s_mov_b64 s[4:5], -1
	ds_write_b64 v45, v[43:44]
	s_cbranch_scc1 .LBB20_197
; %bb.4:
	buffer_load_dword v43, off, s[0:3], 0 offset:152
	buffer_load_dword v44, off, s[0:3], 0 offset:156
	s_movk_i32 s12, 0x48
	s_movk_i32 s13, 0x50
	;; [unrolled: 1-line block ×10, first 2 shown]
	v_cmp_eq_u32_e64 s[4:5], 20, v0
	s_waitcnt vmcnt(0)
	ds_write_b64 v46, v[43:44]
	s_waitcnt lgkmcnt(0)
	; wave barrier
	s_and_saveexec_b64 s[6:7], s[4:5]
	s_cbranch_execz .LBB20_10
; %bb.5:
	s_and_b64 vcc, exec, s[10:11]
	s_cbranch_vccz .LBB20_7
; %bb.6:
	buffer_load_dword v43, v47, s[0:3], 0 offen
	buffer_load_dword v44, v47, s[0:3], 0 offen offset:4
	ds_read_b64 v[48:49], v46
	s_waitcnt vmcnt(0) lgkmcnt(0)
	v_mul_f64 v[43:44], v[43:44], v[48:49]
	s_cbranch_execz .LBB20_8
	s_branch .LBB20_9
.LBB20_7:
                                        ; implicit-def: $vgpr43_vgpr44
.LBB20_8:
	ds_read_b64 v[43:44], v46
.LBB20_9:
	v_mov_b32_e32 v48, 0
	ds_read_b64 v[48:49], v48 offset:152
	s_waitcnt lgkmcnt(0)
	v_mul_f64 v[43:44], v[43:44], v[48:49]
	buffer_store_dword v44, off, s[0:3], 0 offset:156
	buffer_store_dword v43, off, s[0:3], 0 offset:152
.LBB20_10:
	s_or_b64 exec, exec, s[6:7]
	buffer_load_dword v43, off, s[0:3], 0 offset:144
	buffer_load_dword v44, off, s[0:3], 0 offset:148
	s_or_b32 s14, 0, 8
	s_mov_b32 s15, 16
	s_mov_b32 s16, 24
	;; [unrolled: 1-line block ×9, first 2 shown]
	v_cmp_lt_u32_e64 s[6:7], 18, v0
	s_waitcnt vmcnt(0)
	ds_write_b64 v46, v[43:44]
	s_waitcnt lgkmcnt(0)
	; wave barrier
	s_and_saveexec_b64 s[8:9], s[6:7]
	s_cbranch_execz .LBB20_16
; %bb.11:
	s_andn2_b64 vcc, exec, s[10:11]
	s_cbranch_vccnz .LBB20_13
; %bb.12:
	buffer_load_dword v43, v47, s[0:3], 0 offen
	buffer_load_dword v44, v47, s[0:3], 0 offen offset:4
	ds_read_b64 v[48:49], v46
	s_waitcnt vmcnt(0) lgkmcnt(0)
	v_mul_f64 v[43:44], v[43:44], v[48:49]
	s_cbranch_execz .LBB20_14
	s_branch .LBB20_15
.LBB20_13:
                                        ; implicit-def: $vgpr43_vgpr44
.LBB20_14:
	ds_read_b64 v[43:44], v46
.LBB20_15:
	buffer_load_dword v52, off, s[0:3], 0 offset:152
	buffer_load_dword v53, off, s[0:3], 0 offset:156
	v_mov_b32_e32 v48, 0
	ds_read2_b64 v[48:51], v48 offset0:18 offset1:41
	s_waitcnt vmcnt(0) lgkmcnt(0)
	v_fma_f64 v[50:51], v[52:53], v[50:51], v[43:44]
	v_cndmask_b32_e64 v44, v44, v51, s[4:5]
	v_cndmask_b32_e64 v43, v43, v50, s[4:5]
	v_mul_f64 v[43:44], v[43:44], v[48:49]
	buffer_store_dword v44, off, s[0:3], 0 offset:148
	buffer_store_dword v43, off, s[0:3], 0 offset:144
.LBB20_16:
	s_or_b64 exec, exec, s[8:9]
	buffer_load_dword v43, off, s[0:3], 0 offset:136
	buffer_load_dword v44, off, s[0:3], 0 offset:140
	v_cmp_lt_u32_e64 s[4:5], 17, v0
	s_waitcnt vmcnt(0)
	ds_write_b64 v46, v[43:44]
	s_waitcnt lgkmcnt(0)
	; wave barrier
	s_and_saveexec_b64 s[8:9], s[4:5]
	s_cbranch_execz .LBB20_26
; %bb.17:
	s_andn2_b64 vcc, exec, s[10:11]
	s_cbranch_vccnz .LBB20_19
; %bb.18:
	buffer_load_dword v43, v47, s[0:3], 0 offen
	buffer_load_dword v44, v47, s[0:3], 0 offen offset:4
	ds_read_b64 v[48:49], v46
	s_waitcnt vmcnt(0) lgkmcnt(0)
	v_mul_f64 v[43:44], v[43:44], v[48:49]
	s_cbranch_execz .LBB20_20
	s_branch .LBB20_21
.LBB20_19:
                                        ; implicit-def: $vgpr43_vgpr44
.LBB20_20:
	ds_read_b64 v[43:44], v46
.LBB20_21:
	s_and_saveexec_b64 s[12:13], s[6:7]
	s_cbranch_execz .LBB20_25
; %bb.22:
	v_subrev_u32_e32 v48, 18, v0
	s_movk_i32 s33, 0x140
	s_mov_b64 s[6:7], 0
.LBB20_23:                              ; =>This Inner Loop Header: Depth=1
	v_mov_b32_e32 v51, s31
	buffer_load_dword v49, v51, s[0:3], 0 offen
	buffer_load_dword v50, v51, s[0:3], 0 offen offset:4
	v_mov_b32_e32 v51, s33
	ds_read_b64 v[51:52], v51
	v_add_u32_e32 v48, -1, v48
	s_add_i32 s33, s33, 8
	s_add_i32 s31, s31, 8
	v_cmp_eq_u32_e32 vcc, 0, v48
	s_or_b64 s[6:7], vcc, s[6:7]
	s_waitcnt vmcnt(0) lgkmcnt(0)
	v_fma_f64 v[43:44], v[49:50], v[51:52], v[43:44]
	s_andn2_b64 exec, exec, s[6:7]
	s_cbranch_execnz .LBB20_23
; %bb.24:
	s_or_b64 exec, exec, s[6:7]
.LBB20_25:
	s_or_b64 exec, exec, s[12:13]
	v_mov_b32_e32 v48, 0
	ds_read_b64 v[48:49], v48 offset:136
	s_waitcnt lgkmcnt(0)
	v_mul_f64 v[43:44], v[43:44], v[48:49]
	buffer_store_dword v44, off, s[0:3], 0 offset:140
	buffer_store_dword v43, off, s[0:3], 0 offset:136
.LBB20_26:
	s_or_b64 exec, exec, s[8:9]
	buffer_load_dword v43, off, s[0:3], 0 offset:128
	buffer_load_dword v44, off, s[0:3], 0 offset:132
	v_cmp_lt_u32_e64 s[6:7], 16, v0
	s_waitcnt vmcnt(0)
	ds_write_b64 v46, v[43:44]
	s_waitcnt lgkmcnt(0)
	; wave barrier
	s_and_saveexec_b64 s[8:9], s[6:7]
	s_cbranch_execz .LBB20_36
; %bb.27:
	s_andn2_b64 vcc, exec, s[10:11]
	s_cbranch_vccnz .LBB20_29
; %bb.28:
	buffer_load_dword v43, v47, s[0:3], 0 offen
	buffer_load_dword v44, v47, s[0:3], 0 offen offset:4
	ds_read_b64 v[48:49], v46
	s_waitcnt vmcnt(0) lgkmcnt(0)
	v_mul_f64 v[43:44], v[43:44], v[48:49]
	s_cbranch_execz .LBB20_30
	s_branch .LBB20_31
.LBB20_29:
                                        ; implicit-def: $vgpr43_vgpr44
.LBB20_30:
	ds_read_b64 v[43:44], v46
.LBB20_31:
	s_and_saveexec_b64 s[12:13], s[4:5]
	s_cbranch_execz .LBB20_35
; %bb.32:
	v_subrev_u32_e32 v48, 17, v0
	s_movk_i32 s31, 0x138
	s_mov_b64 s[4:5], 0
.LBB20_33:                              ; =>This Inner Loop Header: Depth=1
	v_mov_b32_e32 v51, s30
	buffer_load_dword v49, v51, s[0:3], 0 offen
	buffer_load_dword v50, v51, s[0:3], 0 offen offset:4
	v_mov_b32_e32 v51, s31
	ds_read_b64 v[51:52], v51
	v_add_u32_e32 v48, -1, v48
	s_add_i32 s31, s31, 8
	s_add_i32 s30, s30, 8
	v_cmp_eq_u32_e32 vcc, 0, v48
	s_or_b64 s[4:5], vcc, s[4:5]
	s_waitcnt vmcnt(0) lgkmcnt(0)
	v_fma_f64 v[43:44], v[49:50], v[51:52], v[43:44]
	s_andn2_b64 exec, exec, s[4:5]
	s_cbranch_execnz .LBB20_33
; %bb.34:
	s_or_b64 exec, exec, s[4:5]
.LBB20_35:
	s_or_b64 exec, exec, s[12:13]
	v_mov_b32_e32 v48, 0
	ds_read_b64 v[48:49], v48 offset:128
	s_waitcnt lgkmcnt(0)
	v_mul_f64 v[43:44], v[43:44], v[48:49]
	buffer_store_dword v44, off, s[0:3], 0 offset:132
	buffer_store_dword v43, off, s[0:3], 0 offset:128
.LBB20_36:
	s_or_b64 exec, exec, s[8:9]
	buffer_load_dword v43, off, s[0:3], 0 offset:120
	buffer_load_dword v44, off, s[0:3], 0 offset:124
	v_cmp_lt_u32_e64 s[4:5], 15, v0
	s_waitcnt vmcnt(0)
	ds_write_b64 v46, v[43:44]
	s_waitcnt lgkmcnt(0)
	; wave barrier
	s_and_saveexec_b64 s[8:9], s[4:5]
	s_cbranch_execz .LBB20_46
; %bb.37:
	s_andn2_b64 vcc, exec, s[10:11]
	s_cbranch_vccnz .LBB20_39
; %bb.38:
	buffer_load_dword v43, v47, s[0:3], 0 offen
	buffer_load_dword v44, v47, s[0:3], 0 offen offset:4
	ds_read_b64 v[48:49], v46
	s_waitcnt vmcnt(0) lgkmcnt(0)
	v_mul_f64 v[43:44], v[43:44], v[48:49]
	s_cbranch_execz .LBB20_40
	s_branch .LBB20_41
.LBB20_39:
                                        ; implicit-def: $vgpr43_vgpr44
.LBB20_40:
	ds_read_b64 v[43:44], v46
.LBB20_41:
	s_and_saveexec_b64 s[12:13], s[6:7]
	s_cbranch_execz .LBB20_45
; %bb.42:
	v_add_u32_e32 v48, -16, v0
	s_movk_i32 s30, 0x130
	s_mov_b64 s[6:7], 0
.LBB20_43:                              ; =>This Inner Loop Header: Depth=1
	v_mov_b32_e32 v51, s29
	buffer_load_dword v49, v51, s[0:3], 0 offen
	buffer_load_dword v50, v51, s[0:3], 0 offen offset:4
	v_mov_b32_e32 v51, s30
	ds_read_b64 v[51:52], v51
	v_add_u32_e32 v48, -1, v48
	s_add_i32 s30, s30, 8
	s_add_i32 s29, s29, 8
	v_cmp_eq_u32_e32 vcc, 0, v48
	s_or_b64 s[6:7], vcc, s[6:7]
	s_waitcnt vmcnt(0) lgkmcnt(0)
	v_fma_f64 v[43:44], v[49:50], v[51:52], v[43:44]
	s_andn2_b64 exec, exec, s[6:7]
	s_cbranch_execnz .LBB20_43
; %bb.44:
	s_or_b64 exec, exec, s[6:7]
.LBB20_45:
	s_or_b64 exec, exec, s[12:13]
	v_mov_b32_e32 v48, 0
	ds_read_b64 v[48:49], v48 offset:120
	s_waitcnt lgkmcnt(0)
	v_mul_f64 v[43:44], v[43:44], v[48:49]
	buffer_store_dword v44, off, s[0:3], 0 offset:124
	buffer_store_dword v43, off, s[0:3], 0 offset:120
.LBB20_46:
	s_or_b64 exec, exec, s[8:9]
	buffer_load_dword v43, off, s[0:3], 0 offset:112
	buffer_load_dword v44, off, s[0:3], 0 offset:116
	v_cmp_lt_u32_e64 s[6:7], 14, v0
	s_waitcnt vmcnt(0)
	ds_write_b64 v46, v[43:44]
	s_waitcnt lgkmcnt(0)
	; wave barrier
	s_and_saveexec_b64 s[8:9], s[6:7]
	s_cbranch_execz .LBB20_56
; %bb.47:
	s_andn2_b64 vcc, exec, s[10:11]
	s_cbranch_vccnz .LBB20_49
; %bb.48:
	buffer_load_dword v43, v47, s[0:3], 0 offen
	buffer_load_dword v44, v47, s[0:3], 0 offen offset:4
	ds_read_b64 v[48:49], v46
	s_waitcnt vmcnt(0) lgkmcnt(0)
	v_mul_f64 v[43:44], v[43:44], v[48:49]
	s_cbranch_execz .LBB20_50
	s_branch .LBB20_51
.LBB20_49:
                                        ; implicit-def: $vgpr43_vgpr44
.LBB20_50:
	ds_read_b64 v[43:44], v46
.LBB20_51:
	s_and_saveexec_b64 s[12:13], s[4:5]
	s_cbranch_execz .LBB20_55
; %bb.52:
	v_add_u32_e32 v48, -15, v0
	s_movk_i32 s29, 0x128
	s_mov_b64 s[4:5], 0
.LBB20_53:                              ; =>This Inner Loop Header: Depth=1
	v_mov_b32_e32 v51, s28
	buffer_load_dword v49, v51, s[0:3], 0 offen
	buffer_load_dword v50, v51, s[0:3], 0 offen offset:4
	v_mov_b32_e32 v51, s29
	ds_read_b64 v[51:52], v51
	v_add_u32_e32 v48, -1, v48
	s_add_i32 s29, s29, 8
	s_add_i32 s28, s28, 8
	v_cmp_eq_u32_e32 vcc, 0, v48
	s_or_b64 s[4:5], vcc, s[4:5]
	s_waitcnt vmcnt(0) lgkmcnt(0)
	v_fma_f64 v[43:44], v[49:50], v[51:52], v[43:44]
	s_andn2_b64 exec, exec, s[4:5]
	s_cbranch_execnz .LBB20_53
; %bb.54:
	s_or_b64 exec, exec, s[4:5]
.LBB20_55:
	s_or_b64 exec, exec, s[12:13]
	v_mov_b32_e32 v48, 0
	ds_read_b64 v[48:49], v48 offset:112
	s_waitcnt lgkmcnt(0)
	v_mul_f64 v[43:44], v[43:44], v[48:49]
	buffer_store_dword v44, off, s[0:3], 0 offset:116
	buffer_store_dword v43, off, s[0:3], 0 offset:112
.LBB20_56:
	;; [unrolled: 58-line block ×6, first 2 shown]
	s_or_b64 exec, exec, s[8:9]
	buffer_load_dword v43, off, s[0:3], 0 offset:72
	buffer_load_dword v44, off, s[0:3], 0 offset:76
	v_cmp_lt_u32_e64 s[4:5], 9, v0
	s_waitcnt vmcnt(0)
	ds_write_b64 v46, v[43:44]
	s_waitcnt lgkmcnt(0)
	; wave barrier
	s_and_saveexec_b64 s[8:9], s[4:5]
	s_cbranch_execz .LBB20_106
; %bb.97:
	s_andn2_b64 vcc, exec, s[10:11]
	s_cbranch_vccnz .LBB20_99
; %bb.98:
	buffer_load_dword v43, v47, s[0:3], 0 offen
	buffer_load_dword v44, v47, s[0:3], 0 offen offset:4
	ds_read_b64 v[48:49], v46
	s_waitcnt vmcnt(0) lgkmcnt(0)
	v_mul_f64 v[43:44], v[43:44], v[48:49]
	s_cbranch_execz .LBB20_100
	s_branch .LBB20_101
.LBB20_99:
                                        ; implicit-def: $vgpr43_vgpr44
.LBB20_100:
	ds_read_b64 v[43:44], v46
.LBB20_101:
	s_and_saveexec_b64 s[12:13], s[6:7]
	s_cbranch_execz .LBB20_105
; %bb.102:
	v_add_u32_e32 v48, -10, v0
	s_movk_i32 s24, 0x100
	s_mov_b64 s[6:7], 0
.LBB20_103:                             ; =>This Inner Loop Header: Depth=1
	v_mov_b32_e32 v51, s23
	buffer_load_dword v49, v51, s[0:3], 0 offen
	buffer_load_dword v50, v51, s[0:3], 0 offen offset:4
	v_mov_b32_e32 v51, s24
	ds_read_b64 v[51:52], v51
	v_add_u32_e32 v48, -1, v48
	s_add_i32 s24, s24, 8
	s_add_i32 s23, s23, 8
	v_cmp_eq_u32_e32 vcc, 0, v48
	s_or_b64 s[6:7], vcc, s[6:7]
	s_waitcnt vmcnt(0) lgkmcnt(0)
	v_fma_f64 v[43:44], v[49:50], v[51:52], v[43:44]
	s_andn2_b64 exec, exec, s[6:7]
	s_cbranch_execnz .LBB20_103
; %bb.104:
	s_or_b64 exec, exec, s[6:7]
.LBB20_105:
	s_or_b64 exec, exec, s[12:13]
	v_mov_b32_e32 v48, 0
	ds_read_b64 v[48:49], v48 offset:72
	s_waitcnt lgkmcnt(0)
	v_mul_f64 v[43:44], v[43:44], v[48:49]
	buffer_store_dword v44, off, s[0:3], 0 offset:76
	buffer_store_dword v43, off, s[0:3], 0 offset:72
.LBB20_106:
	s_or_b64 exec, exec, s[8:9]
	buffer_load_dword v43, off, s[0:3], 0 offset:64
	buffer_load_dword v44, off, s[0:3], 0 offset:68
	v_cmp_lt_u32_e64 s[6:7], 8, v0
	s_waitcnt vmcnt(0)
	ds_write_b64 v46, v[43:44]
	s_waitcnt lgkmcnt(0)
	; wave barrier
	s_and_saveexec_b64 s[8:9], s[6:7]
	s_cbranch_execz .LBB20_116
; %bb.107:
	s_andn2_b64 vcc, exec, s[10:11]
	s_cbranch_vccnz .LBB20_109
; %bb.108:
	buffer_load_dword v43, v47, s[0:3], 0 offen
	buffer_load_dword v44, v47, s[0:3], 0 offen offset:4
	ds_read_b64 v[48:49], v46
	s_waitcnt vmcnt(0) lgkmcnt(0)
	v_mul_f64 v[43:44], v[43:44], v[48:49]
	s_cbranch_execz .LBB20_110
	s_branch .LBB20_111
.LBB20_109:
                                        ; implicit-def: $vgpr43_vgpr44
.LBB20_110:
	ds_read_b64 v[43:44], v46
.LBB20_111:
	s_and_saveexec_b64 s[12:13], s[4:5]
	s_cbranch_execz .LBB20_115
; %bb.112:
	v_add_u32_e32 v48, -9, v0
	s_movk_i32 s23, 0xf8
	s_mov_b64 s[4:5], 0
.LBB20_113:                             ; =>This Inner Loop Header: Depth=1
	v_mov_b32_e32 v51, s22
	buffer_load_dword v49, v51, s[0:3], 0 offen
	buffer_load_dword v50, v51, s[0:3], 0 offen offset:4
	v_mov_b32_e32 v51, s23
	ds_read_b64 v[51:52], v51
	v_add_u32_e32 v48, -1, v48
	s_add_i32 s23, s23, 8
	s_add_i32 s22, s22, 8
	v_cmp_eq_u32_e32 vcc, 0, v48
	s_or_b64 s[4:5], vcc, s[4:5]
	s_waitcnt vmcnt(0) lgkmcnt(0)
	v_fma_f64 v[43:44], v[49:50], v[51:52], v[43:44]
	s_andn2_b64 exec, exec, s[4:5]
	s_cbranch_execnz .LBB20_113
; %bb.114:
	s_or_b64 exec, exec, s[4:5]
.LBB20_115:
	s_or_b64 exec, exec, s[12:13]
	v_mov_b32_e32 v48, 0
	ds_read_b64 v[48:49], v48 offset:64
	s_waitcnt lgkmcnt(0)
	v_mul_f64 v[43:44], v[43:44], v[48:49]
	buffer_store_dword v44, off, s[0:3], 0 offset:68
	buffer_store_dword v43, off, s[0:3], 0 offset:64
.LBB20_116:
	;; [unrolled: 58-line block ×9, first 2 shown]
	s_or_b64 exec, exec, s[8:9]
	buffer_load_dword v43, off, s[0:3], 0
	buffer_load_dword v44, off, s[0:3], 0 offset:4
	v_cmp_ne_u32_e32 vcc, 0, v0
	s_waitcnt vmcnt(0)
	ds_write_b64 v46, v[43:44]
	s_waitcnt lgkmcnt(0)
	; wave barrier
	s_and_saveexec_b64 s[6:7], vcc
	s_cbranch_execz .LBB20_196
; %bb.187:
	s_andn2_b64 vcc, exec, s[10:11]
	s_cbranch_vccnz .LBB20_189
; %bb.188:
	buffer_load_dword v43, v47, s[0:3], 0 offen
	buffer_load_dword v44, v47, s[0:3], 0 offen offset:4
	ds_read_b64 v[48:49], v46
	s_waitcnt vmcnt(0) lgkmcnt(0)
	v_mul_f64 v[43:44], v[43:44], v[48:49]
	s_cbranch_execz .LBB20_190
	s_branch .LBB20_191
.LBB20_189:
                                        ; implicit-def: $vgpr43_vgpr44
.LBB20_190:
	ds_read_b64 v[43:44], v46
.LBB20_191:
	s_and_saveexec_b64 s[8:9], s[4:5]
	s_cbranch_execz .LBB20_195
; %bb.192:
	v_add_u32_e32 v48, -1, v0
	s_movk_i32 s12, 0xb8
	s_mov_b64 s[4:5], 0
.LBB20_193:                             ; =>This Inner Loop Header: Depth=1
	v_mov_b32_e32 v51, s14
	buffer_load_dword v49, v51, s[0:3], 0 offen
	buffer_load_dword v50, v51, s[0:3], 0 offen offset:4
	v_mov_b32_e32 v51, s12
	ds_read_b64 v[51:52], v51
	v_add_u32_e32 v48, -1, v48
	s_add_i32 s12, s12, 8
	s_add_i32 s14, s14, 8
	v_cmp_eq_u32_e32 vcc, 0, v48
	s_or_b64 s[4:5], vcc, s[4:5]
	s_waitcnt vmcnt(0) lgkmcnt(0)
	v_fma_f64 v[43:44], v[49:50], v[51:52], v[43:44]
	s_andn2_b64 exec, exec, s[4:5]
	s_cbranch_execnz .LBB20_193
; %bb.194:
	s_or_b64 exec, exec, s[4:5]
.LBB20_195:
	s_or_b64 exec, exec, s[8:9]
	v_mov_b32_e32 v48, 0
	ds_read_b64 v[48:49], v48
	s_waitcnt lgkmcnt(0)
	v_mul_f64 v[43:44], v[43:44], v[48:49]
	buffer_store_dword v44, off, s[0:3], 0 offset:4
	buffer_store_dword v43, off, s[0:3], 0
.LBB20_196:
	s_or_b64 exec, exec, s[6:7]
	s_mov_b64 s[4:5], 0
.LBB20_197:
	s_and_b64 vcc, exec, s[4:5]
	s_cbranch_vccz .LBB20_389
; %bb.198:
	buffer_load_dword v43, off, s[0:3], 0 offset:8
	buffer_load_dword v44, off, s[0:3], 0 offset:12
	v_cmp_eq_u32_e64 s[6:7], 0, v0
	s_waitcnt vmcnt(0)
	ds_write_b64 v46, v[43:44]
	s_waitcnt lgkmcnt(0)
	; wave barrier
	s_and_saveexec_b64 s[4:5], s[6:7]
	s_cbranch_execz .LBB20_204
; %bb.199:
	s_and_b64 vcc, exec, s[10:11]
	s_cbranch_vccz .LBB20_201
; %bb.200:
	buffer_load_dword v43, v47, s[0:3], 0 offen
	buffer_load_dword v44, v47, s[0:3], 0 offen offset:4
	ds_read_b64 v[48:49], v46
	s_waitcnt vmcnt(0) lgkmcnt(0)
	v_mul_f64 v[43:44], v[43:44], v[48:49]
	s_cbranch_execz .LBB20_202
	s_branch .LBB20_203
.LBB20_201:
                                        ; implicit-def: $vgpr43_vgpr44
.LBB20_202:
	ds_read_b64 v[43:44], v46
.LBB20_203:
	v_mov_b32_e32 v48, 0
	ds_read_b64 v[48:49], v48 offset:8
	s_waitcnt lgkmcnt(0)
	v_mul_f64 v[43:44], v[43:44], v[48:49]
	buffer_store_dword v44, off, s[0:3], 0 offset:12
	buffer_store_dword v43, off, s[0:3], 0 offset:8
.LBB20_204:
	s_or_b64 exec, exec, s[4:5]
	buffer_load_dword v43, off, s[0:3], 0 offset:16
	buffer_load_dword v44, off, s[0:3], 0 offset:20
	v_cndmask_b32_e64 v48, 0, 1, s[10:11]
	v_cmp_gt_u32_e32 vcc, 2, v0
	v_cmp_ne_u32_e64 s[4:5], 1, v48
	s_waitcnt vmcnt(0)
	ds_write_b64 v46, v[43:44]
	s_waitcnt lgkmcnt(0)
	; wave barrier
	s_and_saveexec_b64 s[8:9], vcc
	s_cbranch_execz .LBB20_210
; %bb.205:
	s_and_b64 vcc, exec, s[4:5]
	s_cbranch_vccnz .LBB20_207
; %bb.206:
	buffer_load_dword v43, v47, s[0:3], 0 offen
	buffer_load_dword v44, v47, s[0:3], 0 offen offset:4
	ds_read_b64 v[48:49], v46
	s_waitcnt vmcnt(0) lgkmcnt(0)
	v_mul_f64 v[43:44], v[43:44], v[48:49]
	s_cbranch_execz .LBB20_208
	s_branch .LBB20_209
.LBB20_207:
                                        ; implicit-def: $vgpr43_vgpr44
.LBB20_208:
	ds_read_b64 v[43:44], v46
.LBB20_209:
	buffer_load_dword v52, off, s[0:3], 0 offset:8
	buffer_load_dword v53, off, s[0:3], 0 offset:12
	v_mov_b32_e32 v48, 0
	ds_read2_b64 v[48:51], v48 offset0:2 offset1:23
	s_waitcnt vmcnt(0) lgkmcnt(0)
	v_fma_f64 v[50:51], v[52:53], v[50:51], v[43:44]
	v_cndmask_b32_e64 v44, v44, v51, s[6:7]
	v_cndmask_b32_e64 v43, v43, v50, s[6:7]
	v_mul_f64 v[43:44], v[43:44], v[48:49]
	buffer_store_dword v44, off, s[0:3], 0 offset:20
	buffer_store_dword v43, off, s[0:3], 0 offset:16
.LBB20_210:
	s_or_b64 exec, exec, s[8:9]
	buffer_load_dword v43, off, s[0:3], 0 offset:24
	buffer_load_dword v44, off, s[0:3], 0 offset:28
	v_cmp_gt_u32_e32 vcc, 3, v0
	s_waitcnt vmcnt(0)
	ds_write_b64 v46, v[43:44]
	s_waitcnt lgkmcnt(0)
	; wave barrier
	s_and_saveexec_b64 s[8:9], vcc
	s_cbranch_execz .LBB20_218
; %bb.211:
	s_and_b64 vcc, exec, s[4:5]
	s_cbranch_vccnz .LBB20_213
; %bb.212:
	buffer_load_dword v43, v47, s[0:3], 0 offen
	buffer_load_dword v44, v47, s[0:3], 0 offen offset:4
	ds_read_b64 v[48:49], v46
	s_waitcnt vmcnt(0) lgkmcnt(0)
	v_mul_f64 v[43:44], v[43:44], v[48:49]
	s_cbranch_execz .LBB20_214
	s_branch .LBB20_215
.LBB20_213:
                                        ; implicit-def: $vgpr43_vgpr44
.LBB20_214:
	ds_read_b64 v[43:44], v46
.LBB20_215:
	v_cmp_ne_u32_e32 vcc, 2, v0
	s_and_saveexec_b64 s[10:11], vcc
	s_cbranch_execz .LBB20_217
; %bb.216:
	buffer_load_dword v48, v47, s[0:3], 0 offen offset:8
	buffer_load_dword v49, v47, s[0:3], 0 offen offset:12
	buffer_load_dword v50, off, s[0:3], 0 offset:16
	buffer_load_dword v51, off, s[0:3], 0 offset:20
	ds_read_b64 v[52:53], v46 offset:8
	v_mov_b32_e32 v54, 0
	ds_read_b64 v[54:55], v54 offset:192
	s_waitcnt vmcnt(2) lgkmcnt(1)
	v_fma_f64 v[43:44], v[48:49], v[52:53], v[43:44]
	s_waitcnt vmcnt(0) lgkmcnt(0)
	v_fma_f64 v[48:49], v[50:51], v[54:55], v[43:44]
	v_cndmask_b32_e64 v44, v44, v49, s[6:7]
	v_cndmask_b32_e64 v43, v43, v48, s[6:7]
.LBB20_217:
	s_or_b64 exec, exec, s[10:11]
	v_mov_b32_e32 v48, 0
	ds_read_b64 v[48:49], v48 offset:24
	s_waitcnt lgkmcnt(0)
	v_mul_f64 v[43:44], v[43:44], v[48:49]
	buffer_store_dword v44, off, s[0:3], 0 offset:28
	buffer_store_dword v43, off, s[0:3], 0 offset:24
.LBB20_218:
	s_or_b64 exec, exec, s[8:9]
	buffer_load_dword v43, off, s[0:3], 0 offset:32
	buffer_load_dword v44, off, s[0:3], 0 offset:36
	v_cmp_gt_u32_e32 vcc, 4, v0
	s_waitcnt vmcnt(0)
	ds_write_b64 v46, v[43:44]
	s_waitcnt lgkmcnt(0)
	; wave barrier
	s_and_saveexec_b64 s[6:7], vcc
	s_cbranch_execz .LBB20_228
; %bb.219:
	s_and_b64 vcc, exec, s[4:5]
	s_cbranch_vccnz .LBB20_221
; %bb.220:
	buffer_load_dword v43, v47, s[0:3], 0 offen
	buffer_load_dword v44, v47, s[0:3], 0 offen offset:4
	ds_read_b64 v[48:49], v46
	s_waitcnt vmcnt(0) lgkmcnt(0)
	v_mul_f64 v[43:44], v[43:44], v[48:49]
	s_cbranch_execz .LBB20_222
	s_branch .LBB20_223
.LBB20_221:
                                        ; implicit-def: $vgpr43_vgpr44
.LBB20_222:
	ds_read_b64 v[43:44], v46
.LBB20_223:
	v_cmp_ne_u32_e32 vcc, 3, v0
	s_and_saveexec_b64 s[8:9], vcc
	s_cbranch_execz .LBB20_227
; %bb.224:
	s_mov_b32 s10, 0
	v_add_u32_e32 v48, 0xb8, v45
	v_add3_u32 v49, v45, s10, 8
	s_mov_b64 s[10:11], 0
	v_mov_b32_e32 v50, v0
.LBB20_225:                             ; =>This Inner Loop Header: Depth=1
	buffer_load_dword v51, v49, s[0:3], 0 offen
	buffer_load_dword v52, v49, s[0:3], 0 offen offset:4
	ds_read_b64 v[53:54], v48
	v_add_u32_e32 v50, 1, v50
	v_cmp_lt_u32_e32 vcc, 2, v50
	v_add_u32_e32 v48, 8, v48
	s_or_b64 s[10:11], vcc, s[10:11]
	v_add_u32_e32 v49, 8, v49
	s_waitcnt vmcnt(0) lgkmcnt(0)
	v_fma_f64 v[43:44], v[51:52], v[53:54], v[43:44]
	s_andn2_b64 exec, exec, s[10:11]
	s_cbranch_execnz .LBB20_225
; %bb.226:
	s_or_b64 exec, exec, s[10:11]
.LBB20_227:
	s_or_b64 exec, exec, s[8:9]
	v_mov_b32_e32 v48, 0
	ds_read_b64 v[48:49], v48 offset:32
	s_waitcnt lgkmcnt(0)
	v_mul_f64 v[43:44], v[43:44], v[48:49]
	buffer_store_dword v44, off, s[0:3], 0 offset:36
	buffer_store_dword v43, off, s[0:3], 0 offset:32
.LBB20_228:
	s_or_b64 exec, exec, s[6:7]
	buffer_load_dword v43, off, s[0:3], 0 offset:40
	buffer_load_dword v44, off, s[0:3], 0 offset:44
	v_cmp_gt_u32_e32 vcc, 5, v0
	s_waitcnt vmcnt(0)
	ds_write_b64 v46, v[43:44]
	s_waitcnt lgkmcnt(0)
	; wave barrier
	s_and_saveexec_b64 s[6:7], vcc
	s_cbranch_execz .LBB20_238
; %bb.229:
	s_and_b64 vcc, exec, s[4:5]
	s_cbranch_vccnz .LBB20_231
; %bb.230:
	buffer_load_dword v43, v47, s[0:3], 0 offen
	buffer_load_dword v44, v47, s[0:3], 0 offen offset:4
	ds_read_b64 v[48:49], v46
	s_waitcnt vmcnt(0) lgkmcnt(0)
	v_mul_f64 v[43:44], v[43:44], v[48:49]
	s_cbranch_execz .LBB20_232
	s_branch .LBB20_233
.LBB20_231:
                                        ; implicit-def: $vgpr43_vgpr44
.LBB20_232:
	ds_read_b64 v[43:44], v46
.LBB20_233:
	v_cmp_ne_u32_e32 vcc, 4, v0
	s_and_saveexec_b64 s[8:9], vcc
	s_cbranch_execz .LBB20_237
; %bb.234:
	s_mov_b32 s10, 0
	v_add_u32_e32 v48, 0xb8, v45
	v_add3_u32 v49, v45, s10, 8
	s_mov_b64 s[10:11], 0
	v_mov_b32_e32 v50, v0
.LBB20_235:                             ; =>This Inner Loop Header: Depth=1
	buffer_load_dword v51, v49, s[0:3], 0 offen
	buffer_load_dword v52, v49, s[0:3], 0 offen offset:4
	ds_read_b64 v[53:54], v48
	v_add_u32_e32 v50, 1, v50
	v_cmp_lt_u32_e32 vcc, 3, v50
	v_add_u32_e32 v48, 8, v48
	s_or_b64 s[10:11], vcc, s[10:11]
	v_add_u32_e32 v49, 8, v49
	s_waitcnt vmcnt(0) lgkmcnt(0)
	v_fma_f64 v[43:44], v[51:52], v[53:54], v[43:44]
	s_andn2_b64 exec, exec, s[10:11]
	s_cbranch_execnz .LBB20_235
; %bb.236:
	s_or_b64 exec, exec, s[10:11]
.LBB20_237:
	s_or_b64 exec, exec, s[8:9]
	v_mov_b32_e32 v48, 0
	ds_read_b64 v[48:49], v48 offset:40
	s_waitcnt lgkmcnt(0)
	v_mul_f64 v[43:44], v[43:44], v[48:49]
	buffer_store_dword v44, off, s[0:3], 0 offset:44
	buffer_store_dword v43, off, s[0:3], 0 offset:40
.LBB20_238:
	;; [unrolled: 59-line block ×15, first 2 shown]
	s_or_b64 exec, exec, s[6:7]
	buffer_load_dword v43, off, s[0:3], 0 offset:152
	buffer_load_dword v44, off, s[0:3], 0 offset:156
	v_cmp_gt_u32_e64 s[6:7], 19, v0
	s_waitcnt vmcnt(0)
	ds_write_b64 v46, v[43:44]
	s_waitcnt lgkmcnt(0)
	; wave barrier
	s_and_saveexec_b64 s[8:9], s[6:7]
	s_cbranch_execz .LBB20_378
; %bb.369:
	s_and_b64 vcc, exec, s[4:5]
	s_cbranch_vccnz .LBB20_371
; %bb.370:
	buffer_load_dword v43, v47, s[0:3], 0 offen
	buffer_load_dword v44, v47, s[0:3], 0 offen offset:4
	ds_read_b64 v[48:49], v46
	s_waitcnt vmcnt(0) lgkmcnt(0)
	v_mul_f64 v[43:44], v[43:44], v[48:49]
	s_cbranch_execz .LBB20_372
	s_branch .LBB20_373
.LBB20_371:
                                        ; implicit-def: $vgpr43_vgpr44
.LBB20_372:
	ds_read_b64 v[43:44], v46
.LBB20_373:
	v_cmp_ne_u32_e32 vcc, 18, v0
	s_and_saveexec_b64 s[10:11], vcc
	s_cbranch_execz .LBB20_377
; %bb.374:
	s_mov_b32 s12, 0
	v_add_u32_e32 v48, 0xb8, v45
	v_add3_u32 v49, v45, s12, 8
	s_mov_b64 s[12:13], 0
	v_mov_b32_e32 v50, v0
.LBB20_375:                             ; =>This Inner Loop Header: Depth=1
	buffer_load_dword v51, v49, s[0:3], 0 offen
	buffer_load_dword v52, v49, s[0:3], 0 offen offset:4
	ds_read_b64 v[53:54], v48
	v_add_u32_e32 v50, 1, v50
	v_cmp_lt_u32_e32 vcc, 17, v50
	v_add_u32_e32 v48, 8, v48
	s_or_b64 s[12:13], vcc, s[12:13]
	v_add_u32_e32 v49, 8, v49
	s_waitcnt vmcnt(0) lgkmcnt(0)
	v_fma_f64 v[43:44], v[51:52], v[53:54], v[43:44]
	s_andn2_b64 exec, exec, s[12:13]
	s_cbranch_execnz .LBB20_375
; %bb.376:
	s_or_b64 exec, exec, s[12:13]
.LBB20_377:
	s_or_b64 exec, exec, s[10:11]
	v_mov_b32_e32 v48, 0
	ds_read_b64 v[48:49], v48 offset:152
	s_waitcnt lgkmcnt(0)
	v_mul_f64 v[43:44], v[43:44], v[48:49]
	buffer_store_dword v44, off, s[0:3], 0 offset:156
	buffer_store_dword v43, off, s[0:3], 0 offset:152
.LBB20_378:
	s_or_b64 exec, exec, s[8:9]
	buffer_load_dword v43, off, s[0:3], 0 offset:160
	buffer_load_dword v44, off, s[0:3], 0 offset:164
	v_cmp_ne_u32_e32 vcc, 20, v0
	s_waitcnt vmcnt(0)
	ds_write_b64 v46, v[43:44]
	s_waitcnt lgkmcnt(0)
	; wave barrier
	s_and_saveexec_b64 s[8:9], vcc
	s_cbranch_execz .LBB20_388
; %bb.379:
	s_and_b64 vcc, exec, s[4:5]
	s_cbranch_vccnz .LBB20_381
; %bb.380:
	buffer_load_dword v43, v47, s[0:3], 0 offen
	buffer_load_dword v44, v47, s[0:3], 0 offen offset:4
	ds_read_b64 v[47:48], v46
	s_waitcnt vmcnt(0) lgkmcnt(0)
	v_mul_f64 v[43:44], v[43:44], v[47:48]
	s_cbranch_execz .LBB20_382
	s_branch .LBB20_383
.LBB20_381:
                                        ; implicit-def: $vgpr43_vgpr44
.LBB20_382:
	ds_read_b64 v[43:44], v46
.LBB20_383:
	s_and_saveexec_b64 s[4:5], s[6:7]
	s_cbranch_execz .LBB20_387
; %bb.384:
	s_mov_b32 s6, 0
	v_add_u32_e32 v46, 0xb8, v45
	v_add3_u32 v45, v45, s6, 8
	s_mov_b64 s[6:7], 0
.LBB20_385:                             ; =>This Inner Loop Header: Depth=1
	buffer_load_dword v47, v45, s[0:3], 0 offen
	buffer_load_dword v48, v45, s[0:3], 0 offen offset:4
	ds_read_b64 v[49:50], v46
	v_add_u32_e32 v0, 1, v0
	v_cmp_lt_u32_e32 vcc, 18, v0
	v_add_u32_e32 v46, 8, v46
	s_or_b64 s[6:7], vcc, s[6:7]
	v_add_u32_e32 v45, 8, v45
	s_waitcnt vmcnt(0) lgkmcnt(0)
	v_fma_f64 v[43:44], v[47:48], v[49:50], v[43:44]
	s_andn2_b64 exec, exec, s[6:7]
	s_cbranch_execnz .LBB20_385
; %bb.386:
	s_or_b64 exec, exec, s[6:7]
.LBB20_387:
	s_or_b64 exec, exec, s[4:5]
	v_mov_b32_e32 v0, 0
	ds_read_b64 v[45:46], v0 offset:160
	s_waitcnt lgkmcnt(0)
	v_mul_f64 v[43:44], v[43:44], v[45:46]
	buffer_store_dword v44, off, s[0:3], 0 offset:164
	buffer_store_dword v43, off, s[0:3], 0 offset:160
.LBB20_388:
	s_or_b64 exec, exec, s[8:9]
.LBB20_389:
	buffer_load_dword v43, off, s[0:3], 0
	buffer_load_dword v44, off, s[0:3], 0 offset:4
	buffer_load_dword v45, off, s[0:3], 0 offset:8
	;; [unrolled: 1-line block ×15, first 2 shown]
	s_waitcnt vmcnt(14)
	global_store_dwordx2 v[1:2], v[43:44], off
	s_waitcnt vmcnt(13)
	global_store_dwordx2 v[3:4], v[45:46], off
	buffer_load_dword v1, off, s[0:3], 0 offset:68
	buffer_load_dword v2, off, s[0:3], 0 offset:72
	s_nop 0
	buffer_load_dword v3, off, s[0:3], 0 offset:76
	buffer_load_dword v43, off, s[0:3], 0 offset:80
	buffer_load_dword v44, off, s[0:3], 0 offset:84
	buffer_load_dword v45, off, s[0:3], 0 offset:88
	buffer_load_dword v46, off, s[0:3], 0 offset:92
	buffer_load_dword v0, off, s[0:3], 0 offset:64
	s_waitcnt vmcnt(20)
	global_store_dwordx2 v[5:6], v[47:48], off
	s_waitcnt vmcnt(19)
	global_store_dwordx2 v[9:10], v[49:50], off
	buffer_load_dword v4, off, s[0:3], 0 offset:96
	buffer_load_dword v5, off, s[0:3], 0 offset:100
	s_nop 0
	buffer_load_dword v9, off, s[0:3], 0 offset:104
	buffer_load_dword v10, off, s[0:3], 0 offset:108
	buffer_load_dword v47, off, s[0:3], 0 offset:112
	buffer_load_dword v48, off, s[0:3], 0 offset:116
	buffer_load_dword v49, off, s[0:3], 0 offset:120
	buffer_load_dword v50, off, s[0:3], 0 offset:124
	;; [unrolled: 13-line block ×3, first 2 shown]
	buffer_load_dword v59, off, s[0:3], 0 offset:160
	buffer_load_dword v60, off, s[0:3], 0 offset:164
	s_waitcnt vmcnt(34)
	global_store_dwordx2 v[11:12], v[55:56], off
	s_waitcnt vmcnt(33)
	global_store_dwordx2 v[15:16], v[57:58], off
	;; [unrolled: 2-line block ×3, first 2 shown]
	global_store_dwordx2 v[19:20], v[2:3], off
	global_store_dwordx2 v[21:22], v[43:44], off
	;; [unrolled: 1-line block ×3, first 2 shown]
	s_waitcnt vmcnt(24)
	global_store_dwordx2 v[25:26], v[4:5], off
	s_waitcnt vmcnt(23)
	global_store_dwordx2 v[27:28], v[9:10], off
	;; [unrolled: 2-line block ×9, first 2 shown]
.LBB20_390:
	s_endpgm
	.section	.rodata,"a",@progbits
	.p2align	6, 0x0
	.amdhsa_kernel _ZN9rocsolver6v33100L18trti2_kernel_smallILi21EdPdEEv13rocblas_fill_17rocblas_diagonal_T1_iil
		.amdhsa_group_segment_fixed_size 344
		.amdhsa_private_segment_fixed_size 176
		.amdhsa_kernarg_size 32
		.amdhsa_user_sgpr_count 6
		.amdhsa_user_sgpr_private_segment_buffer 1
		.amdhsa_user_sgpr_dispatch_ptr 0
		.amdhsa_user_sgpr_queue_ptr 0
		.amdhsa_user_sgpr_kernarg_segment_ptr 1
		.amdhsa_user_sgpr_dispatch_id 0
		.amdhsa_user_sgpr_flat_scratch_init 0
		.amdhsa_user_sgpr_private_segment_size 0
		.amdhsa_uses_dynamic_stack 0
		.amdhsa_system_sgpr_private_segment_wavefront_offset 1
		.amdhsa_system_sgpr_workgroup_id_x 1
		.amdhsa_system_sgpr_workgroup_id_y 0
		.amdhsa_system_sgpr_workgroup_id_z 0
		.amdhsa_system_sgpr_workgroup_info 0
		.amdhsa_system_vgpr_workitem_id 0
		.amdhsa_next_free_vgpr 61
		.amdhsa_next_free_sgpr 34
		.amdhsa_reserve_vcc 1
		.amdhsa_reserve_flat_scratch 0
		.amdhsa_float_round_mode_32 0
		.amdhsa_float_round_mode_16_64 0
		.amdhsa_float_denorm_mode_32 3
		.amdhsa_float_denorm_mode_16_64 3
		.amdhsa_dx10_clamp 1
		.amdhsa_ieee_mode 1
		.amdhsa_fp16_overflow 0
		.amdhsa_exception_fp_ieee_invalid_op 0
		.amdhsa_exception_fp_denorm_src 0
		.amdhsa_exception_fp_ieee_div_zero 0
		.amdhsa_exception_fp_ieee_overflow 0
		.amdhsa_exception_fp_ieee_underflow 0
		.amdhsa_exception_fp_ieee_inexact 0
		.amdhsa_exception_int_div_zero 0
	.end_amdhsa_kernel
	.section	.text._ZN9rocsolver6v33100L18trti2_kernel_smallILi21EdPdEEv13rocblas_fill_17rocblas_diagonal_T1_iil,"axG",@progbits,_ZN9rocsolver6v33100L18trti2_kernel_smallILi21EdPdEEv13rocblas_fill_17rocblas_diagonal_T1_iil,comdat
.Lfunc_end20:
	.size	_ZN9rocsolver6v33100L18trti2_kernel_smallILi21EdPdEEv13rocblas_fill_17rocblas_diagonal_T1_iil, .Lfunc_end20-_ZN9rocsolver6v33100L18trti2_kernel_smallILi21EdPdEEv13rocblas_fill_17rocblas_diagonal_T1_iil
                                        ; -- End function
	.set _ZN9rocsolver6v33100L18trti2_kernel_smallILi21EdPdEEv13rocblas_fill_17rocblas_diagonal_T1_iil.num_vgpr, 61
	.set _ZN9rocsolver6v33100L18trti2_kernel_smallILi21EdPdEEv13rocblas_fill_17rocblas_diagonal_T1_iil.num_agpr, 0
	.set _ZN9rocsolver6v33100L18trti2_kernel_smallILi21EdPdEEv13rocblas_fill_17rocblas_diagonal_T1_iil.numbered_sgpr, 34
	.set _ZN9rocsolver6v33100L18trti2_kernel_smallILi21EdPdEEv13rocblas_fill_17rocblas_diagonal_T1_iil.num_named_barrier, 0
	.set _ZN9rocsolver6v33100L18trti2_kernel_smallILi21EdPdEEv13rocblas_fill_17rocblas_diagonal_T1_iil.private_seg_size, 176
	.set _ZN9rocsolver6v33100L18trti2_kernel_smallILi21EdPdEEv13rocblas_fill_17rocblas_diagonal_T1_iil.uses_vcc, 1
	.set _ZN9rocsolver6v33100L18trti2_kernel_smallILi21EdPdEEv13rocblas_fill_17rocblas_diagonal_T1_iil.uses_flat_scratch, 0
	.set _ZN9rocsolver6v33100L18trti2_kernel_smallILi21EdPdEEv13rocblas_fill_17rocblas_diagonal_T1_iil.has_dyn_sized_stack, 0
	.set _ZN9rocsolver6v33100L18trti2_kernel_smallILi21EdPdEEv13rocblas_fill_17rocblas_diagonal_T1_iil.has_recursion, 0
	.set _ZN9rocsolver6v33100L18trti2_kernel_smallILi21EdPdEEv13rocblas_fill_17rocblas_diagonal_T1_iil.has_indirect_call, 0
	.section	.AMDGPU.csdata,"",@progbits
; Kernel info:
; codeLenInByte = 12044
; TotalNumSgprs: 38
; NumVgprs: 61
; ScratchSize: 176
; MemoryBound: 0
; FloatMode: 240
; IeeeMode: 1
; LDSByteSize: 344 bytes/workgroup (compile time only)
; SGPRBlocks: 4
; VGPRBlocks: 15
; NumSGPRsForWavesPerEU: 38
; NumVGPRsForWavesPerEU: 61
; Occupancy: 4
; WaveLimiterHint : 0
; COMPUTE_PGM_RSRC2:SCRATCH_EN: 1
; COMPUTE_PGM_RSRC2:USER_SGPR: 6
; COMPUTE_PGM_RSRC2:TRAP_HANDLER: 0
; COMPUTE_PGM_RSRC2:TGID_X_EN: 1
; COMPUTE_PGM_RSRC2:TGID_Y_EN: 0
; COMPUTE_PGM_RSRC2:TGID_Z_EN: 0
; COMPUTE_PGM_RSRC2:TIDIG_COMP_CNT: 0
	.section	.text._ZN9rocsolver6v33100L18trti2_kernel_smallILi22EdPdEEv13rocblas_fill_17rocblas_diagonal_T1_iil,"axG",@progbits,_ZN9rocsolver6v33100L18trti2_kernel_smallILi22EdPdEEv13rocblas_fill_17rocblas_diagonal_T1_iil,comdat
	.globl	_ZN9rocsolver6v33100L18trti2_kernel_smallILi22EdPdEEv13rocblas_fill_17rocblas_diagonal_T1_iil ; -- Begin function _ZN9rocsolver6v33100L18trti2_kernel_smallILi22EdPdEEv13rocblas_fill_17rocblas_diagonal_T1_iil
	.p2align	8
	.type	_ZN9rocsolver6v33100L18trti2_kernel_smallILi22EdPdEEv13rocblas_fill_17rocblas_diagonal_T1_iil,@function
_ZN9rocsolver6v33100L18trti2_kernel_smallILi22EdPdEEv13rocblas_fill_17rocblas_diagonal_T1_iil: ; @_ZN9rocsolver6v33100L18trti2_kernel_smallILi22EdPdEEv13rocblas_fill_17rocblas_diagonal_T1_iil
; %bb.0:
	s_add_u32 s0, s0, s7
	s_addc_u32 s1, s1, 0
	v_cmp_gt_u32_e32 vcc, 22, v0
	s_and_saveexec_b64 s[8:9], vcc
	s_cbranch_execz .LBB21_410
; %bb.1:
	s_load_dwordx8 s[8:15], s[4:5], 0x0
	s_ashr_i32 s7, s6, 31
	v_lshlrev_b32_e32 v47, 3, v0
	s_waitcnt lgkmcnt(0)
	s_ashr_i32 s5, s12, 31
	s_mov_b32 s4, s12
	s_mul_hi_u32 s12, s14, s6
	s_mul_i32 s7, s14, s7
	s_add_i32 s7, s12, s7
	s_mul_i32 s12, s15, s6
	s_add_i32 s7, s7, s12
	s_mul_i32 s6, s14, s6
	s_lshl_b64 s[6:7], s[6:7], 3
	s_add_u32 s6, s10, s6
	s_addc_u32 s7, s11, s7
	s_lshl_b64 s[4:5], s[4:5], 3
	s_add_u32 s4, s6, s4
	s_addc_u32 s5, s7, s5
	v_mov_b32_e32 v2, s5
	v_add_co_u32_e32 v1, vcc, s4, v47
	s_ashr_i32 s7, s13, 31
	s_mov_b32 s6, s13
	v_addc_co_u32_e32 v2, vcc, 0, v2, vcc
	s_lshl_b64 s[6:7], s[6:7], 3
	v_add_co_u32_e32 v3, vcc, s6, v1
	s_add_i32 s6, s13, s13
	v_add_u32_e32 v7, s6, v0
	v_ashrrev_i32_e32 v8, 31, v7
	v_mov_b32_e32 v4, s7
	v_lshlrev_b64 v[5:6], 3, v[7:8]
	v_addc_co_u32_e32 v4, vcc, v2, v4, vcc
	v_mov_b32_e32 v8, s5
	v_add_co_u32_e32 v5, vcc, s4, v5
	v_add_u32_e32 v7, s13, v7
	v_addc_co_u32_e32 v6, vcc, v8, v6, vcc
	v_ashrrev_i32_e32 v8, 31, v7
	v_lshlrev_b64 v[9:10], 3, v[7:8]
	v_add_u32_e32 v11, s13, v7
	global_load_dwordx2 v[19:20], v47, s[4:5]
	v_mov_b32_e32 v8, s5
	v_add_co_u32_e32 v9, vcc, s4, v9
	v_ashrrev_i32_e32 v12, 31, v11
	v_addc_co_u32_e32 v10, vcc, v8, v10, vcc
	v_lshlrev_b64 v[7:8], 3, v[11:12]
	v_mov_b32_e32 v12, s5
	v_add_co_u32_e32 v7, vcc, s4, v7
	v_addc_co_u32_e32 v8, vcc, v12, v8, vcc
	global_load_dwordx2 v[21:22], v[3:4], off
	global_load_dwordx2 v[23:24], v[5:6], off
	;; [unrolled: 1-line block ×4, first 2 shown]
	v_add_u32_e32 v11, s13, v11
	v_add_u32_e32 v15, s13, v11
	;; [unrolled: 1-line block ×7, first 2 shown]
	v_ashrrev_i32_e32 v12, 31, v11
	v_add_u32_e32 v37, s13, v35
	v_lshlrev_b64 v[13:14], 3, v[11:12]
	v_add_u32_e32 v39, s13, v37
	v_add_u32_e32 v41, s13, v39
	v_mov_b32_e32 v12, s5
	v_add_co_u32_e32 v13, vcc, s4, v13
	v_ashrrev_i32_e32 v16, 31, v15
	v_add_u32_e32 v43, s13, v41
	v_addc_co_u32_e32 v14, vcc, v12, v14, vcc
	v_lshlrev_b64 v[11:12], 3, v[15:16]
	v_add_u32_e32 v45, s13, v43
	v_add_u32_e32 v48, s13, v45
	v_mov_b32_e32 v16, s5
	v_add_co_u32_e32 v11, vcc, s4, v11
	v_ashrrev_i32_e32 v18, 31, v17
	v_add_u32_e32 v50, s13, v48
	v_addc_co_u32_e32 v12, vcc, v16, v12, vcc
	v_lshlrev_b64 v[15:16], 3, v[17:18]
	v_add_u32_e32 v52, s13, v50
	v_add_u32_e32 v54, s13, v52
	v_mov_b32_e32 v18, s5
	v_add_co_u32_e32 v15, vcc, s4, v15
	v_add_u32_e32 v17, s13, v54
	v_addc_co_u32_e32 v16, vcc, v18, v16, vcc
	v_ashrrev_i32_e32 v18, 31, v17
	v_lshlrev_b64 v[17:18], 3, v[17:18]
	v_mov_b32_e32 v30, s5
	v_add_co_u32_e32 v17, vcc, s4, v17
	v_addc_co_u32_e32 v18, vcc, v30, v18, vcc
	global_load_dwordx2 v[55:56], v[13:14], off
	global_load_dwordx2 v[57:58], v[17:18], off
	s_waitcnt vmcnt(6)
	buffer_store_dword v20, off, s[0:3], 0 offset:4
	buffer_store_dword v19, off, s[0:3], 0
	global_load_dwordx2 v[59:60], v[11:12], off
	s_waitcnt vmcnt(8)
	buffer_store_dword v22, off, s[0:3], 0 offset:12
	buffer_store_dword v21, off, s[0:3], 0 offset:8
	global_load_dwordx2 v[61:62], v[15:16], off
	v_ashrrev_i32_e32 v30, 31, v29
	v_lshlrev_b64 v[19:20], 3, v[29:30]
	v_mov_b32_e32 v21, s5
	v_add_co_u32_e32 v19, vcc, s4, v19
	v_ashrrev_i32_e32 v32, 31, v31
	v_addc_co_u32_e32 v20, vcc, v21, v20, vcc
	v_lshlrev_b64 v[21:22], 3, v[31:32]
	s_waitcnt vmcnt(10)
	buffer_store_dword v24, off, s[0:3], 0 offset:20
	buffer_store_dword v23, off, s[0:3], 0 offset:16
	s_waitcnt vmcnt(11)
	buffer_store_dword v26, off, s[0:3], 0 offset:28
	buffer_store_dword v25, off, s[0:3], 0 offset:24
	;; [unrolled: 3-line block ×3, first 2 shown]
	v_mov_b32_e32 v23, s5
	v_add_co_u32_e32 v21, vcc, s4, v21
	v_ashrrev_i32_e32 v34, 31, v33
	v_addc_co_u32_e32 v22, vcc, v23, v22, vcc
	v_lshlrev_b64 v[23:24], 3, v[33:34]
	v_mov_b32_e32 v25, s5
	v_add_co_u32_e32 v23, vcc, s4, v23
	v_ashrrev_i32_e32 v36, 31, v35
	v_addc_co_u32_e32 v24, vcc, v25, v24, vcc
	v_lshlrev_b64 v[25:26], 3, v[35:36]
	;; [unrolled: 5-line block ×4, first 2 shown]
	v_mov_b32_e32 v31, s5
	v_add_co_u32_e32 v29, vcc, s4, v29
	v_ashrrev_i32_e32 v42, 31, v41
	global_load_dwordx2 v[63:64], v[19:20], off
	s_waitcnt vmcnt(14)
	buffer_store_dword v56, off, s[0:3], 0 offset:44
	buffer_store_dword v55, off, s[0:3], 0 offset:40
	v_addc_co_u32_e32 v30, vcc, v31, v30, vcc
	v_lshlrev_b64 v[31:32], 3, v[41:42]
	global_load_dwordx2 v[55:56], v[21:22], off
	global_load_dwordx2 v[35:36], v[25:26], off
	;; [unrolled: 1-line block ×3, first 2 shown]
	v_mov_b32_e32 v33, s5
	v_add_co_u32_e32 v31, vcc, s4, v31
	v_addc_co_u32_e32 v32, vcc, v33, v32, vcc
	global_load_dwordx2 v[33:34], v[23:24], off
	v_ashrrev_i32_e32 v44, 31, v43
	v_ashrrev_i32_e32 v46, 31, v45
	;; [unrolled: 1-line block ×4, first 2 shown]
	v_mov_b32_e32 v41, s5
	v_ashrrev_i32_e32 v53, 31, v52
	s_cmpk_lg_i32 s9, 0x84
	s_cselect_b64 s[10:11], -1, 0
	s_cmpk_eq_i32 s9, 0x84
	s_waitcnt vmcnt(16)
	buffer_store_dword v60, off, s[0:3], 0 offset:52
	buffer_store_dword v59, off, s[0:3], 0 offset:48
	s_waitcnt vmcnt(15)
	buffer_store_dword v62, off, s[0:3], 0 offset:60
	buffer_store_dword v61, off, s[0:3], 0 offset:56
	global_load_dwordx2 v[39:40], v[29:30], off
	s_waitcnt vmcnt(11)
	buffer_store_dword v64, off, s[0:3], 0 offset:68
	buffer_store_dword v63, off, s[0:3], 0 offset:64
	global_load_dwordx2 v[59:60], v[31:32], off
	s_waitcnt vmcnt(11)
	buffer_store_dword v55, off, s[0:3], 0 offset:72
	buffer_store_dword v56, off, s[0:3], 0 offset:76
	s_waitcnt vmcnt(10)
	buffer_store_dword v33, off, s[0:3], 0 offset:80
	buffer_store_dword v34, off, s[0:3], 0 offset:84
	;; [unrolled: 1-line block ×6, first 2 shown]
	v_lshlrev_b64 v[33:34], 3, v[43:44]
	v_mov_b32_e32 v35, s5
	v_add_co_u32_e32 v33, vcc, s4, v33
	v_addc_co_u32_e32 v34, vcc, v35, v34, vcc
	v_lshlrev_b64 v[35:36], 3, v[45:46]
	v_mov_b32_e32 v37, s5
	v_add_co_u32_e32 v35, vcc, s4, v35
	v_addc_co_u32_e32 v36, vcc, v37, v36, vcc
	v_lshlrev_b64 v[37:38], 3, v[48:49]
	global_load_dwordx2 v[45:46], v[33:34], off
	global_load_dwordx2 v[61:62], v[35:36], off
	s_waitcnt vmcnt(13)
	buffer_store_dword v39, off, s[0:3], 0 offset:104
	buffer_store_dword v40, off, s[0:3], 0 offset:108
	v_mov_b32_e32 v39, s5
	v_add_co_u32_e32 v37, vcc, s4, v37
	v_addc_co_u32_e32 v38, vcc, v39, v38, vcc
	v_lshlrev_b64 v[39:40], 3, v[50:51]
	v_mov_b32_e32 v43, s5
	v_add_co_u32_e32 v39, vcc, s4, v39
	v_addc_co_u32_e32 v40, vcc, v41, v40, vcc
	v_lshlrev_b64 v[41:42], 3, v[52:53]
	v_ashrrev_i32_e32 v55, 31, v54
	v_add_co_u32_e32 v41, vcc, s4, v41
	v_addc_co_u32_e32 v42, vcc, v43, v42, vcc
	v_lshlrev_b64 v[43:44], 3, v[54:55]
	global_load_dwordx2 v[48:49], v[37:38], off
	global_load_dwordx2 v[52:53], v[41:42], off
	v_mov_b32_e32 v50, s5
	v_add_co_u32_e32 v43, vcc, s4, v43
	v_addc_co_u32_e32 v44, vcc, v50, v44, vcc
	global_load_dwordx2 v[50:51], v[39:40], off
	global_load_dwordx2 v[54:55], v[43:44], off
	s_waitcnt vmcnt(16)
	buffer_store_dword v60, off, s[0:3], 0 offset:116
	buffer_store_dword v59, off, s[0:3], 0 offset:112
	s_waitcnt vmcnt(9)
	buffer_store_dword v45, off, s[0:3], 0 offset:120
	buffer_store_dword v46, off, s[0:3], 0 offset:124
	;; [unrolled: 3-line block ×5, first 2 shown]
	buffer_store_dword v53, off, s[0:3], 0 offset:156
	buffer_store_dword v52, off, s[0:3], 0 offset:152
	s_waitcnt vmcnt(12)
	buffer_store_dword v55, off, s[0:3], 0 offset:164
	buffer_store_dword v54, off, s[0:3], 0 offset:160
	;; [unrolled: 1-line block ×3, first 2 shown]
	v_mov_b32_e32 v45, 0
	v_mov_b32_e32 v46, 0xbff00000
	buffer_store_dword v58, off, s[0:3], 0 offset:172
	s_cbranch_scc1 .LBB21_3
; %bb.2:
	v_mov_b32_e32 v45, 0
	v_lshl_add_u32 v56, v0, 3, v45
	buffer_load_dword v45, v56, s[0:3], 0 offen
	buffer_load_dword v46, v56, s[0:3], 0 offen offset:4
	s_waitcnt vmcnt(0)
	v_div_scale_f64 v[48:49], s[4:5], v[45:46], v[45:46], 1.0
	v_rcp_f64_e32 v[50:51], v[48:49]
	v_fma_f64 v[52:53], -v[48:49], v[50:51], 1.0
	v_fma_f64 v[50:51], v[50:51], v[52:53], v[50:51]
	v_div_scale_f64 v[52:53], vcc, 1.0, v[45:46], 1.0
	v_fma_f64 v[54:55], -v[48:49], v[50:51], 1.0
	v_fma_f64 v[50:51], v[50:51], v[54:55], v[50:51]
	v_mul_f64 v[54:55], v[52:53], v[50:51]
	v_fma_f64 v[48:49], -v[48:49], v[54:55], v[52:53]
	v_div_fmas_f64 v[48:49], v[48:49], v[50:51], v[54:55]
	v_div_fixup_f64 v[45:46], v[48:49], v[45:46], 1.0
	buffer_store_dword v45, v56, s[0:3], 0 offen
	buffer_store_dword v46, v56, s[0:3], 0 offen offset:4
	v_xor_b32_e32 v46, 0x80000000, v46
.LBB21_3:
	s_cmpk_eq_i32 s8, 0x79
	v_add_u32_e32 v48, 0xb0, v47
	v_mov_b32_e32 v49, v47
	s_mov_b64 s[4:5], -1
	ds_write_b64 v47, v[45:46]
	s_cbranch_scc1 .LBB21_207
; %bb.4:
	buffer_load_dword v45, off, s[0:3], 0 offset:160
	buffer_load_dword v46, off, s[0:3], 0 offset:164
	s_movk_i32 s12, 0x48
	s_movk_i32 s13, 0x50
	;; [unrolled: 1-line block ×11, first 2 shown]
	v_cmp_eq_u32_e64 s[4:5], 21, v0
	s_waitcnt vmcnt(0)
	ds_write_b64 v48, v[45:46]
	s_waitcnt lgkmcnt(0)
	; wave barrier
	s_and_saveexec_b64 s[6:7], s[4:5]
	s_cbranch_execz .LBB21_10
; %bb.5:
	s_and_b64 vcc, exec, s[10:11]
	s_cbranch_vccz .LBB21_7
; %bb.6:
	buffer_load_dword v45, v49, s[0:3], 0 offen
	buffer_load_dword v46, v49, s[0:3], 0 offen offset:4
	ds_read_b64 v[50:51], v48
	s_waitcnt vmcnt(0) lgkmcnt(0)
	v_mul_f64 v[45:46], v[45:46], v[50:51]
	s_cbranch_execz .LBB21_8
	s_branch .LBB21_9
.LBB21_7:
                                        ; implicit-def: $vgpr45_vgpr46
.LBB21_8:
	ds_read_b64 v[45:46], v48
.LBB21_9:
	v_mov_b32_e32 v50, 0
	ds_read_b64 v[50:51], v50 offset:160
	s_waitcnt lgkmcnt(0)
	v_mul_f64 v[45:46], v[45:46], v[50:51]
	buffer_store_dword v46, off, s[0:3], 0 offset:164
	buffer_store_dword v45, off, s[0:3], 0 offset:160
.LBB21_10:
	s_or_b64 exec, exec, s[6:7]
	buffer_load_dword v45, off, s[0:3], 0 offset:152
	buffer_load_dword v46, off, s[0:3], 0 offset:156
	s_or_b32 s14, 0, 8
	s_mov_b32 s15, 16
	s_mov_b32 s16, 24
	;; [unrolled: 1-line block ×9, first 2 shown]
	v_cmp_lt_u32_e64 s[6:7], 19, v0
	s_waitcnt vmcnt(0)
	ds_write_b64 v48, v[45:46]
	s_waitcnt lgkmcnt(0)
	; wave barrier
	s_and_saveexec_b64 s[8:9], s[6:7]
	s_cbranch_execz .LBB21_16
; %bb.11:
	s_andn2_b64 vcc, exec, s[10:11]
	s_cbranch_vccnz .LBB21_13
; %bb.12:
	buffer_load_dword v45, v49, s[0:3], 0 offen
	buffer_load_dword v46, v49, s[0:3], 0 offen offset:4
	ds_read_b64 v[50:51], v48
	s_waitcnt vmcnt(0) lgkmcnt(0)
	v_mul_f64 v[45:46], v[45:46], v[50:51]
	s_cbranch_execz .LBB21_14
	s_branch .LBB21_15
.LBB21_13:
                                        ; implicit-def: $vgpr45_vgpr46
.LBB21_14:
	ds_read_b64 v[45:46], v48
.LBB21_15:
	buffer_load_dword v54, off, s[0:3], 0 offset:160
	buffer_load_dword v55, off, s[0:3], 0 offset:164
	v_mov_b32_e32 v50, 0
	ds_read2_b64 v[50:53], v50 offset0:19 offset1:42
	s_waitcnt vmcnt(0) lgkmcnt(0)
	v_fma_f64 v[52:53], v[54:55], v[52:53], v[45:46]
	v_cndmask_b32_e64 v46, v46, v53, s[4:5]
	v_cndmask_b32_e64 v45, v45, v52, s[4:5]
	v_mul_f64 v[45:46], v[45:46], v[50:51]
	buffer_store_dword v46, off, s[0:3], 0 offset:156
	buffer_store_dword v45, off, s[0:3], 0 offset:152
.LBB21_16:
	s_or_b64 exec, exec, s[8:9]
	buffer_load_dword v45, off, s[0:3], 0 offset:144
	buffer_load_dword v46, off, s[0:3], 0 offset:148
	v_cmp_lt_u32_e64 s[4:5], 18, v0
	s_waitcnt vmcnt(0)
	ds_write_b64 v48, v[45:46]
	s_waitcnt lgkmcnt(0)
	; wave barrier
	s_and_saveexec_b64 s[8:9], s[4:5]
	s_cbranch_execz .LBB21_26
; %bb.17:
	s_andn2_b64 vcc, exec, s[10:11]
	s_cbranch_vccnz .LBB21_19
; %bb.18:
	buffer_load_dword v45, v49, s[0:3], 0 offen
	buffer_load_dword v46, v49, s[0:3], 0 offen offset:4
	ds_read_b64 v[50:51], v48
	s_waitcnt vmcnt(0) lgkmcnt(0)
	v_mul_f64 v[45:46], v[45:46], v[50:51]
	s_cbranch_execz .LBB21_20
	s_branch .LBB21_21
.LBB21_19:
                                        ; implicit-def: $vgpr45_vgpr46
.LBB21_20:
	ds_read_b64 v[45:46], v48
.LBB21_21:
	s_and_saveexec_b64 s[12:13], s[6:7]
	s_cbranch_execz .LBB21_25
; %bb.22:
	v_subrev_u32_e32 v50, 19, v0
	s_movk_i32 s34, 0x148
	s_mov_b64 s[6:7], 0
.LBB21_23:                              ; =>This Inner Loop Header: Depth=1
	v_mov_b32_e32 v53, s33
	buffer_load_dword v51, v53, s[0:3], 0 offen
	buffer_load_dword v52, v53, s[0:3], 0 offen offset:4
	v_mov_b32_e32 v53, s34
	ds_read_b64 v[53:54], v53
	v_add_u32_e32 v50, -1, v50
	s_add_i32 s34, s34, 8
	s_add_i32 s33, s33, 8
	v_cmp_eq_u32_e32 vcc, 0, v50
	s_or_b64 s[6:7], vcc, s[6:7]
	s_waitcnt vmcnt(0) lgkmcnt(0)
	v_fma_f64 v[45:46], v[51:52], v[53:54], v[45:46]
	s_andn2_b64 exec, exec, s[6:7]
	s_cbranch_execnz .LBB21_23
; %bb.24:
	s_or_b64 exec, exec, s[6:7]
.LBB21_25:
	s_or_b64 exec, exec, s[12:13]
	v_mov_b32_e32 v50, 0
	ds_read_b64 v[50:51], v50 offset:144
	s_waitcnt lgkmcnt(0)
	v_mul_f64 v[45:46], v[45:46], v[50:51]
	buffer_store_dword v46, off, s[0:3], 0 offset:148
	buffer_store_dword v45, off, s[0:3], 0 offset:144
.LBB21_26:
	s_or_b64 exec, exec, s[8:9]
	buffer_load_dword v45, off, s[0:3], 0 offset:136
	buffer_load_dword v46, off, s[0:3], 0 offset:140
	v_cmp_lt_u32_e64 s[6:7], 17, v0
	s_waitcnt vmcnt(0)
	ds_write_b64 v48, v[45:46]
	s_waitcnt lgkmcnt(0)
	; wave barrier
	s_and_saveexec_b64 s[8:9], s[6:7]
	s_cbranch_execz .LBB21_36
; %bb.27:
	s_andn2_b64 vcc, exec, s[10:11]
	s_cbranch_vccnz .LBB21_29
; %bb.28:
	buffer_load_dword v45, v49, s[0:3], 0 offen
	buffer_load_dword v46, v49, s[0:3], 0 offen offset:4
	ds_read_b64 v[50:51], v48
	s_waitcnt vmcnt(0) lgkmcnt(0)
	v_mul_f64 v[45:46], v[45:46], v[50:51]
	s_cbranch_execz .LBB21_30
	s_branch .LBB21_31
.LBB21_29:
                                        ; implicit-def: $vgpr45_vgpr46
.LBB21_30:
	ds_read_b64 v[45:46], v48
.LBB21_31:
	s_and_saveexec_b64 s[12:13], s[4:5]
	s_cbranch_execz .LBB21_35
; %bb.32:
	v_subrev_u32_e32 v50, 18, v0
	s_movk_i32 s33, 0x140
	s_mov_b64 s[4:5], 0
.LBB21_33:                              ; =>This Inner Loop Header: Depth=1
	v_mov_b32_e32 v53, s31
	buffer_load_dword v51, v53, s[0:3], 0 offen
	buffer_load_dword v52, v53, s[0:3], 0 offen offset:4
	v_mov_b32_e32 v53, s33
	ds_read_b64 v[53:54], v53
	v_add_u32_e32 v50, -1, v50
	s_add_i32 s33, s33, 8
	s_add_i32 s31, s31, 8
	v_cmp_eq_u32_e32 vcc, 0, v50
	s_or_b64 s[4:5], vcc, s[4:5]
	s_waitcnt vmcnt(0) lgkmcnt(0)
	v_fma_f64 v[45:46], v[51:52], v[53:54], v[45:46]
	s_andn2_b64 exec, exec, s[4:5]
	s_cbranch_execnz .LBB21_33
; %bb.34:
	s_or_b64 exec, exec, s[4:5]
.LBB21_35:
	s_or_b64 exec, exec, s[12:13]
	v_mov_b32_e32 v50, 0
	ds_read_b64 v[50:51], v50 offset:136
	s_waitcnt lgkmcnt(0)
	v_mul_f64 v[45:46], v[45:46], v[50:51]
	buffer_store_dword v46, off, s[0:3], 0 offset:140
	buffer_store_dword v45, off, s[0:3], 0 offset:136
.LBB21_36:
	;; [unrolled: 58-line block ×3, first 2 shown]
	s_or_b64 exec, exec, s[8:9]
	buffer_load_dword v45, off, s[0:3], 0 offset:120
	buffer_load_dword v46, off, s[0:3], 0 offset:124
	v_cmp_lt_u32_e64 s[6:7], 15, v0
	s_waitcnt vmcnt(0)
	ds_write_b64 v48, v[45:46]
	s_waitcnt lgkmcnt(0)
	; wave barrier
	s_and_saveexec_b64 s[8:9], s[6:7]
	s_cbranch_execz .LBB21_56
; %bb.47:
	s_andn2_b64 vcc, exec, s[10:11]
	s_cbranch_vccnz .LBB21_49
; %bb.48:
	buffer_load_dword v45, v49, s[0:3], 0 offen
	buffer_load_dword v46, v49, s[0:3], 0 offen offset:4
	ds_read_b64 v[50:51], v48
	s_waitcnt vmcnt(0) lgkmcnt(0)
	v_mul_f64 v[45:46], v[45:46], v[50:51]
	s_cbranch_execz .LBB21_50
	s_branch .LBB21_51
.LBB21_49:
                                        ; implicit-def: $vgpr45_vgpr46
.LBB21_50:
	ds_read_b64 v[45:46], v48
.LBB21_51:
	s_and_saveexec_b64 s[12:13], s[4:5]
	s_cbranch_execz .LBB21_55
; %bb.52:
	v_add_u32_e32 v50, -16, v0
	s_movk_i32 s30, 0x130
	s_mov_b64 s[4:5], 0
.LBB21_53:                              ; =>This Inner Loop Header: Depth=1
	v_mov_b32_e32 v53, s29
	buffer_load_dword v51, v53, s[0:3], 0 offen
	buffer_load_dword v52, v53, s[0:3], 0 offen offset:4
	v_mov_b32_e32 v53, s30
	ds_read_b64 v[53:54], v53
	v_add_u32_e32 v50, -1, v50
	s_add_i32 s30, s30, 8
	s_add_i32 s29, s29, 8
	v_cmp_eq_u32_e32 vcc, 0, v50
	s_or_b64 s[4:5], vcc, s[4:5]
	s_waitcnt vmcnt(0) lgkmcnt(0)
	v_fma_f64 v[45:46], v[51:52], v[53:54], v[45:46]
	s_andn2_b64 exec, exec, s[4:5]
	s_cbranch_execnz .LBB21_53
; %bb.54:
	s_or_b64 exec, exec, s[4:5]
.LBB21_55:
	s_or_b64 exec, exec, s[12:13]
	v_mov_b32_e32 v50, 0
	ds_read_b64 v[50:51], v50 offset:120
	s_waitcnt lgkmcnt(0)
	v_mul_f64 v[45:46], v[45:46], v[50:51]
	buffer_store_dword v46, off, s[0:3], 0 offset:124
	buffer_store_dword v45, off, s[0:3], 0 offset:120
.LBB21_56:
	s_or_b64 exec, exec, s[8:9]
	buffer_load_dword v45, off, s[0:3], 0 offset:112
	buffer_load_dword v46, off, s[0:3], 0 offset:116
	v_cmp_lt_u32_e64 s[4:5], 14, v0
	s_waitcnt vmcnt(0)
	ds_write_b64 v48, v[45:46]
	s_waitcnt lgkmcnt(0)
	; wave barrier
	s_and_saveexec_b64 s[8:9], s[4:5]
	s_cbranch_execz .LBB21_66
; %bb.57:
	s_andn2_b64 vcc, exec, s[10:11]
	s_cbranch_vccnz .LBB21_59
; %bb.58:
	buffer_load_dword v45, v49, s[0:3], 0 offen
	buffer_load_dword v46, v49, s[0:3], 0 offen offset:4
	ds_read_b64 v[50:51], v48
	s_waitcnt vmcnt(0) lgkmcnt(0)
	v_mul_f64 v[45:46], v[45:46], v[50:51]
	s_cbranch_execz .LBB21_60
	s_branch .LBB21_61
.LBB21_59:
                                        ; implicit-def: $vgpr45_vgpr46
.LBB21_60:
	ds_read_b64 v[45:46], v48
.LBB21_61:
	s_and_saveexec_b64 s[12:13], s[6:7]
	s_cbranch_execz .LBB21_65
; %bb.62:
	v_add_u32_e32 v50, -15, v0
	s_movk_i32 s29, 0x128
	s_mov_b64 s[6:7], 0
.LBB21_63:                              ; =>This Inner Loop Header: Depth=1
	v_mov_b32_e32 v53, s28
	buffer_load_dword v51, v53, s[0:3], 0 offen
	buffer_load_dword v52, v53, s[0:3], 0 offen offset:4
	v_mov_b32_e32 v53, s29
	ds_read_b64 v[53:54], v53
	v_add_u32_e32 v50, -1, v50
	s_add_i32 s29, s29, 8
	s_add_i32 s28, s28, 8
	v_cmp_eq_u32_e32 vcc, 0, v50
	s_or_b64 s[6:7], vcc, s[6:7]
	s_waitcnt vmcnt(0) lgkmcnt(0)
	v_fma_f64 v[45:46], v[51:52], v[53:54], v[45:46]
	s_andn2_b64 exec, exec, s[6:7]
	s_cbranch_execnz .LBB21_63
; %bb.64:
	s_or_b64 exec, exec, s[6:7]
.LBB21_65:
	s_or_b64 exec, exec, s[12:13]
	v_mov_b32_e32 v50, 0
	ds_read_b64 v[50:51], v50 offset:112
	s_waitcnt lgkmcnt(0)
	v_mul_f64 v[45:46], v[45:46], v[50:51]
	buffer_store_dword v46, off, s[0:3], 0 offset:116
	buffer_store_dword v45, off, s[0:3], 0 offset:112
.LBB21_66:
	;; [unrolled: 58-line block ×5, first 2 shown]
	s_or_b64 exec, exec, s[8:9]
	buffer_load_dword v45, off, s[0:3], 0 offset:80
	buffer_load_dword v46, off, s[0:3], 0 offset:84
	v_cmp_lt_u32_e64 s[4:5], 10, v0
	s_waitcnt vmcnt(0)
	ds_write_b64 v48, v[45:46]
	s_waitcnt lgkmcnt(0)
	; wave barrier
	s_and_saveexec_b64 s[8:9], s[4:5]
	s_cbranch_execz .LBB21_106
; %bb.97:
	s_andn2_b64 vcc, exec, s[10:11]
	s_cbranch_vccnz .LBB21_99
; %bb.98:
	buffer_load_dword v45, v49, s[0:3], 0 offen
	buffer_load_dword v46, v49, s[0:3], 0 offen offset:4
	ds_read_b64 v[50:51], v48
	s_waitcnt vmcnt(0) lgkmcnt(0)
	v_mul_f64 v[45:46], v[45:46], v[50:51]
	s_cbranch_execz .LBB21_100
	s_branch .LBB21_101
.LBB21_99:
                                        ; implicit-def: $vgpr45_vgpr46
.LBB21_100:
	ds_read_b64 v[45:46], v48
.LBB21_101:
	s_and_saveexec_b64 s[12:13], s[6:7]
	s_cbranch_execz .LBB21_105
; %bb.102:
	v_add_u32_e32 v50, -11, v0
	s_movk_i32 s25, 0x108
	s_mov_b64 s[6:7], 0
.LBB21_103:                             ; =>This Inner Loop Header: Depth=1
	v_mov_b32_e32 v53, s24
	buffer_load_dword v51, v53, s[0:3], 0 offen
	buffer_load_dword v52, v53, s[0:3], 0 offen offset:4
	v_mov_b32_e32 v53, s25
	ds_read_b64 v[53:54], v53
	v_add_u32_e32 v50, -1, v50
	s_add_i32 s25, s25, 8
	s_add_i32 s24, s24, 8
	v_cmp_eq_u32_e32 vcc, 0, v50
	s_or_b64 s[6:7], vcc, s[6:7]
	s_waitcnt vmcnt(0) lgkmcnt(0)
	v_fma_f64 v[45:46], v[51:52], v[53:54], v[45:46]
	s_andn2_b64 exec, exec, s[6:7]
	s_cbranch_execnz .LBB21_103
; %bb.104:
	s_or_b64 exec, exec, s[6:7]
.LBB21_105:
	s_or_b64 exec, exec, s[12:13]
	v_mov_b32_e32 v50, 0
	ds_read_b64 v[50:51], v50 offset:80
	s_waitcnt lgkmcnt(0)
	v_mul_f64 v[45:46], v[45:46], v[50:51]
	buffer_store_dword v46, off, s[0:3], 0 offset:84
	buffer_store_dword v45, off, s[0:3], 0 offset:80
.LBB21_106:
	s_or_b64 exec, exec, s[8:9]
	buffer_load_dword v45, off, s[0:3], 0 offset:72
	buffer_load_dword v46, off, s[0:3], 0 offset:76
	v_cmp_lt_u32_e64 s[6:7], 9, v0
	s_waitcnt vmcnt(0)
	ds_write_b64 v48, v[45:46]
	s_waitcnt lgkmcnt(0)
	; wave barrier
	s_and_saveexec_b64 s[8:9], s[6:7]
	s_cbranch_execz .LBB21_116
; %bb.107:
	s_andn2_b64 vcc, exec, s[10:11]
	s_cbranch_vccnz .LBB21_109
; %bb.108:
	buffer_load_dword v45, v49, s[0:3], 0 offen
	buffer_load_dword v46, v49, s[0:3], 0 offen offset:4
	ds_read_b64 v[50:51], v48
	s_waitcnt vmcnt(0) lgkmcnt(0)
	v_mul_f64 v[45:46], v[45:46], v[50:51]
	s_cbranch_execz .LBB21_110
	s_branch .LBB21_111
.LBB21_109:
                                        ; implicit-def: $vgpr45_vgpr46
.LBB21_110:
	ds_read_b64 v[45:46], v48
.LBB21_111:
	s_and_saveexec_b64 s[12:13], s[4:5]
	s_cbranch_execz .LBB21_115
; %bb.112:
	v_add_u32_e32 v50, -10, v0
	s_movk_i32 s24, 0x100
	s_mov_b64 s[4:5], 0
.LBB21_113:                             ; =>This Inner Loop Header: Depth=1
	v_mov_b32_e32 v53, s23
	buffer_load_dword v51, v53, s[0:3], 0 offen
	buffer_load_dword v52, v53, s[0:3], 0 offen offset:4
	v_mov_b32_e32 v53, s24
	ds_read_b64 v[53:54], v53
	v_add_u32_e32 v50, -1, v50
	s_add_i32 s24, s24, 8
	s_add_i32 s23, s23, 8
	v_cmp_eq_u32_e32 vcc, 0, v50
	s_or_b64 s[4:5], vcc, s[4:5]
	s_waitcnt vmcnt(0) lgkmcnt(0)
	v_fma_f64 v[45:46], v[51:52], v[53:54], v[45:46]
	s_andn2_b64 exec, exec, s[4:5]
	s_cbranch_execnz .LBB21_113
; %bb.114:
	s_or_b64 exec, exec, s[4:5]
.LBB21_115:
	s_or_b64 exec, exec, s[12:13]
	v_mov_b32_e32 v50, 0
	ds_read_b64 v[50:51], v50 offset:72
	s_waitcnt lgkmcnt(0)
	v_mul_f64 v[45:46], v[45:46], v[50:51]
	buffer_store_dword v46, off, s[0:3], 0 offset:76
	buffer_store_dword v45, off, s[0:3], 0 offset:72
.LBB21_116:
	s_or_b64 exec, exec, s[8:9]
	buffer_load_dword v45, off, s[0:3], 0 offset:64
	buffer_load_dword v46, off, s[0:3], 0 offset:68
	v_cmp_lt_u32_e64 s[4:5], 8, v0
	s_waitcnt vmcnt(0)
	ds_write_b64 v48, v[45:46]
	s_waitcnt lgkmcnt(0)
	; wave barrier
	s_and_saveexec_b64 s[8:9], s[4:5]
	s_cbranch_execz .LBB21_126
; %bb.117:
	s_andn2_b64 vcc, exec, s[10:11]
	s_cbranch_vccnz .LBB21_119
; %bb.118:
	buffer_load_dword v45, v49, s[0:3], 0 offen
	buffer_load_dword v46, v49, s[0:3], 0 offen offset:4
	ds_read_b64 v[50:51], v48
	s_waitcnt vmcnt(0) lgkmcnt(0)
	v_mul_f64 v[45:46], v[45:46], v[50:51]
	s_cbranch_execz .LBB21_120
	s_branch .LBB21_121
.LBB21_119:
                                        ; implicit-def: $vgpr45_vgpr46
.LBB21_120:
	ds_read_b64 v[45:46], v48
.LBB21_121:
	s_and_saveexec_b64 s[12:13], s[6:7]
	s_cbranch_execz .LBB21_125
; %bb.122:
	v_add_u32_e32 v50, -9, v0
	s_movk_i32 s23, 0xf8
	s_mov_b64 s[6:7], 0
.LBB21_123:                             ; =>This Inner Loop Header: Depth=1
	v_mov_b32_e32 v53, s22
	buffer_load_dword v51, v53, s[0:3], 0 offen
	buffer_load_dword v52, v53, s[0:3], 0 offen offset:4
	v_mov_b32_e32 v53, s23
	ds_read_b64 v[53:54], v53
	v_add_u32_e32 v50, -1, v50
	s_add_i32 s23, s23, 8
	s_add_i32 s22, s22, 8
	v_cmp_eq_u32_e32 vcc, 0, v50
	s_or_b64 s[6:7], vcc, s[6:7]
	s_waitcnt vmcnt(0) lgkmcnt(0)
	v_fma_f64 v[45:46], v[51:52], v[53:54], v[45:46]
	s_andn2_b64 exec, exec, s[6:7]
	s_cbranch_execnz .LBB21_123
; %bb.124:
	s_or_b64 exec, exec, s[6:7]
.LBB21_125:
	s_or_b64 exec, exec, s[12:13]
	v_mov_b32_e32 v50, 0
	ds_read_b64 v[50:51], v50 offset:64
	s_waitcnt lgkmcnt(0)
	v_mul_f64 v[45:46], v[45:46], v[50:51]
	buffer_store_dword v46, off, s[0:3], 0 offset:68
	buffer_store_dword v45, off, s[0:3], 0 offset:64
.LBB21_126:
	s_or_b64 exec, exec, s[8:9]
	buffer_load_dword v45, off, s[0:3], 0 offset:56
	buffer_load_dword v46, off, s[0:3], 0 offset:60
	v_cmp_lt_u32_e64 s[6:7], 7, v0
	s_waitcnt vmcnt(0)
	ds_write_b64 v48, v[45:46]
	s_waitcnt lgkmcnt(0)
	; wave barrier
	s_and_saveexec_b64 s[8:9], s[6:7]
	s_cbranch_execz .LBB21_136
; %bb.127:
	s_andn2_b64 vcc, exec, s[10:11]
	s_cbranch_vccnz .LBB21_129
; %bb.128:
	buffer_load_dword v45, v49, s[0:3], 0 offen
	buffer_load_dword v46, v49, s[0:3], 0 offen offset:4
	ds_read_b64 v[50:51], v48
	s_waitcnt vmcnt(0) lgkmcnt(0)
	v_mul_f64 v[45:46], v[45:46], v[50:51]
	s_cbranch_execz .LBB21_130
	s_branch .LBB21_131
.LBB21_129:
                                        ; implicit-def: $vgpr45_vgpr46
.LBB21_130:
	ds_read_b64 v[45:46], v48
.LBB21_131:
	s_and_saveexec_b64 s[12:13], s[4:5]
	s_cbranch_execz .LBB21_135
; %bb.132:
	v_add_u32_e32 v50, -8, v0
	s_movk_i32 s22, 0xf0
	s_mov_b64 s[4:5], 0
.LBB21_133:                             ; =>This Inner Loop Header: Depth=1
	v_mov_b32_e32 v53, s21
	buffer_load_dword v51, v53, s[0:3], 0 offen
	buffer_load_dword v52, v53, s[0:3], 0 offen offset:4
	v_mov_b32_e32 v53, s22
	ds_read_b64 v[53:54], v53
	v_add_u32_e32 v50, -1, v50
	s_add_i32 s22, s22, 8
	s_add_i32 s21, s21, 8
	v_cmp_eq_u32_e32 vcc, 0, v50
	s_or_b64 s[4:5], vcc, s[4:5]
	s_waitcnt vmcnt(0) lgkmcnt(0)
	v_fma_f64 v[45:46], v[51:52], v[53:54], v[45:46]
	s_andn2_b64 exec, exec, s[4:5]
	s_cbranch_execnz .LBB21_133
; %bb.134:
	s_or_b64 exec, exec, s[4:5]
.LBB21_135:
	s_or_b64 exec, exec, s[12:13]
	v_mov_b32_e32 v50, 0
	ds_read_b64 v[50:51], v50 offset:56
	s_waitcnt lgkmcnt(0)
	v_mul_f64 v[45:46], v[45:46], v[50:51]
	buffer_store_dword v46, off, s[0:3], 0 offset:60
	buffer_store_dword v45, off, s[0:3], 0 offset:56
.LBB21_136:
	s_or_b64 exec, exec, s[8:9]
	buffer_load_dword v45, off, s[0:3], 0 offset:48
	buffer_load_dword v46, off, s[0:3], 0 offset:52
	v_cmp_lt_u32_e64 s[4:5], 6, v0
	s_waitcnt vmcnt(0)
	ds_write_b64 v48, v[45:46]
	s_waitcnt lgkmcnt(0)
	; wave barrier
	s_and_saveexec_b64 s[8:9], s[4:5]
	s_cbranch_execz .LBB21_146
; %bb.137:
	s_andn2_b64 vcc, exec, s[10:11]
	s_cbranch_vccnz .LBB21_139
; %bb.138:
	buffer_load_dword v45, v49, s[0:3], 0 offen
	buffer_load_dword v46, v49, s[0:3], 0 offen offset:4
	ds_read_b64 v[50:51], v48
	s_waitcnt vmcnt(0) lgkmcnt(0)
	v_mul_f64 v[45:46], v[45:46], v[50:51]
	s_cbranch_execz .LBB21_140
	s_branch .LBB21_141
.LBB21_139:
                                        ; implicit-def: $vgpr45_vgpr46
.LBB21_140:
	ds_read_b64 v[45:46], v48
.LBB21_141:
	s_and_saveexec_b64 s[12:13], s[6:7]
	s_cbranch_execz .LBB21_145
; %bb.142:
	v_add_u32_e32 v50, -7, v0
	s_movk_i32 s21, 0xe8
	s_mov_b64 s[6:7], 0
.LBB21_143:                             ; =>This Inner Loop Header: Depth=1
	v_mov_b32_e32 v53, s20
	buffer_load_dword v51, v53, s[0:3], 0 offen
	buffer_load_dword v52, v53, s[0:3], 0 offen offset:4
	v_mov_b32_e32 v53, s21
	ds_read_b64 v[53:54], v53
	v_add_u32_e32 v50, -1, v50
	s_add_i32 s21, s21, 8
	s_add_i32 s20, s20, 8
	v_cmp_eq_u32_e32 vcc, 0, v50
	s_or_b64 s[6:7], vcc, s[6:7]
	s_waitcnt vmcnt(0) lgkmcnt(0)
	v_fma_f64 v[45:46], v[51:52], v[53:54], v[45:46]
	s_andn2_b64 exec, exec, s[6:7]
	s_cbranch_execnz .LBB21_143
; %bb.144:
	s_or_b64 exec, exec, s[6:7]
.LBB21_145:
	s_or_b64 exec, exec, s[12:13]
	v_mov_b32_e32 v50, 0
	ds_read_b64 v[50:51], v50 offset:48
	s_waitcnt lgkmcnt(0)
	v_mul_f64 v[45:46], v[45:46], v[50:51]
	buffer_store_dword v46, off, s[0:3], 0 offset:52
	buffer_store_dword v45, off, s[0:3], 0 offset:48
.LBB21_146:
	s_or_b64 exec, exec, s[8:9]
	buffer_load_dword v45, off, s[0:3], 0 offset:40
	buffer_load_dword v46, off, s[0:3], 0 offset:44
	v_cmp_lt_u32_e64 s[6:7], 5, v0
	s_waitcnt vmcnt(0)
	ds_write_b64 v48, v[45:46]
	s_waitcnt lgkmcnt(0)
	; wave barrier
	s_and_saveexec_b64 s[8:9], s[6:7]
	s_cbranch_execz .LBB21_156
; %bb.147:
	s_andn2_b64 vcc, exec, s[10:11]
	s_cbranch_vccnz .LBB21_149
; %bb.148:
	buffer_load_dword v45, v49, s[0:3], 0 offen
	buffer_load_dword v46, v49, s[0:3], 0 offen offset:4
	ds_read_b64 v[50:51], v48
	s_waitcnt vmcnt(0) lgkmcnt(0)
	v_mul_f64 v[45:46], v[45:46], v[50:51]
	s_cbranch_execz .LBB21_150
	s_branch .LBB21_151
.LBB21_149:
                                        ; implicit-def: $vgpr45_vgpr46
.LBB21_150:
	ds_read_b64 v[45:46], v48
.LBB21_151:
	s_and_saveexec_b64 s[12:13], s[4:5]
	s_cbranch_execz .LBB21_155
; %bb.152:
	v_add_u32_e32 v50, -6, v0
	s_movk_i32 s20, 0xe0
	s_mov_b64 s[4:5], 0
.LBB21_153:                             ; =>This Inner Loop Header: Depth=1
	v_mov_b32_e32 v53, s19
	buffer_load_dword v51, v53, s[0:3], 0 offen
	buffer_load_dword v52, v53, s[0:3], 0 offen offset:4
	v_mov_b32_e32 v53, s20
	ds_read_b64 v[53:54], v53
	v_add_u32_e32 v50, -1, v50
	s_add_i32 s20, s20, 8
	s_add_i32 s19, s19, 8
	v_cmp_eq_u32_e32 vcc, 0, v50
	s_or_b64 s[4:5], vcc, s[4:5]
	s_waitcnt vmcnt(0) lgkmcnt(0)
	v_fma_f64 v[45:46], v[51:52], v[53:54], v[45:46]
	s_andn2_b64 exec, exec, s[4:5]
	s_cbranch_execnz .LBB21_153
; %bb.154:
	s_or_b64 exec, exec, s[4:5]
.LBB21_155:
	s_or_b64 exec, exec, s[12:13]
	v_mov_b32_e32 v50, 0
	ds_read_b64 v[50:51], v50 offset:40
	s_waitcnt lgkmcnt(0)
	v_mul_f64 v[45:46], v[45:46], v[50:51]
	buffer_store_dword v46, off, s[0:3], 0 offset:44
	buffer_store_dword v45, off, s[0:3], 0 offset:40
.LBB21_156:
	s_or_b64 exec, exec, s[8:9]
	buffer_load_dword v45, off, s[0:3], 0 offset:32
	buffer_load_dword v46, off, s[0:3], 0 offset:36
	v_cmp_lt_u32_e64 s[4:5], 4, v0
	s_waitcnt vmcnt(0)
	ds_write_b64 v48, v[45:46]
	s_waitcnt lgkmcnt(0)
	; wave barrier
	s_and_saveexec_b64 s[8:9], s[4:5]
	s_cbranch_execz .LBB21_166
; %bb.157:
	s_andn2_b64 vcc, exec, s[10:11]
	s_cbranch_vccnz .LBB21_159
; %bb.158:
	buffer_load_dword v45, v49, s[0:3], 0 offen
	buffer_load_dword v46, v49, s[0:3], 0 offen offset:4
	ds_read_b64 v[50:51], v48
	s_waitcnt vmcnt(0) lgkmcnt(0)
	v_mul_f64 v[45:46], v[45:46], v[50:51]
	s_cbranch_execz .LBB21_160
	s_branch .LBB21_161
.LBB21_159:
                                        ; implicit-def: $vgpr45_vgpr46
.LBB21_160:
	ds_read_b64 v[45:46], v48
.LBB21_161:
	s_and_saveexec_b64 s[12:13], s[6:7]
	s_cbranch_execz .LBB21_165
; %bb.162:
	v_add_u32_e32 v50, -5, v0
	s_movk_i32 s19, 0xd8
	s_mov_b64 s[6:7], 0
.LBB21_163:                             ; =>This Inner Loop Header: Depth=1
	v_mov_b32_e32 v53, s18
	buffer_load_dword v51, v53, s[0:3], 0 offen
	buffer_load_dword v52, v53, s[0:3], 0 offen offset:4
	v_mov_b32_e32 v53, s19
	ds_read_b64 v[53:54], v53
	v_add_u32_e32 v50, -1, v50
	s_add_i32 s19, s19, 8
	s_add_i32 s18, s18, 8
	v_cmp_eq_u32_e32 vcc, 0, v50
	s_or_b64 s[6:7], vcc, s[6:7]
	s_waitcnt vmcnt(0) lgkmcnt(0)
	v_fma_f64 v[45:46], v[51:52], v[53:54], v[45:46]
	s_andn2_b64 exec, exec, s[6:7]
	s_cbranch_execnz .LBB21_163
; %bb.164:
	s_or_b64 exec, exec, s[6:7]
.LBB21_165:
	s_or_b64 exec, exec, s[12:13]
	v_mov_b32_e32 v50, 0
	ds_read_b64 v[50:51], v50 offset:32
	s_waitcnt lgkmcnt(0)
	v_mul_f64 v[45:46], v[45:46], v[50:51]
	buffer_store_dword v46, off, s[0:3], 0 offset:36
	buffer_store_dword v45, off, s[0:3], 0 offset:32
.LBB21_166:
	s_or_b64 exec, exec, s[8:9]
	buffer_load_dword v45, off, s[0:3], 0 offset:24
	buffer_load_dword v46, off, s[0:3], 0 offset:28
	v_cmp_lt_u32_e64 s[6:7], 3, v0
	s_waitcnt vmcnt(0)
	ds_write_b64 v48, v[45:46]
	s_waitcnt lgkmcnt(0)
	; wave barrier
	s_and_saveexec_b64 s[8:9], s[6:7]
	s_cbranch_execz .LBB21_176
; %bb.167:
	s_andn2_b64 vcc, exec, s[10:11]
	s_cbranch_vccnz .LBB21_169
; %bb.168:
	buffer_load_dword v45, v49, s[0:3], 0 offen
	buffer_load_dword v46, v49, s[0:3], 0 offen offset:4
	ds_read_b64 v[50:51], v48
	s_waitcnt vmcnt(0) lgkmcnt(0)
	v_mul_f64 v[45:46], v[45:46], v[50:51]
	s_cbranch_execz .LBB21_170
	s_branch .LBB21_171
.LBB21_169:
                                        ; implicit-def: $vgpr45_vgpr46
.LBB21_170:
	ds_read_b64 v[45:46], v48
.LBB21_171:
	s_and_saveexec_b64 s[12:13], s[4:5]
	s_cbranch_execz .LBB21_175
; %bb.172:
	v_add_u32_e32 v50, -4, v0
	s_movk_i32 s18, 0xd0
	s_mov_b64 s[4:5], 0
.LBB21_173:                             ; =>This Inner Loop Header: Depth=1
	v_mov_b32_e32 v53, s17
	buffer_load_dword v51, v53, s[0:3], 0 offen
	buffer_load_dword v52, v53, s[0:3], 0 offen offset:4
	v_mov_b32_e32 v53, s18
	ds_read_b64 v[53:54], v53
	v_add_u32_e32 v50, -1, v50
	s_add_i32 s18, s18, 8
	s_add_i32 s17, s17, 8
	v_cmp_eq_u32_e32 vcc, 0, v50
	s_or_b64 s[4:5], vcc, s[4:5]
	s_waitcnt vmcnt(0) lgkmcnt(0)
	v_fma_f64 v[45:46], v[51:52], v[53:54], v[45:46]
	s_andn2_b64 exec, exec, s[4:5]
	s_cbranch_execnz .LBB21_173
; %bb.174:
	s_or_b64 exec, exec, s[4:5]
.LBB21_175:
	s_or_b64 exec, exec, s[12:13]
	v_mov_b32_e32 v50, 0
	ds_read_b64 v[50:51], v50 offset:24
	s_waitcnt lgkmcnt(0)
	v_mul_f64 v[45:46], v[45:46], v[50:51]
	buffer_store_dword v46, off, s[0:3], 0 offset:28
	buffer_store_dword v45, off, s[0:3], 0 offset:24
.LBB21_176:
	s_or_b64 exec, exec, s[8:9]
	buffer_load_dword v45, off, s[0:3], 0 offset:16
	buffer_load_dword v46, off, s[0:3], 0 offset:20
	v_cmp_lt_u32_e64 s[4:5], 2, v0
	s_waitcnt vmcnt(0)
	ds_write_b64 v48, v[45:46]
	s_waitcnt lgkmcnt(0)
	; wave barrier
	s_and_saveexec_b64 s[8:9], s[4:5]
	s_cbranch_execz .LBB21_186
; %bb.177:
	s_andn2_b64 vcc, exec, s[10:11]
	s_cbranch_vccnz .LBB21_179
; %bb.178:
	buffer_load_dword v45, v49, s[0:3], 0 offen
	buffer_load_dword v46, v49, s[0:3], 0 offen offset:4
	ds_read_b64 v[50:51], v48
	s_waitcnt vmcnt(0) lgkmcnt(0)
	v_mul_f64 v[45:46], v[45:46], v[50:51]
	s_cbranch_execz .LBB21_180
	s_branch .LBB21_181
.LBB21_179:
                                        ; implicit-def: $vgpr45_vgpr46
.LBB21_180:
	ds_read_b64 v[45:46], v48
.LBB21_181:
	s_and_saveexec_b64 s[12:13], s[6:7]
	s_cbranch_execz .LBB21_185
; %bb.182:
	v_add_u32_e32 v50, -3, v0
	s_movk_i32 s17, 0xc8
	s_mov_b64 s[6:7], 0
.LBB21_183:                             ; =>This Inner Loop Header: Depth=1
	v_mov_b32_e32 v53, s16
	buffer_load_dword v51, v53, s[0:3], 0 offen
	buffer_load_dword v52, v53, s[0:3], 0 offen offset:4
	v_mov_b32_e32 v53, s17
	ds_read_b64 v[53:54], v53
	v_add_u32_e32 v50, -1, v50
	s_add_i32 s17, s17, 8
	s_add_i32 s16, s16, 8
	v_cmp_eq_u32_e32 vcc, 0, v50
	s_or_b64 s[6:7], vcc, s[6:7]
	s_waitcnt vmcnt(0) lgkmcnt(0)
	v_fma_f64 v[45:46], v[51:52], v[53:54], v[45:46]
	s_andn2_b64 exec, exec, s[6:7]
	s_cbranch_execnz .LBB21_183
; %bb.184:
	s_or_b64 exec, exec, s[6:7]
.LBB21_185:
	s_or_b64 exec, exec, s[12:13]
	v_mov_b32_e32 v50, 0
	ds_read_b64 v[50:51], v50 offset:16
	s_waitcnt lgkmcnt(0)
	v_mul_f64 v[45:46], v[45:46], v[50:51]
	buffer_store_dword v46, off, s[0:3], 0 offset:20
	buffer_store_dword v45, off, s[0:3], 0 offset:16
.LBB21_186:
	s_or_b64 exec, exec, s[8:9]
	buffer_load_dword v45, off, s[0:3], 0 offset:8
	buffer_load_dword v46, off, s[0:3], 0 offset:12
	v_cmp_lt_u32_e64 s[6:7], 1, v0
	s_waitcnt vmcnt(0)
	ds_write_b64 v48, v[45:46]
	s_waitcnt lgkmcnt(0)
	; wave barrier
	s_and_saveexec_b64 s[8:9], s[6:7]
	s_cbranch_execz .LBB21_196
; %bb.187:
	s_andn2_b64 vcc, exec, s[10:11]
	s_cbranch_vccnz .LBB21_189
; %bb.188:
	buffer_load_dword v45, v49, s[0:3], 0 offen
	buffer_load_dword v46, v49, s[0:3], 0 offen offset:4
	ds_read_b64 v[50:51], v48
	s_waitcnt vmcnt(0) lgkmcnt(0)
	v_mul_f64 v[45:46], v[45:46], v[50:51]
	s_cbranch_execz .LBB21_190
	s_branch .LBB21_191
.LBB21_189:
                                        ; implicit-def: $vgpr45_vgpr46
.LBB21_190:
	ds_read_b64 v[45:46], v48
.LBB21_191:
	s_and_saveexec_b64 s[12:13], s[4:5]
	s_cbranch_execz .LBB21_195
; %bb.192:
	v_add_u32_e32 v50, -2, v0
	s_movk_i32 s16, 0xc0
	s_mov_b64 s[4:5], 0
.LBB21_193:                             ; =>This Inner Loop Header: Depth=1
	v_mov_b32_e32 v53, s15
	buffer_load_dword v51, v53, s[0:3], 0 offen
	buffer_load_dword v52, v53, s[0:3], 0 offen offset:4
	v_mov_b32_e32 v53, s16
	ds_read_b64 v[53:54], v53
	v_add_u32_e32 v50, -1, v50
	s_add_i32 s16, s16, 8
	s_add_i32 s15, s15, 8
	v_cmp_eq_u32_e32 vcc, 0, v50
	s_or_b64 s[4:5], vcc, s[4:5]
	s_waitcnt vmcnt(0) lgkmcnt(0)
	v_fma_f64 v[45:46], v[51:52], v[53:54], v[45:46]
	s_andn2_b64 exec, exec, s[4:5]
	s_cbranch_execnz .LBB21_193
; %bb.194:
	s_or_b64 exec, exec, s[4:5]
.LBB21_195:
	s_or_b64 exec, exec, s[12:13]
	v_mov_b32_e32 v50, 0
	ds_read_b64 v[50:51], v50 offset:8
	s_waitcnt lgkmcnt(0)
	v_mul_f64 v[45:46], v[45:46], v[50:51]
	buffer_store_dword v46, off, s[0:3], 0 offset:12
	buffer_store_dword v45, off, s[0:3], 0 offset:8
.LBB21_196:
	s_or_b64 exec, exec, s[8:9]
	buffer_load_dword v45, off, s[0:3], 0
	buffer_load_dword v46, off, s[0:3], 0 offset:4
	v_cmp_ne_u32_e32 vcc, 0, v0
	s_waitcnt vmcnt(0)
	ds_write_b64 v48, v[45:46]
	s_waitcnt lgkmcnt(0)
	; wave barrier
	s_and_saveexec_b64 s[4:5], vcc
	s_cbranch_execz .LBB21_206
; %bb.197:
	s_andn2_b64 vcc, exec, s[10:11]
	s_cbranch_vccnz .LBB21_199
; %bb.198:
	buffer_load_dword v45, v49, s[0:3], 0 offen
	buffer_load_dword v46, v49, s[0:3], 0 offen offset:4
	ds_read_b64 v[50:51], v48
	s_waitcnt vmcnt(0) lgkmcnt(0)
	v_mul_f64 v[45:46], v[45:46], v[50:51]
	s_cbranch_execz .LBB21_200
	s_branch .LBB21_201
.LBB21_199:
                                        ; implicit-def: $vgpr45_vgpr46
.LBB21_200:
	ds_read_b64 v[45:46], v48
.LBB21_201:
	s_and_saveexec_b64 s[8:9], s[6:7]
	s_cbranch_execz .LBB21_205
; %bb.202:
	v_add_u32_e32 v50, -1, v0
	s_movk_i32 s12, 0xb8
	s_mov_b64 s[6:7], 0
.LBB21_203:                             ; =>This Inner Loop Header: Depth=1
	v_mov_b32_e32 v53, s14
	buffer_load_dword v51, v53, s[0:3], 0 offen
	buffer_load_dword v52, v53, s[0:3], 0 offen offset:4
	v_mov_b32_e32 v53, s12
	ds_read_b64 v[53:54], v53
	v_add_u32_e32 v50, -1, v50
	s_add_i32 s12, s12, 8
	s_add_i32 s14, s14, 8
	v_cmp_eq_u32_e32 vcc, 0, v50
	s_or_b64 s[6:7], vcc, s[6:7]
	s_waitcnt vmcnt(0) lgkmcnt(0)
	v_fma_f64 v[45:46], v[51:52], v[53:54], v[45:46]
	s_andn2_b64 exec, exec, s[6:7]
	s_cbranch_execnz .LBB21_203
; %bb.204:
	s_or_b64 exec, exec, s[6:7]
.LBB21_205:
	s_or_b64 exec, exec, s[8:9]
	v_mov_b32_e32 v50, 0
	ds_read_b64 v[50:51], v50
	s_waitcnt lgkmcnt(0)
	v_mul_f64 v[45:46], v[45:46], v[50:51]
	buffer_store_dword v46, off, s[0:3], 0 offset:4
	buffer_store_dword v45, off, s[0:3], 0
.LBB21_206:
	s_or_b64 exec, exec, s[4:5]
	s_mov_b64 s[4:5], 0
.LBB21_207:
	s_and_b64 vcc, exec, s[4:5]
	s_cbranch_vccz .LBB21_409
; %bb.208:
	buffer_load_dword v45, off, s[0:3], 0 offset:8
	buffer_load_dword v46, off, s[0:3], 0 offset:12
	v_cmp_eq_u32_e64 s[6:7], 0, v0
	s_waitcnt vmcnt(0)
	ds_write_b64 v48, v[45:46]
	s_waitcnt lgkmcnt(0)
	; wave barrier
	s_and_saveexec_b64 s[4:5], s[6:7]
	s_cbranch_execz .LBB21_214
; %bb.209:
	s_and_b64 vcc, exec, s[10:11]
	s_cbranch_vccz .LBB21_211
; %bb.210:
	buffer_load_dword v45, v49, s[0:3], 0 offen
	buffer_load_dword v46, v49, s[0:3], 0 offen offset:4
	ds_read_b64 v[50:51], v48
	s_waitcnt vmcnt(0) lgkmcnt(0)
	v_mul_f64 v[45:46], v[45:46], v[50:51]
	s_cbranch_execz .LBB21_212
	s_branch .LBB21_213
.LBB21_211:
                                        ; implicit-def: $vgpr45_vgpr46
.LBB21_212:
	ds_read_b64 v[45:46], v48
.LBB21_213:
	v_mov_b32_e32 v50, 0
	ds_read_b64 v[50:51], v50 offset:8
	s_waitcnt lgkmcnt(0)
	v_mul_f64 v[45:46], v[45:46], v[50:51]
	buffer_store_dword v46, off, s[0:3], 0 offset:12
	buffer_store_dword v45, off, s[0:3], 0 offset:8
.LBB21_214:
	s_or_b64 exec, exec, s[4:5]
	buffer_load_dword v45, off, s[0:3], 0 offset:16
	buffer_load_dword v46, off, s[0:3], 0 offset:20
	v_cndmask_b32_e64 v50, 0, 1, s[10:11]
	v_cmp_gt_u32_e32 vcc, 2, v0
	v_cmp_ne_u32_e64 s[4:5], 1, v50
	s_waitcnt vmcnt(0)
	ds_write_b64 v48, v[45:46]
	s_waitcnt lgkmcnt(0)
	; wave barrier
	s_and_saveexec_b64 s[8:9], vcc
	s_cbranch_execz .LBB21_220
; %bb.215:
	s_and_b64 vcc, exec, s[4:5]
	s_cbranch_vccnz .LBB21_217
; %bb.216:
	buffer_load_dword v45, v49, s[0:3], 0 offen
	buffer_load_dword v46, v49, s[0:3], 0 offen offset:4
	ds_read_b64 v[50:51], v48
	s_waitcnt vmcnt(0) lgkmcnt(0)
	v_mul_f64 v[45:46], v[45:46], v[50:51]
	s_cbranch_execz .LBB21_218
	s_branch .LBB21_219
.LBB21_217:
                                        ; implicit-def: $vgpr45_vgpr46
.LBB21_218:
	ds_read_b64 v[45:46], v48
.LBB21_219:
	buffer_load_dword v54, off, s[0:3], 0 offset:8
	buffer_load_dword v55, off, s[0:3], 0 offset:12
	v_mov_b32_e32 v50, 0
	ds_read2_b64 v[50:53], v50 offset0:2 offset1:23
	s_waitcnt vmcnt(0) lgkmcnt(0)
	v_fma_f64 v[52:53], v[54:55], v[52:53], v[45:46]
	v_cndmask_b32_e64 v46, v46, v53, s[6:7]
	v_cndmask_b32_e64 v45, v45, v52, s[6:7]
	v_mul_f64 v[45:46], v[45:46], v[50:51]
	buffer_store_dword v46, off, s[0:3], 0 offset:20
	buffer_store_dword v45, off, s[0:3], 0 offset:16
.LBB21_220:
	s_or_b64 exec, exec, s[8:9]
	buffer_load_dword v45, off, s[0:3], 0 offset:24
	buffer_load_dword v46, off, s[0:3], 0 offset:28
	v_cmp_gt_u32_e32 vcc, 3, v0
	s_waitcnt vmcnt(0)
	ds_write_b64 v48, v[45:46]
	s_waitcnt lgkmcnt(0)
	; wave barrier
	s_and_saveexec_b64 s[8:9], vcc
	s_cbranch_execz .LBB21_228
; %bb.221:
	s_and_b64 vcc, exec, s[4:5]
	s_cbranch_vccnz .LBB21_223
; %bb.222:
	buffer_load_dword v45, v49, s[0:3], 0 offen
	buffer_load_dword v46, v49, s[0:3], 0 offen offset:4
	ds_read_b64 v[50:51], v48
	s_waitcnt vmcnt(0) lgkmcnt(0)
	v_mul_f64 v[45:46], v[45:46], v[50:51]
	s_cbranch_execz .LBB21_224
	s_branch .LBB21_225
.LBB21_223:
                                        ; implicit-def: $vgpr45_vgpr46
.LBB21_224:
	ds_read_b64 v[45:46], v48
.LBB21_225:
	v_cmp_ne_u32_e32 vcc, 2, v0
	s_and_saveexec_b64 s[10:11], vcc
	s_cbranch_execz .LBB21_227
; %bb.226:
	buffer_load_dword v50, v49, s[0:3], 0 offen offset:8
	buffer_load_dword v51, v49, s[0:3], 0 offen offset:12
	buffer_load_dword v52, off, s[0:3], 0 offset:16
	buffer_load_dword v53, off, s[0:3], 0 offset:20
	ds_read_b64 v[54:55], v48 offset:8
	v_mov_b32_e32 v56, 0
	ds_read_b64 v[56:57], v56 offset:192
	s_waitcnt vmcnt(2) lgkmcnt(1)
	v_fma_f64 v[45:46], v[50:51], v[54:55], v[45:46]
	s_waitcnt vmcnt(0) lgkmcnt(0)
	v_fma_f64 v[50:51], v[52:53], v[56:57], v[45:46]
	v_cndmask_b32_e64 v46, v46, v51, s[6:7]
	v_cndmask_b32_e64 v45, v45, v50, s[6:7]
.LBB21_227:
	s_or_b64 exec, exec, s[10:11]
	v_mov_b32_e32 v50, 0
	ds_read_b64 v[50:51], v50 offset:24
	s_waitcnt lgkmcnt(0)
	v_mul_f64 v[45:46], v[45:46], v[50:51]
	buffer_store_dword v46, off, s[0:3], 0 offset:28
	buffer_store_dword v45, off, s[0:3], 0 offset:24
.LBB21_228:
	s_or_b64 exec, exec, s[8:9]
	buffer_load_dword v45, off, s[0:3], 0 offset:32
	buffer_load_dword v46, off, s[0:3], 0 offset:36
	v_cmp_gt_u32_e32 vcc, 4, v0
	s_waitcnt vmcnt(0)
	ds_write_b64 v48, v[45:46]
	s_waitcnt lgkmcnt(0)
	; wave barrier
	s_and_saveexec_b64 s[6:7], vcc
	s_cbranch_execz .LBB21_238
; %bb.229:
	s_and_b64 vcc, exec, s[4:5]
	s_cbranch_vccnz .LBB21_231
; %bb.230:
	buffer_load_dword v45, v49, s[0:3], 0 offen
	buffer_load_dword v46, v49, s[0:3], 0 offen offset:4
	ds_read_b64 v[50:51], v48
	s_waitcnt vmcnt(0) lgkmcnt(0)
	v_mul_f64 v[45:46], v[45:46], v[50:51]
	s_cbranch_execz .LBB21_232
	s_branch .LBB21_233
.LBB21_231:
                                        ; implicit-def: $vgpr45_vgpr46
.LBB21_232:
	ds_read_b64 v[45:46], v48
.LBB21_233:
	v_cmp_ne_u32_e32 vcc, 3, v0
	s_and_saveexec_b64 s[8:9], vcc
	s_cbranch_execz .LBB21_237
; %bb.234:
	s_mov_b32 s10, 0
	v_add_u32_e32 v50, 0xb8, v47
	v_add3_u32 v51, v47, s10, 8
	s_mov_b64 s[10:11], 0
	v_mov_b32_e32 v52, v0
.LBB21_235:                             ; =>This Inner Loop Header: Depth=1
	buffer_load_dword v53, v51, s[0:3], 0 offen
	buffer_load_dword v54, v51, s[0:3], 0 offen offset:4
	ds_read_b64 v[55:56], v50
	v_add_u32_e32 v52, 1, v52
	v_cmp_lt_u32_e32 vcc, 2, v52
	v_add_u32_e32 v50, 8, v50
	s_or_b64 s[10:11], vcc, s[10:11]
	v_add_u32_e32 v51, 8, v51
	s_waitcnt vmcnt(0) lgkmcnt(0)
	v_fma_f64 v[45:46], v[53:54], v[55:56], v[45:46]
	s_andn2_b64 exec, exec, s[10:11]
	s_cbranch_execnz .LBB21_235
; %bb.236:
	s_or_b64 exec, exec, s[10:11]
.LBB21_237:
	s_or_b64 exec, exec, s[8:9]
	v_mov_b32_e32 v50, 0
	ds_read_b64 v[50:51], v50 offset:32
	s_waitcnt lgkmcnt(0)
	v_mul_f64 v[45:46], v[45:46], v[50:51]
	buffer_store_dword v46, off, s[0:3], 0 offset:36
	buffer_store_dword v45, off, s[0:3], 0 offset:32
.LBB21_238:
	s_or_b64 exec, exec, s[6:7]
	buffer_load_dword v45, off, s[0:3], 0 offset:40
	buffer_load_dword v46, off, s[0:3], 0 offset:44
	v_cmp_gt_u32_e32 vcc, 5, v0
	s_waitcnt vmcnt(0)
	ds_write_b64 v48, v[45:46]
	s_waitcnt lgkmcnt(0)
	; wave barrier
	s_and_saveexec_b64 s[6:7], vcc
	s_cbranch_execz .LBB21_248
; %bb.239:
	s_and_b64 vcc, exec, s[4:5]
	s_cbranch_vccnz .LBB21_241
; %bb.240:
	buffer_load_dword v45, v49, s[0:3], 0 offen
	buffer_load_dword v46, v49, s[0:3], 0 offen offset:4
	ds_read_b64 v[50:51], v48
	s_waitcnt vmcnt(0) lgkmcnt(0)
	v_mul_f64 v[45:46], v[45:46], v[50:51]
	s_cbranch_execz .LBB21_242
	s_branch .LBB21_243
.LBB21_241:
                                        ; implicit-def: $vgpr45_vgpr46
.LBB21_242:
	ds_read_b64 v[45:46], v48
.LBB21_243:
	v_cmp_ne_u32_e32 vcc, 4, v0
	s_and_saveexec_b64 s[8:9], vcc
	s_cbranch_execz .LBB21_247
; %bb.244:
	s_mov_b32 s10, 0
	v_add_u32_e32 v50, 0xb8, v47
	v_add3_u32 v51, v47, s10, 8
	s_mov_b64 s[10:11], 0
	v_mov_b32_e32 v52, v0
.LBB21_245:                             ; =>This Inner Loop Header: Depth=1
	buffer_load_dword v53, v51, s[0:3], 0 offen
	buffer_load_dword v54, v51, s[0:3], 0 offen offset:4
	ds_read_b64 v[55:56], v50
	v_add_u32_e32 v52, 1, v52
	v_cmp_lt_u32_e32 vcc, 3, v52
	v_add_u32_e32 v50, 8, v50
	s_or_b64 s[10:11], vcc, s[10:11]
	v_add_u32_e32 v51, 8, v51
	s_waitcnt vmcnt(0) lgkmcnt(0)
	v_fma_f64 v[45:46], v[53:54], v[55:56], v[45:46]
	s_andn2_b64 exec, exec, s[10:11]
	s_cbranch_execnz .LBB21_245
; %bb.246:
	s_or_b64 exec, exec, s[10:11]
.LBB21_247:
	s_or_b64 exec, exec, s[8:9]
	v_mov_b32_e32 v50, 0
	ds_read_b64 v[50:51], v50 offset:40
	s_waitcnt lgkmcnt(0)
	v_mul_f64 v[45:46], v[45:46], v[50:51]
	buffer_store_dword v46, off, s[0:3], 0 offset:44
	buffer_store_dword v45, off, s[0:3], 0 offset:40
.LBB21_248:
	s_or_b64 exec, exec, s[6:7]
	buffer_load_dword v45, off, s[0:3], 0 offset:48
	buffer_load_dword v46, off, s[0:3], 0 offset:52
	v_cmp_gt_u32_e32 vcc, 6, v0
	s_waitcnt vmcnt(0)
	ds_write_b64 v48, v[45:46]
	s_waitcnt lgkmcnt(0)
	; wave barrier
	s_and_saveexec_b64 s[6:7], vcc
	s_cbranch_execz .LBB21_258
; %bb.249:
	s_and_b64 vcc, exec, s[4:5]
	s_cbranch_vccnz .LBB21_251
; %bb.250:
	buffer_load_dword v45, v49, s[0:3], 0 offen
	buffer_load_dword v46, v49, s[0:3], 0 offen offset:4
	ds_read_b64 v[50:51], v48
	s_waitcnt vmcnt(0) lgkmcnt(0)
	v_mul_f64 v[45:46], v[45:46], v[50:51]
	s_cbranch_execz .LBB21_252
	s_branch .LBB21_253
.LBB21_251:
                                        ; implicit-def: $vgpr45_vgpr46
.LBB21_252:
	ds_read_b64 v[45:46], v48
.LBB21_253:
	v_cmp_ne_u32_e32 vcc, 5, v0
	s_and_saveexec_b64 s[8:9], vcc
	s_cbranch_execz .LBB21_257
; %bb.254:
	s_mov_b32 s10, 0
	v_add_u32_e32 v50, 0xb8, v47
	v_add3_u32 v51, v47, s10, 8
	s_mov_b64 s[10:11], 0
	v_mov_b32_e32 v52, v0
.LBB21_255:                             ; =>This Inner Loop Header: Depth=1
	buffer_load_dword v53, v51, s[0:3], 0 offen
	buffer_load_dword v54, v51, s[0:3], 0 offen offset:4
	ds_read_b64 v[55:56], v50
	v_add_u32_e32 v52, 1, v52
	v_cmp_lt_u32_e32 vcc, 4, v52
	v_add_u32_e32 v50, 8, v50
	s_or_b64 s[10:11], vcc, s[10:11]
	v_add_u32_e32 v51, 8, v51
	s_waitcnt vmcnt(0) lgkmcnt(0)
	v_fma_f64 v[45:46], v[53:54], v[55:56], v[45:46]
	s_andn2_b64 exec, exec, s[10:11]
	s_cbranch_execnz .LBB21_255
; %bb.256:
	s_or_b64 exec, exec, s[10:11]
.LBB21_257:
	s_or_b64 exec, exec, s[8:9]
	v_mov_b32_e32 v50, 0
	ds_read_b64 v[50:51], v50 offset:48
	s_waitcnt lgkmcnt(0)
	v_mul_f64 v[45:46], v[45:46], v[50:51]
	buffer_store_dword v46, off, s[0:3], 0 offset:52
	buffer_store_dword v45, off, s[0:3], 0 offset:48
.LBB21_258:
	s_or_b64 exec, exec, s[6:7]
	buffer_load_dword v45, off, s[0:3], 0 offset:56
	buffer_load_dword v46, off, s[0:3], 0 offset:60
	v_cmp_gt_u32_e32 vcc, 7, v0
	s_waitcnt vmcnt(0)
	ds_write_b64 v48, v[45:46]
	s_waitcnt lgkmcnt(0)
	; wave barrier
	s_and_saveexec_b64 s[6:7], vcc
	s_cbranch_execz .LBB21_268
; %bb.259:
	s_and_b64 vcc, exec, s[4:5]
	s_cbranch_vccnz .LBB21_261
; %bb.260:
	buffer_load_dword v45, v49, s[0:3], 0 offen
	buffer_load_dword v46, v49, s[0:3], 0 offen offset:4
	ds_read_b64 v[50:51], v48
	s_waitcnt vmcnt(0) lgkmcnt(0)
	v_mul_f64 v[45:46], v[45:46], v[50:51]
	s_cbranch_execz .LBB21_262
	s_branch .LBB21_263
.LBB21_261:
                                        ; implicit-def: $vgpr45_vgpr46
.LBB21_262:
	ds_read_b64 v[45:46], v48
.LBB21_263:
	v_cmp_ne_u32_e32 vcc, 6, v0
	s_and_saveexec_b64 s[8:9], vcc
	s_cbranch_execz .LBB21_267
; %bb.264:
	s_mov_b32 s10, 0
	v_add_u32_e32 v50, 0xb8, v47
	v_add3_u32 v51, v47, s10, 8
	s_mov_b64 s[10:11], 0
	v_mov_b32_e32 v52, v0
.LBB21_265:                             ; =>This Inner Loop Header: Depth=1
	buffer_load_dword v53, v51, s[0:3], 0 offen
	buffer_load_dword v54, v51, s[0:3], 0 offen offset:4
	ds_read_b64 v[55:56], v50
	v_add_u32_e32 v52, 1, v52
	v_cmp_lt_u32_e32 vcc, 5, v52
	v_add_u32_e32 v50, 8, v50
	s_or_b64 s[10:11], vcc, s[10:11]
	v_add_u32_e32 v51, 8, v51
	s_waitcnt vmcnt(0) lgkmcnt(0)
	v_fma_f64 v[45:46], v[53:54], v[55:56], v[45:46]
	s_andn2_b64 exec, exec, s[10:11]
	s_cbranch_execnz .LBB21_265
; %bb.266:
	s_or_b64 exec, exec, s[10:11]
.LBB21_267:
	s_or_b64 exec, exec, s[8:9]
	v_mov_b32_e32 v50, 0
	ds_read_b64 v[50:51], v50 offset:56
	s_waitcnt lgkmcnt(0)
	v_mul_f64 v[45:46], v[45:46], v[50:51]
	buffer_store_dword v46, off, s[0:3], 0 offset:60
	buffer_store_dword v45, off, s[0:3], 0 offset:56
.LBB21_268:
	s_or_b64 exec, exec, s[6:7]
	buffer_load_dword v45, off, s[0:3], 0 offset:64
	buffer_load_dword v46, off, s[0:3], 0 offset:68
	v_cmp_gt_u32_e32 vcc, 8, v0
	s_waitcnt vmcnt(0)
	ds_write_b64 v48, v[45:46]
	s_waitcnt lgkmcnt(0)
	; wave barrier
	s_and_saveexec_b64 s[6:7], vcc
	s_cbranch_execz .LBB21_278
; %bb.269:
	s_and_b64 vcc, exec, s[4:5]
	s_cbranch_vccnz .LBB21_271
; %bb.270:
	buffer_load_dword v45, v49, s[0:3], 0 offen
	buffer_load_dword v46, v49, s[0:3], 0 offen offset:4
	ds_read_b64 v[50:51], v48
	s_waitcnt vmcnt(0) lgkmcnt(0)
	v_mul_f64 v[45:46], v[45:46], v[50:51]
	s_cbranch_execz .LBB21_272
	s_branch .LBB21_273
.LBB21_271:
                                        ; implicit-def: $vgpr45_vgpr46
.LBB21_272:
	ds_read_b64 v[45:46], v48
.LBB21_273:
	v_cmp_ne_u32_e32 vcc, 7, v0
	s_and_saveexec_b64 s[8:9], vcc
	s_cbranch_execz .LBB21_277
; %bb.274:
	s_mov_b32 s10, 0
	v_add_u32_e32 v50, 0xb8, v47
	v_add3_u32 v51, v47, s10, 8
	s_mov_b64 s[10:11], 0
	v_mov_b32_e32 v52, v0
.LBB21_275:                             ; =>This Inner Loop Header: Depth=1
	buffer_load_dword v53, v51, s[0:3], 0 offen
	buffer_load_dword v54, v51, s[0:3], 0 offen offset:4
	ds_read_b64 v[55:56], v50
	v_add_u32_e32 v52, 1, v52
	v_cmp_lt_u32_e32 vcc, 6, v52
	v_add_u32_e32 v50, 8, v50
	s_or_b64 s[10:11], vcc, s[10:11]
	v_add_u32_e32 v51, 8, v51
	s_waitcnt vmcnt(0) lgkmcnt(0)
	v_fma_f64 v[45:46], v[53:54], v[55:56], v[45:46]
	s_andn2_b64 exec, exec, s[10:11]
	s_cbranch_execnz .LBB21_275
; %bb.276:
	s_or_b64 exec, exec, s[10:11]
.LBB21_277:
	s_or_b64 exec, exec, s[8:9]
	v_mov_b32_e32 v50, 0
	ds_read_b64 v[50:51], v50 offset:64
	s_waitcnt lgkmcnt(0)
	v_mul_f64 v[45:46], v[45:46], v[50:51]
	buffer_store_dword v46, off, s[0:3], 0 offset:68
	buffer_store_dword v45, off, s[0:3], 0 offset:64
.LBB21_278:
	s_or_b64 exec, exec, s[6:7]
	buffer_load_dword v45, off, s[0:3], 0 offset:72
	buffer_load_dword v46, off, s[0:3], 0 offset:76
	v_cmp_gt_u32_e32 vcc, 9, v0
	s_waitcnt vmcnt(0)
	ds_write_b64 v48, v[45:46]
	s_waitcnt lgkmcnt(0)
	; wave barrier
	s_and_saveexec_b64 s[6:7], vcc
	s_cbranch_execz .LBB21_288
; %bb.279:
	s_and_b64 vcc, exec, s[4:5]
	s_cbranch_vccnz .LBB21_281
; %bb.280:
	buffer_load_dword v45, v49, s[0:3], 0 offen
	buffer_load_dword v46, v49, s[0:3], 0 offen offset:4
	ds_read_b64 v[50:51], v48
	s_waitcnt vmcnt(0) lgkmcnt(0)
	v_mul_f64 v[45:46], v[45:46], v[50:51]
	s_cbranch_execz .LBB21_282
	s_branch .LBB21_283
.LBB21_281:
                                        ; implicit-def: $vgpr45_vgpr46
.LBB21_282:
	ds_read_b64 v[45:46], v48
.LBB21_283:
	v_cmp_ne_u32_e32 vcc, 8, v0
	s_and_saveexec_b64 s[8:9], vcc
	s_cbranch_execz .LBB21_287
; %bb.284:
	s_mov_b32 s10, 0
	v_add_u32_e32 v50, 0xb8, v47
	v_add3_u32 v51, v47, s10, 8
	s_mov_b64 s[10:11], 0
	v_mov_b32_e32 v52, v0
.LBB21_285:                             ; =>This Inner Loop Header: Depth=1
	buffer_load_dword v53, v51, s[0:3], 0 offen
	buffer_load_dword v54, v51, s[0:3], 0 offen offset:4
	ds_read_b64 v[55:56], v50
	v_add_u32_e32 v52, 1, v52
	v_cmp_lt_u32_e32 vcc, 7, v52
	v_add_u32_e32 v50, 8, v50
	s_or_b64 s[10:11], vcc, s[10:11]
	v_add_u32_e32 v51, 8, v51
	s_waitcnt vmcnt(0) lgkmcnt(0)
	v_fma_f64 v[45:46], v[53:54], v[55:56], v[45:46]
	s_andn2_b64 exec, exec, s[10:11]
	s_cbranch_execnz .LBB21_285
; %bb.286:
	s_or_b64 exec, exec, s[10:11]
.LBB21_287:
	s_or_b64 exec, exec, s[8:9]
	v_mov_b32_e32 v50, 0
	ds_read_b64 v[50:51], v50 offset:72
	s_waitcnt lgkmcnt(0)
	v_mul_f64 v[45:46], v[45:46], v[50:51]
	buffer_store_dword v46, off, s[0:3], 0 offset:76
	buffer_store_dword v45, off, s[0:3], 0 offset:72
.LBB21_288:
	s_or_b64 exec, exec, s[6:7]
	buffer_load_dword v45, off, s[0:3], 0 offset:80
	buffer_load_dword v46, off, s[0:3], 0 offset:84
	v_cmp_gt_u32_e32 vcc, 10, v0
	s_waitcnt vmcnt(0)
	ds_write_b64 v48, v[45:46]
	s_waitcnt lgkmcnt(0)
	; wave barrier
	s_and_saveexec_b64 s[6:7], vcc
	s_cbranch_execz .LBB21_298
; %bb.289:
	s_and_b64 vcc, exec, s[4:5]
	s_cbranch_vccnz .LBB21_291
; %bb.290:
	buffer_load_dword v45, v49, s[0:3], 0 offen
	buffer_load_dword v46, v49, s[0:3], 0 offen offset:4
	ds_read_b64 v[50:51], v48
	s_waitcnt vmcnt(0) lgkmcnt(0)
	v_mul_f64 v[45:46], v[45:46], v[50:51]
	s_cbranch_execz .LBB21_292
	s_branch .LBB21_293
.LBB21_291:
                                        ; implicit-def: $vgpr45_vgpr46
.LBB21_292:
	ds_read_b64 v[45:46], v48
.LBB21_293:
	v_cmp_ne_u32_e32 vcc, 9, v0
	s_and_saveexec_b64 s[8:9], vcc
	s_cbranch_execz .LBB21_297
; %bb.294:
	s_mov_b32 s10, 0
	v_add_u32_e32 v50, 0xb8, v47
	v_add3_u32 v51, v47, s10, 8
	s_mov_b64 s[10:11], 0
	v_mov_b32_e32 v52, v0
.LBB21_295:                             ; =>This Inner Loop Header: Depth=1
	buffer_load_dword v53, v51, s[0:3], 0 offen
	buffer_load_dword v54, v51, s[0:3], 0 offen offset:4
	ds_read_b64 v[55:56], v50
	v_add_u32_e32 v52, 1, v52
	v_cmp_lt_u32_e32 vcc, 8, v52
	v_add_u32_e32 v50, 8, v50
	s_or_b64 s[10:11], vcc, s[10:11]
	v_add_u32_e32 v51, 8, v51
	s_waitcnt vmcnt(0) lgkmcnt(0)
	v_fma_f64 v[45:46], v[53:54], v[55:56], v[45:46]
	s_andn2_b64 exec, exec, s[10:11]
	s_cbranch_execnz .LBB21_295
; %bb.296:
	s_or_b64 exec, exec, s[10:11]
.LBB21_297:
	s_or_b64 exec, exec, s[8:9]
	v_mov_b32_e32 v50, 0
	ds_read_b64 v[50:51], v50 offset:80
	s_waitcnt lgkmcnt(0)
	v_mul_f64 v[45:46], v[45:46], v[50:51]
	buffer_store_dword v46, off, s[0:3], 0 offset:84
	buffer_store_dword v45, off, s[0:3], 0 offset:80
.LBB21_298:
	s_or_b64 exec, exec, s[6:7]
	buffer_load_dword v45, off, s[0:3], 0 offset:88
	buffer_load_dword v46, off, s[0:3], 0 offset:92
	v_cmp_gt_u32_e32 vcc, 11, v0
	s_waitcnt vmcnt(0)
	ds_write_b64 v48, v[45:46]
	s_waitcnt lgkmcnt(0)
	; wave barrier
	s_and_saveexec_b64 s[6:7], vcc
	s_cbranch_execz .LBB21_308
; %bb.299:
	s_and_b64 vcc, exec, s[4:5]
	s_cbranch_vccnz .LBB21_301
; %bb.300:
	buffer_load_dword v45, v49, s[0:3], 0 offen
	buffer_load_dword v46, v49, s[0:3], 0 offen offset:4
	ds_read_b64 v[50:51], v48
	s_waitcnt vmcnt(0) lgkmcnt(0)
	v_mul_f64 v[45:46], v[45:46], v[50:51]
	s_cbranch_execz .LBB21_302
	s_branch .LBB21_303
.LBB21_301:
                                        ; implicit-def: $vgpr45_vgpr46
.LBB21_302:
	ds_read_b64 v[45:46], v48
.LBB21_303:
	v_cmp_ne_u32_e32 vcc, 10, v0
	s_and_saveexec_b64 s[8:9], vcc
	s_cbranch_execz .LBB21_307
; %bb.304:
	s_mov_b32 s10, 0
	v_add_u32_e32 v50, 0xb8, v47
	v_add3_u32 v51, v47, s10, 8
	s_mov_b64 s[10:11], 0
	v_mov_b32_e32 v52, v0
.LBB21_305:                             ; =>This Inner Loop Header: Depth=1
	buffer_load_dword v53, v51, s[0:3], 0 offen
	buffer_load_dword v54, v51, s[0:3], 0 offen offset:4
	ds_read_b64 v[55:56], v50
	v_add_u32_e32 v52, 1, v52
	v_cmp_lt_u32_e32 vcc, 9, v52
	v_add_u32_e32 v50, 8, v50
	s_or_b64 s[10:11], vcc, s[10:11]
	v_add_u32_e32 v51, 8, v51
	s_waitcnt vmcnt(0) lgkmcnt(0)
	v_fma_f64 v[45:46], v[53:54], v[55:56], v[45:46]
	s_andn2_b64 exec, exec, s[10:11]
	s_cbranch_execnz .LBB21_305
; %bb.306:
	s_or_b64 exec, exec, s[10:11]
.LBB21_307:
	s_or_b64 exec, exec, s[8:9]
	v_mov_b32_e32 v50, 0
	ds_read_b64 v[50:51], v50 offset:88
	s_waitcnt lgkmcnt(0)
	v_mul_f64 v[45:46], v[45:46], v[50:51]
	buffer_store_dword v46, off, s[0:3], 0 offset:92
	buffer_store_dword v45, off, s[0:3], 0 offset:88
.LBB21_308:
	s_or_b64 exec, exec, s[6:7]
	buffer_load_dword v45, off, s[0:3], 0 offset:96
	buffer_load_dword v46, off, s[0:3], 0 offset:100
	v_cmp_gt_u32_e32 vcc, 12, v0
	s_waitcnt vmcnt(0)
	ds_write_b64 v48, v[45:46]
	s_waitcnt lgkmcnt(0)
	; wave barrier
	s_and_saveexec_b64 s[6:7], vcc
	s_cbranch_execz .LBB21_318
; %bb.309:
	s_and_b64 vcc, exec, s[4:5]
	s_cbranch_vccnz .LBB21_311
; %bb.310:
	buffer_load_dword v45, v49, s[0:3], 0 offen
	buffer_load_dword v46, v49, s[0:3], 0 offen offset:4
	ds_read_b64 v[50:51], v48
	s_waitcnt vmcnt(0) lgkmcnt(0)
	v_mul_f64 v[45:46], v[45:46], v[50:51]
	s_cbranch_execz .LBB21_312
	s_branch .LBB21_313
.LBB21_311:
                                        ; implicit-def: $vgpr45_vgpr46
.LBB21_312:
	ds_read_b64 v[45:46], v48
.LBB21_313:
	v_cmp_ne_u32_e32 vcc, 11, v0
	s_and_saveexec_b64 s[8:9], vcc
	s_cbranch_execz .LBB21_317
; %bb.314:
	s_mov_b32 s10, 0
	v_add_u32_e32 v50, 0xb8, v47
	v_add3_u32 v51, v47, s10, 8
	s_mov_b64 s[10:11], 0
	v_mov_b32_e32 v52, v0
.LBB21_315:                             ; =>This Inner Loop Header: Depth=1
	buffer_load_dword v53, v51, s[0:3], 0 offen
	buffer_load_dword v54, v51, s[0:3], 0 offen offset:4
	ds_read_b64 v[55:56], v50
	v_add_u32_e32 v52, 1, v52
	v_cmp_lt_u32_e32 vcc, 10, v52
	v_add_u32_e32 v50, 8, v50
	s_or_b64 s[10:11], vcc, s[10:11]
	v_add_u32_e32 v51, 8, v51
	s_waitcnt vmcnt(0) lgkmcnt(0)
	v_fma_f64 v[45:46], v[53:54], v[55:56], v[45:46]
	s_andn2_b64 exec, exec, s[10:11]
	s_cbranch_execnz .LBB21_315
; %bb.316:
	s_or_b64 exec, exec, s[10:11]
.LBB21_317:
	s_or_b64 exec, exec, s[8:9]
	v_mov_b32_e32 v50, 0
	ds_read_b64 v[50:51], v50 offset:96
	s_waitcnt lgkmcnt(0)
	v_mul_f64 v[45:46], v[45:46], v[50:51]
	buffer_store_dword v46, off, s[0:3], 0 offset:100
	buffer_store_dword v45, off, s[0:3], 0 offset:96
.LBB21_318:
	s_or_b64 exec, exec, s[6:7]
	buffer_load_dword v45, off, s[0:3], 0 offset:104
	buffer_load_dword v46, off, s[0:3], 0 offset:108
	v_cmp_gt_u32_e32 vcc, 13, v0
	s_waitcnt vmcnt(0)
	ds_write_b64 v48, v[45:46]
	s_waitcnt lgkmcnt(0)
	; wave barrier
	s_and_saveexec_b64 s[6:7], vcc
	s_cbranch_execz .LBB21_328
; %bb.319:
	s_and_b64 vcc, exec, s[4:5]
	s_cbranch_vccnz .LBB21_321
; %bb.320:
	buffer_load_dword v45, v49, s[0:3], 0 offen
	buffer_load_dword v46, v49, s[0:3], 0 offen offset:4
	ds_read_b64 v[50:51], v48
	s_waitcnt vmcnt(0) lgkmcnt(0)
	v_mul_f64 v[45:46], v[45:46], v[50:51]
	s_cbranch_execz .LBB21_322
	s_branch .LBB21_323
.LBB21_321:
                                        ; implicit-def: $vgpr45_vgpr46
.LBB21_322:
	ds_read_b64 v[45:46], v48
.LBB21_323:
	v_cmp_ne_u32_e32 vcc, 12, v0
	s_and_saveexec_b64 s[8:9], vcc
	s_cbranch_execz .LBB21_327
; %bb.324:
	s_mov_b32 s10, 0
	v_add_u32_e32 v50, 0xb8, v47
	v_add3_u32 v51, v47, s10, 8
	s_mov_b64 s[10:11], 0
	v_mov_b32_e32 v52, v0
.LBB21_325:                             ; =>This Inner Loop Header: Depth=1
	buffer_load_dword v53, v51, s[0:3], 0 offen
	buffer_load_dword v54, v51, s[0:3], 0 offen offset:4
	ds_read_b64 v[55:56], v50
	v_add_u32_e32 v52, 1, v52
	v_cmp_lt_u32_e32 vcc, 11, v52
	v_add_u32_e32 v50, 8, v50
	s_or_b64 s[10:11], vcc, s[10:11]
	v_add_u32_e32 v51, 8, v51
	s_waitcnt vmcnt(0) lgkmcnt(0)
	v_fma_f64 v[45:46], v[53:54], v[55:56], v[45:46]
	s_andn2_b64 exec, exec, s[10:11]
	s_cbranch_execnz .LBB21_325
; %bb.326:
	s_or_b64 exec, exec, s[10:11]
.LBB21_327:
	s_or_b64 exec, exec, s[8:9]
	v_mov_b32_e32 v50, 0
	ds_read_b64 v[50:51], v50 offset:104
	s_waitcnt lgkmcnt(0)
	v_mul_f64 v[45:46], v[45:46], v[50:51]
	buffer_store_dword v46, off, s[0:3], 0 offset:108
	buffer_store_dword v45, off, s[0:3], 0 offset:104
.LBB21_328:
	s_or_b64 exec, exec, s[6:7]
	buffer_load_dword v45, off, s[0:3], 0 offset:112
	buffer_load_dword v46, off, s[0:3], 0 offset:116
	v_cmp_gt_u32_e32 vcc, 14, v0
	s_waitcnt vmcnt(0)
	ds_write_b64 v48, v[45:46]
	s_waitcnt lgkmcnt(0)
	; wave barrier
	s_and_saveexec_b64 s[6:7], vcc
	s_cbranch_execz .LBB21_338
; %bb.329:
	s_and_b64 vcc, exec, s[4:5]
	s_cbranch_vccnz .LBB21_331
; %bb.330:
	buffer_load_dword v45, v49, s[0:3], 0 offen
	buffer_load_dword v46, v49, s[0:3], 0 offen offset:4
	ds_read_b64 v[50:51], v48
	s_waitcnt vmcnt(0) lgkmcnt(0)
	v_mul_f64 v[45:46], v[45:46], v[50:51]
	s_cbranch_execz .LBB21_332
	s_branch .LBB21_333
.LBB21_331:
                                        ; implicit-def: $vgpr45_vgpr46
.LBB21_332:
	ds_read_b64 v[45:46], v48
.LBB21_333:
	v_cmp_ne_u32_e32 vcc, 13, v0
	s_and_saveexec_b64 s[8:9], vcc
	s_cbranch_execz .LBB21_337
; %bb.334:
	s_mov_b32 s10, 0
	v_add_u32_e32 v50, 0xb8, v47
	v_add3_u32 v51, v47, s10, 8
	s_mov_b64 s[10:11], 0
	v_mov_b32_e32 v52, v0
.LBB21_335:                             ; =>This Inner Loop Header: Depth=1
	buffer_load_dword v53, v51, s[0:3], 0 offen
	buffer_load_dword v54, v51, s[0:3], 0 offen offset:4
	ds_read_b64 v[55:56], v50
	v_add_u32_e32 v52, 1, v52
	v_cmp_lt_u32_e32 vcc, 12, v52
	v_add_u32_e32 v50, 8, v50
	s_or_b64 s[10:11], vcc, s[10:11]
	v_add_u32_e32 v51, 8, v51
	s_waitcnt vmcnt(0) lgkmcnt(0)
	v_fma_f64 v[45:46], v[53:54], v[55:56], v[45:46]
	s_andn2_b64 exec, exec, s[10:11]
	s_cbranch_execnz .LBB21_335
; %bb.336:
	s_or_b64 exec, exec, s[10:11]
.LBB21_337:
	s_or_b64 exec, exec, s[8:9]
	v_mov_b32_e32 v50, 0
	ds_read_b64 v[50:51], v50 offset:112
	s_waitcnt lgkmcnt(0)
	v_mul_f64 v[45:46], v[45:46], v[50:51]
	buffer_store_dword v46, off, s[0:3], 0 offset:116
	buffer_store_dword v45, off, s[0:3], 0 offset:112
.LBB21_338:
	s_or_b64 exec, exec, s[6:7]
	buffer_load_dword v45, off, s[0:3], 0 offset:120
	buffer_load_dword v46, off, s[0:3], 0 offset:124
	v_cmp_gt_u32_e32 vcc, 15, v0
	s_waitcnt vmcnt(0)
	ds_write_b64 v48, v[45:46]
	s_waitcnt lgkmcnt(0)
	; wave barrier
	s_and_saveexec_b64 s[6:7], vcc
	s_cbranch_execz .LBB21_348
; %bb.339:
	s_and_b64 vcc, exec, s[4:5]
	s_cbranch_vccnz .LBB21_341
; %bb.340:
	buffer_load_dword v45, v49, s[0:3], 0 offen
	buffer_load_dword v46, v49, s[0:3], 0 offen offset:4
	ds_read_b64 v[50:51], v48
	s_waitcnt vmcnt(0) lgkmcnt(0)
	v_mul_f64 v[45:46], v[45:46], v[50:51]
	s_cbranch_execz .LBB21_342
	s_branch .LBB21_343
.LBB21_341:
                                        ; implicit-def: $vgpr45_vgpr46
.LBB21_342:
	ds_read_b64 v[45:46], v48
.LBB21_343:
	v_cmp_ne_u32_e32 vcc, 14, v0
	s_and_saveexec_b64 s[8:9], vcc
	s_cbranch_execz .LBB21_347
; %bb.344:
	s_mov_b32 s10, 0
	v_add_u32_e32 v50, 0xb8, v47
	v_add3_u32 v51, v47, s10, 8
	s_mov_b64 s[10:11], 0
	v_mov_b32_e32 v52, v0
.LBB21_345:                             ; =>This Inner Loop Header: Depth=1
	buffer_load_dword v53, v51, s[0:3], 0 offen
	buffer_load_dword v54, v51, s[0:3], 0 offen offset:4
	ds_read_b64 v[55:56], v50
	v_add_u32_e32 v52, 1, v52
	v_cmp_lt_u32_e32 vcc, 13, v52
	v_add_u32_e32 v50, 8, v50
	s_or_b64 s[10:11], vcc, s[10:11]
	v_add_u32_e32 v51, 8, v51
	s_waitcnt vmcnt(0) lgkmcnt(0)
	v_fma_f64 v[45:46], v[53:54], v[55:56], v[45:46]
	s_andn2_b64 exec, exec, s[10:11]
	s_cbranch_execnz .LBB21_345
; %bb.346:
	s_or_b64 exec, exec, s[10:11]
.LBB21_347:
	s_or_b64 exec, exec, s[8:9]
	v_mov_b32_e32 v50, 0
	ds_read_b64 v[50:51], v50 offset:120
	s_waitcnt lgkmcnt(0)
	v_mul_f64 v[45:46], v[45:46], v[50:51]
	buffer_store_dword v46, off, s[0:3], 0 offset:124
	buffer_store_dword v45, off, s[0:3], 0 offset:120
.LBB21_348:
	s_or_b64 exec, exec, s[6:7]
	buffer_load_dword v45, off, s[0:3], 0 offset:128
	buffer_load_dword v46, off, s[0:3], 0 offset:132
	v_cmp_gt_u32_e32 vcc, 16, v0
	s_waitcnt vmcnt(0)
	ds_write_b64 v48, v[45:46]
	s_waitcnt lgkmcnt(0)
	; wave barrier
	s_and_saveexec_b64 s[6:7], vcc
	s_cbranch_execz .LBB21_358
; %bb.349:
	s_and_b64 vcc, exec, s[4:5]
	s_cbranch_vccnz .LBB21_351
; %bb.350:
	buffer_load_dword v45, v49, s[0:3], 0 offen
	buffer_load_dword v46, v49, s[0:3], 0 offen offset:4
	ds_read_b64 v[50:51], v48
	s_waitcnt vmcnt(0) lgkmcnt(0)
	v_mul_f64 v[45:46], v[45:46], v[50:51]
	s_cbranch_execz .LBB21_352
	s_branch .LBB21_353
.LBB21_351:
                                        ; implicit-def: $vgpr45_vgpr46
.LBB21_352:
	ds_read_b64 v[45:46], v48
.LBB21_353:
	v_cmp_ne_u32_e32 vcc, 15, v0
	s_and_saveexec_b64 s[8:9], vcc
	s_cbranch_execz .LBB21_357
; %bb.354:
	s_mov_b32 s10, 0
	v_add_u32_e32 v50, 0xb8, v47
	v_add3_u32 v51, v47, s10, 8
	s_mov_b64 s[10:11], 0
	v_mov_b32_e32 v52, v0
.LBB21_355:                             ; =>This Inner Loop Header: Depth=1
	buffer_load_dword v53, v51, s[0:3], 0 offen
	buffer_load_dword v54, v51, s[0:3], 0 offen offset:4
	ds_read_b64 v[55:56], v50
	v_add_u32_e32 v52, 1, v52
	v_cmp_lt_u32_e32 vcc, 14, v52
	v_add_u32_e32 v50, 8, v50
	s_or_b64 s[10:11], vcc, s[10:11]
	v_add_u32_e32 v51, 8, v51
	s_waitcnt vmcnt(0) lgkmcnt(0)
	v_fma_f64 v[45:46], v[53:54], v[55:56], v[45:46]
	s_andn2_b64 exec, exec, s[10:11]
	s_cbranch_execnz .LBB21_355
; %bb.356:
	s_or_b64 exec, exec, s[10:11]
.LBB21_357:
	s_or_b64 exec, exec, s[8:9]
	v_mov_b32_e32 v50, 0
	ds_read_b64 v[50:51], v50 offset:128
	s_waitcnt lgkmcnt(0)
	v_mul_f64 v[45:46], v[45:46], v[50:51]
	buffer_store_dword v46, off, s[0:3], 0 offset:132
	buffer_store_dword v45, off, s[0:3], 0 offset:128
.LBB21_358:
	s_or_b64 exec, exec, s[6:7]
	buffer_load_dword v45, off, s[0:3], 0 offset:136
	buffer_load_dword v46, off, s[0:3], 0 offset:140
	v_cmp_gt_u32_e32 vcc, 17, v0
	s_waitcnt vmcnt(0)
	ds_write_b64 v48, v[45:46]
	s_waitcnt lgkmcnt(0)
	; wave barrier
	s_and_saveexec_b64 s[6:7], vcc
	s_cbranch_execz .LBB21_368
; %bb.359:
	s_and_b64 vcc, exec, s[4:5]
	s_cbranch_vccnz .LBB21_361
; %bb.360:
	buffer_load_dword v45, v49, s[0:3], 0 offen
	buffer_load_dword v46, v49, s[0:3], 0 offen offset:4
	ds_read_b64 v[50:51], v48
	s_waitcnt vmcnt(0) lgkmcnt(0)
	v_mul_f64 v[45:46], v[45:46], v[50:51]
	s_cbranch_execz .LBB21_362
	s_branch .LBB21_363
.LBB21_361:
                                        ; implicit-def: $vgpr45_vgpr46
.LBB21_362:
	ds_read_b64 v[45:46], v48
.LBB21_363:
	v_cmp_ne_u32_e32 vcc, 16, v0
	s_and_saveexec_b64 s[8:9], vcc
	s_cbranch_execz .LBB21_367
; %bb.364:
	s_mov_b32 s10, 0
	v_add_u32_e32 v50, 0xb8, v47
	v_add3_u32 v51, v47, s10, 8
	s_mov_b64 s[10:11], 0
	v_mov_b32_e32 v52, v0
.LBB21_365:                             ; =>This Inner Loop Header: Depth=1
	buffer_load_dword v53, v51, s[0:3], 0 offen
	buffer_load_dword v54, v51, s[0:3], 0 offen offset:4
	ds_read_b64 v[55:56], v50
	v_add_u32_e32 v52, 1, v52
	v_cmp_lt_u32_e32 vcc, 15, v52
	v_add_u32_e32 v50, 8, v50
	s_or_b64 s[10:11], vcc, s[10:11]
	v_add_u32_e32 v51, 8, v51
	s_waitcnt vmcnt(0) lgkmcnt(0)
	v_fma_f64 v[45:46], v[53:54], v[55:56], v[45:46]
	s_andn2_b64 exec, exec, s[10:11]
	s_cbranch_execnz .LBB21_365
; %bb.366:
	s_or_b64 exec, exec, s[10:11]
.LBB21_367:
	s_or_b64 exec, exec, s[8:9]
	v_mov_b32_e32 v50, 0
	ds_read_b64 v[50:51], v50 offset:136
	s_waitcnt lgkmcnt(0)
	v_mul_f64 v[45:46], v[45:46], v[50:51]
	buffer_store_dword v46, off, s[0:3], 0 offset:140
	buffer_store_dword v45, off, s[0:3], 0 offset:136
.LBB21_368:
	s_or_b64 exec, exec, s[6:7]
	buffer_load_dword v45, off, s[0:3], 0 offset:144
	buffer_load_dword v46, off, s[0:3], 0 offset:148
	v_cmp_gt_u32_e32 vcc, 18, v0
	s_waitcnt vmcnt(0)
	ds_write_b64 v48, v[45:46]
	s_waitcnt lgkmcnt(0)
	; wave barrier
	s_and_saveexec_b64 s[6:7], vcc
	s_cbranch_execz .LBB21_378
; %bb.369:
	s_and_b64 vcc, exec, s[4:5]
	s_cbranch_vccnz .LBB21_371
; %bb.370:
	buffer_load_dword v45, v49, s[0:3], 0 offen
	buffer_load_dword v46, v49, s[0:3], 0 offen offset:4
	ds_read_b64 v[50:51], v48
	s_waitcnt vmcnt(0) lgkmcnt(0)
	v_mul_f64 v[45:46], v[45:46], v[50:51]
	s_cbranch_execz .LBB21_372
	s_branch .LBB21_373
.LBB21_371:
                                        ; implicit-def: $vgpr45_vgpr46
.LBB21_372:
	ds_read_b64 v[45:46], v48
.LBB21_373:
	v_cmp_ne_u32_e32 vcc, 17, v0
	s_and_saveexec_b64 s[8:9], vcc
	s_cbranch_execz .LBB21_377
; %bb.374:
	s_mov_b32 s10, 0
	v_add_u32_e32 v50, 0xb8, v47
	v_add3_u32 v51, v47, s10, 8
	s_mov_b64 s[10:11], 0
	v_mov_b32_e32 v52, v0
.LBB21_375:                             ; =>This Inner Loop Header: Depth=1
	buffer_load_dword v53, v51, s[0:3], 0 offen
	buffer_load_dword v54, v51, s[0:3], 0 offen offset:4
	ds_read_b64 v[55:56], v50
	v_add_u32_e32 v52, 1, v52
	v_cmp_lt_u32_e32 vcc, 16, v52
	v_add_u32_e32 v50, 8, v50
	s_or_b64 s[10:11], vcc, s[10:11]
	v_add_u32_e32 v51, 8, v51
	s_waitcnt vmcnt(0) lgkmcnt(0)
	v_fma_f64 v[45:46], v[53:54], v[55:56], v[45:46]
	s_andn2_b64 exec, exec, s[10:11]
	s_cbranch_execnz .LBB21_375
; %bb.376:
	s_or_b64 exec, exec, s[10:11]
.LBB21_377:
	s_or_b64 exec, exec, s[8:9]
	v_mov_b32_e32 v50, 0
	ds_read_b64 v[50:51], v50 offset:144
	s_waitcnt lgkmcnt(0)
	v_mul_f64 v[45:46], v[45:46], v[50:51]
	buffer_store_dword v46, off, s[0:3], 0 offset:148
	buffer_store_dword v45, off, s[0:3], 0 offset:144
.LBB21_378:
	s_or_b64 exec, exec, s[6:7]
	buffer_load_dword v45, off, s[0:3], 0 offset:152
	buffer_load_dword v46, off, s[0:3], 0 offset:156
	v_cmp_gt_u32_e32 vcc, 19, v0
	s_waitcnt vmcnt(0)
	ds_write_b64 v48, v[45:46]
	s_waitcnt lgkmcnt(0)
	; wave barrier
	s_and_saveexec_b64 s[6:7], vcc
	s_cbranch_execz .LBB21_388
; %bb.379:
	s_and_b64 vcc, exec, s[4:5]
	s_cbranch_vccnz .LBB21_381
; %bb.380:
	buffer_load_dword v45, v49, s[0:3], 0 offen
	buffer_load_dword v46, v49, s[0:3], 0 offen offset:4
	ds_read_b64 v[50:51], v48
	s_waitcnt vmcnt(0) lgkmcnt(0)
	v_mul_f64 v[45:46], v[45:46], v[50:51]
	s_cbranch_execz .LBB21_382
	s_branch .LBB21_383
.LBB21_381:
                                        ; implicit-def: $vgpr45_vgpr46
.LBB21_382:
	ds_read_b64 v[45:46], v48
.LBB21_383:
	v_cmp_ne_u32_e32 vcc, 18, v0
	s_and_saveexec_b64 s[8:9], vcc
	s_cbranch_execz .LBB21_387
; %bb.384:
	s_mov_b32 s10, 0
	v_add_u32_e32 v50, 0xb8, v47
	v_add3_u32 v51, v47, s10, 8
	s_mov_b64 s[10:11], 0
	v_mov_b32_e32 v52, v0
.LBB21_385:                             ; =>This Inner Loop Header: Depth=1
	buffer_load_dword v53, v51, s[0:3], 0 offen
	buffer_load_dword v54, v51, s[0:3], 0 offen offset:4
	ds_read_b64 v[55:56], v50
	v_add_u32_e32 v52, 1, v52
	v_cmp_lt_u32_e32 vcc, 17, v52
	v_add_u32_e32 v50, 8, v50
	s_or_b64 s[10:11], vcc, s[10:11]
	v_add_u32_e32 v51, 8, v51
	s_waitcnt vmcnt(0) lgkmcnt(0)
	v_fma_f64 v[45:46], v[53:54], v[55:56], v[45:46]
	s_andn2_b64 exec, exec, s[10:11]
	s_cbranch_execnz .LBB21_385
; %bb.386:
	s_or_b64 exec, exec, s[10:11]
.LBB21_387:
	s_or_b64 exec, exec, s[8:9]
	v_mov_b32_e32 v50, 0
	ds_read_b64 v[50:51], v50 offset:152
	s_waitcnt lgkmcnt(0)
	v_mul_f64 v[45:46], v[45:46], v[50:51]
	buffer_store_dword v46, off, s[0:3], 0 offset:156
	buffer_store_dword v45, off, s[0:3], 0 offset:152
.LBB21_388:
	s_or_b64 exec, exec, s[6:7]
	buffer_load_dword v45, off, s[0:3], 0 offset:160
	buffer_load_dword v46, off, s[0:3], 0 offset:164
	v_cmp_gt_u32_e64 s[6:7], 20, v0
	s_waitcnt vmcnt(0)
	ds_write_b64 v48, v[45:46]
	s_waitcnt lgkmcnt(0)
	; wave barrier
	s_and_saveexec_b64 s[8:9], s[6:7]
	s_cbranch_execz .LBB21_398
; %bb.389:
	s_and_b64 vcc, exec, s[4:5]
	s_cbranch_vccnz .LBB21_391
; %bb.390:
	buffer_load_dword v45, v49, s[0:3], 0 offen
	buffer_load_dword v46, v49, s[0:3], 0 offen offset:4
	ds_read_b64 v[50:51], v48
	s_waitcnt vmcnt(0) lgkmcnt(0)
	v_mul_f64 v[45:46], v[45:46], v[50:51]
	s_cbranch_execz .LBB21_392
	s_branch .LBB21_393
.LBB21_391:
                                        ; implicit-def: $vgpr45_vgpr46
.LBB21_392:
	ds_read_b64 v[45:46], v48
.LBB21_393:
	v_cmp_ne_u32_e32 vcc, 19, v0
	s_and_saveexec_b64 s[10:11], vcc
	s_cbranch_execz .LBB21_397
; %bb.394:
	s_mov_b32 s12, 0
	v_add_u32_e32 v50, 0xb8, v47
	v_add3_u32 v51, v47, s12, 8
	s_mov_b64 s[12:13], 0
	v_mov_b32_e32 v52, v0
.LBB21_395:                             ; =>This Inner Loop Header: Depth=1
	buffer_load_dword v53, v51, s[0:3], 0 offen
	buffer_load_dword v54, v51, s[0:3], 0 offen offset:4
	ds_read_b64 v[55:56], v50
	v_add_u32_e32 v52, 1, v52
	v_cmp_lt_u32_e32 vcc, 18, v52
	v_add_u32_e32 v50, 8, v50
	s_or_b64 s[12:13], vcc, s[12:13]
	v_add_u32_e32 v51, 8, v51
	s_waitcnt vmcnt(0) lgkmcnt(0)
	v_fma_f64 v[45:46], v[53:54], v[55:56], v[45:46]
	s_andn2_b64 exec, exec, s[12:13]
	s_cbranch_execnz .LBB21_395
; %bb.396:
	s_or_b64 exec, exec, s[12:13]
.LBB21_397:
	s_or_b64 exec, exec, s[10:11]
	v_mov_b32_e32 v50, 0
	ds_read_b64 v[50:51], v50 offset:160
	s_waitcnt lgkmcnt(0)
	v_mul_f64 v[45:46], v[45:46], v[50:51]
	buffer_store_dword v46, off, s[0:3], 0 offset:164
	buffer_store_dword v45, off, s[0:3], 0 offset:160
.LBB21_398:
	s_or_b64 exec, exec, s[8:9]
	buffer_load_dword v45, off, s[0:3], 0 offset:168
	buffer_load_dword v46, off, s[0:3], 0 offset:172
	v_cmp_ne_u32_e32 vcc, 21, v0
	s_waitcnt vmcnt(0)
	ds_write_b64 v48, v[45:46]
	s_waitcnt lgkmcnt(0)
	; wave barrier
	s_and_saveexec_b64 s[8:9], vcc
	s_cbranch_execz .LBB21_408
; %bb.399:
	s_and_b64 vcc, exec, s[4:5]
	s_cbranch_vccnz .LBB21_401
; %bb.400:
	buffer_load_dword v45, v49, s[0:3], 0 offen
	buffer_load_dword v46, v49, s[0:3], 0 offen offset:4
	ds_read_b64 v[49:50], v48
	s_waitcnt vmcnt(0) lgkmcnt(0)
	v_mul_f64 v[45:46], v[45:46], v[49:50]
	s_cbranch_execz .LBB21_402
	s_branch .LBB21_403
.LBB21_401:
                                        ; implicit-def: $vgpr45_vgpr46
.LBB21_402:
	ds_read_b64 v[45:46], v48
.LBB21_403:
	s_and_saveexec_b64 s[4:5], s[6:7]
	s_cbranch_execz .LBB21_407
; %bb.404:
	s_mov_b32 s6, 0
	v_add_u32_e32 v48, 0xb8, v47
	v_add3_u32 v47, v47, s6, 8
	s_mov_b64 s[6:7], 0
.LBB21_405:                             ; =>This Inner Loop Header: Depth=1
	buffer_load_dword v49, v47, s[0:3], 0 offen
	buffer_load_dword v50, v47, s[0:3], 0 offen offset:4
	ds_read_b64 v[51:52], v48
	v_add_u32_e32 v0, 1, v0
	v_cmp_lt_u32_e32 vcc, 19, v0
	v_add_u32_e32 v48, 8, v48
	s_or_b64 s[6:7], vcc, s[6:7]
	v_add_u32_e32 v47, 8, v47
	s_waitcnt vmcnt(0) lgkmcnt(0)
	v_fma_f64 v[45:46], v[49:50], v[51:52], v[45:46]
	s_andn2_b64 exec, exec, s[6:7]
	s_cbranch_execnz .LBB21_405
; %bb.406:
	s_or_b64 exec, exec, s[6:7]
.LBB21_407:
	s_or_b64 exec, exec, s[4:5]
	v_mov_b32_e32 v0, 0
	ds_read_b64 v[47:48], v0 offset:168
	s_waitcnt lgkmcnt(0)
	v_mul_f64 v[45:46], v[45:46], v[47:48]
	buffer_store_dword v46, off, s[0:3], 0 offset:172
	buffer_store_dword v45, off, s[0:3], 0 offset:168
.LBB21_408:
	s_or_b64 exec, exec, s[8:9]
.LBB21_409:
	buffer_load_dword v45, off, s[0:3], 0
	buffer_load_dword v46, off, s[0:3], 0 offset:4
	buffer_load_dword v47, off, s[0:3], 0 offset:8
	;; [unrolled: 1-line block ×15, first 2 shown]
	s_waitcnt vmcnt(14)
	global_store_dwordx2 v[1:2], v[45:46], off
	s_waitcnt vmcnt(13)
	global_store_dwordx2 v[3:4], v[47:48], off
	buffer_load_dword v1, off, s[0:3], 0 offset:68
	buffer_load_dword v2, off, s[0:3], 0 offset:72
	s_nop 0
	buffer_load_dword v3, off, s[0:3], 0 offset:76
	buffer_load_dword v45, off, s[0:3], 0 offset:80
	buffer_load_dword v46, off, s[0:3], 0 offset:84
	buffer_load_dword v47, off, s[0:3], 0 offset:88
	buffer_load_dword v48, off, s[0:3], 0 offset:92
	buffer_load_dword v0, off, s[0:3], 0 offset:64
	s_waitcnt vmcnt(20)
	global_store_dwordx2 v[5:6], v[49:50], off
	s_waitcnt vmcnt(19)
	global_store_dwordx2 v[9:10], v[51:52], off
	buffer_load_dword v4, off, s[0:3], 0 offset:96
	buffer_load_dword v5, off, s[0:3], 0 offset:100
	s_nop 0
	buffer_load_dword v9, off, s[0:3], 0 offset:104
	buffer_load_dword v10, off, s[0:3], 0 offset:108
	buffer_load_dword v49, off, s[0:3], 0 offset:112
	buffer_load_dword v50, off, s[0:3], 0 offset:116
	buffer_load_dword v51, off, s[0:3], 0 offset:120
	buffer_load_dword v52, off, s[0:3], 0 offset:124
	s_waitcnt vmcnt(26)
	global_store_dwordx2 v[7:8], v[53:54], off
	s_waitcnt vmcnt(25)
	global_store_dwordx2 v[13:14], v[55:56], off
	buffer_load_dword v6, off, s[0:3], 0 offset:128
	buffer_load_dword v7, off, s[0:3], 0 offset:132
	s_nop 0
	buffer_load_dword v13, off, s[0:3], 0 offset:136
	buffer_load_dword v14, off, s[0:3], 0 offset:140
	buffer_load_dword v53, off, s[0:3], 0 offset:144
	buffer_load_dword v54, off, s[0:3], 0 offset:148
	buffer_load_dword v55, off, s[0:3], 0 offset:152
	buffer_load_dword v56, off, s[0:3], 0 offset:156
	s_waitcnt vmcnt(32)
	global_store_dwordx2 v[11:12], v[57:58], off
	buffer_load_dword v11, off, s[0:3], 0 offset:160
	s_nop 0
	buffer_load_dword v12, off, s[0:3], 0 offset:164
	buffer_load_dword v57, off, s[0:3], 0 offset:168
	;; [unrolled: 1-line block ×3, first 2 shown]
	s_waitcnt vmcnt(35)
	global_store_dwordx2 v[15:16], v[59:60], off
	s_waitcnt vmcnt(26)
	global_store_dwordx2 v[19:20], v[0:1], off
	global_store_dwordx2 v[21:22], v[2:3], off
	;; [unrolled: 1-line block ×4, first 2 shown]
	s_waitcnt vmcnt(26)
	global_store_dwordx2 v[27:28], v[4:5], off
	s_waitcnt vmcnt(25)
	global_store_dwordx2 v[29:30], v[9:10], off
	;; [unrolled: 2-line block ×10, first 2 shown]
.LBB21_410:
	s_endpgm
	.section	.rodata,"a",@progbits
	.p2align	6, 0x0
	.amdhsa_kernel _ZN9rocsolver6v33100L18trti2_kernel_smallILi22EdPdEEv13rocblas_fill_17rocblas_diagonal_T1_iil
		.amdhsa_group_segment_fixed_size 352
		.amdhsa_private_segment_fixed_size 192
		.amdhsa_kernarg_size 32
		.amdhsa_user_sgpr_count 6
		.amdhsa_user_sgpr_private_segment_buffer 1
		.amdhsa_user_sgpr_dispatch_ptr 0
		.amdhsa_user_sgpr_queue_ptr 0
		.amdhsa_user_sgpr_kernarg_segment_ptr 1
		.amdhsa_user_sgpr_dispatch_id 0
		.amdhsa_user_sgpr_flat_scratch_init 0
		.amdhsa_user_sgpr_private_segment_size 0
		.amdhsa_uses_dynamic_stack 0
		.amdhsa_system_sgpr_private_segment_wavefront_offset 1
		.amdhsa_system_sgpr_workgroup_id_x 1
		.amdhsa_system_sgpr_workgroup_id_y 0
		.amdhsa_system_sgpr_workgroup_id_z 0
		.amdhsa_system_sgpr_workgroup_info 0
		.amdhsa_system_vgpr_workitem_id 0
		.amdhsa_next_free_vgpr 65
		.amdhsa_next_free_sgpr 35
		.amdhsa_reserve_vcc 1
		.amdhsa_reserve_flat_scratch 0
		.amdhsa_float_round_mode_32 0
		.amdhsa_float_round_mode_16_64 0
		.amdhsa_float_denorm_mode_32 3
		.amdhsa_float_denorm_mode_16_64 3
		.amdhsa_dx10_clamp 1
		.amdhsa_ieee_mode 1
		.amdhsa_fp16_overflow 0
		.amdhsa_exception_fp_ieee_invalid_op 0
		.amdhsa_exception_fp_denorm_src 0
		.amdhsa_exception_fp_ieee_div_zero 0
		.amdhsa_exception_fp_ieee_overflow 0
		.amdhsa_exception_fp_ieee_underflow 0
		.amdhsa_exception_fp_ieee_inexact 0
		.amdhsa_exception_int_div_zero 0
	.end_amdhsa_kernel
	.section	.text._ZN9rocsolver6v33100L18trti2_kernel_smallILi22EdPdEEv13rocblas_fill_17rocblas_diagonal_T1_iil,"axG",@progbits,_ZN9rocsolver6v33100L18trti2_kernel_smallILi22EdPdEEv13rocblas_fill_17rocblas_diagonal_T1_iil,comdat
.Lfunc_end21:
	.size	_ZN9rocsolver6v33100L18trti2_kernel_smallILi22EdPdEEv13rocblas_fill_17rocblas_diagonal_T1_iil, .Lfunc_end21-_ZN9rocsolver6v33100L18trti2_kernel_smallILi22EdPdEEv13rocblas_fill_17rocblas_diagonal_T1_iil
                                        ; -- End function
	.set _ZN9rocsolver6v33100L18trti2_kernel_smallILi22EdPdEEv13rocblas_fill_17rocblas_diagonal_T1_iil.num_vgpr, 65
	.set _ZN9rocsolver6v33100L18trti2_kernel_smallILi22EdPdEEv13rocblas_fill_17rocblas_diagonal_T1_iil.num_agpr, 0
	.set _ZN9rocsolver6v33100L18trti2_kernel_smallILi22EdPdEEv13rocblas_fill_17rocblas_diagonal_T1_iil.numbered_sgpr, 35
	.set _ZN9rocsolver6v33100L18trti2_kernel_smallILi22EdPdEEv13rocblas_fill_17rocblas_diagonal_T1_iil.num_named_barrier, 0
	.set _ZN9rocsolver6v33100L18trti2_kernel_smallILi22EdPdEEv13rocblas_fill_17rocblas_diagonal_T1_iil.private_seg_size, 192
	.set _ZN9rocsolver6v33100L18trti2_kernel_smallILi22EdPdEEv13rocblas_fill_17rocblas_diagonal_T1_iil.uses_vcc, 1
	.set _ZN9rocsolver6v33100L18trti2_kernel_smallILi22EdPdEEv13rocblas_fill_17rocblas_diagonal_T1_iil.uses_flat_scratch, 0
	.set _ZN9rocsolver6v33100L18trti2_kernel_smallILi22EdPdEEv13rocblas_fill_17rocblas_diagonal_T1_iil.has_dyn_sized_stack, 0
	.set _ZN9rocsolver6v33100L18trti2_kernel_smallILi22EdPdEEv13rocblas_fill_17rocblas_diagonal_T1_iil.has_recursion, 0
	.set _ZN9rocsolver6v33100L18trti2_kernel_smallILi22EdPdEEv13rocblas_fill_17rocblas_diagonal_T1_iil.has_indirect_call, 0
	.section	.AMDGPU.csdata,"",@progbits
; Kernel info:
; codeLenInByte = 12632
; TotalNumSgprs: 39
; NumVgprs: 65
; ScratchSize: 192
; MemoryBound: 0
; FloatMode: 240
; IeeeMode: 1
; LDSByteSize: 352 bytes/workgroup (compile time only)
; SGPRBlocks: 4
; VGPRBlocks: 16
; NumSGPRsForWavesPerEU: 39
; NumVGPRsForWavesPerEU: 65
; Occupancy: 3
; WaveLimiterHint : 0
; COMPUTE_PGM_RSRC2:SCRATCH_EN: 1
; COMPUTE_PGM_RSRC2:USER_SGPR: 6
; COMPUTE_PGM_RSRC2:TRAP_HANDLER: 0
; COMPUTE_PGM_RSRC2:TGID_X_EN: 1
; COMPUTE_PGM_RSRC2:TGID_Y_EN: 0
; COMPUTE_PGM_RSRC2:TGID_Z_EN: 0
; COMPUTE_PGM_RSRC2:TIDIG_COMP_CNT: 0
	.section	.text._ZN9rocsolver6v33100L18trti2_kernel_smallILi23EdPdEEv13rocblas_fill_17rocblas_diagonal_T1_iil,"axG",@progbits,_ZN9rocsolver6v33100L18trti2_kernel_smallILi23EdPdEEv13rocblas_fill_17rocblas_diagonal_T1_iil,comdat
	.globl	_ZN9rocsolver6v33100L18trti2_kernel_smallILi23EdPdEEv13rocblas_fill_17rocblas_diagonal_T1_iil ; -- Begin function _ZN9rocsolver6v33100L18trti2_kernel_smallILi23EdPdEEv13rocblas_fill_17rocblas_diagonal_T1_iil
	.p2align	8
	.type	_ZN9rocsolver6v33100L18trti2_kernel_smallILi23EdPdEEv13rocblas_fill_17rocblas_diagonal_T1_iil,@function
_ZN9rocsolver6v33100L18trti2_kernel_smallILi23EdPdEEv13rocblas_fill_17rocblas_diagonal_T1_iil: ; @_ZN9rocsolver6v33100L18trti2_kernel_smallILi23EdPdEEv13rocblas_fill_17rocblas_diagonal_T1_iil
; %bb.0:
	s_add_u32 s0, s0, s7
	s_addc_u32 s1, s1, 0
	v_cmp_gt_u32_e32 vcc, 23, v0
	s_and_saveexec_b64 s[8:9], vcc
	s_cbranch_execz .LBB22_430
; %bb.1:
	s_load_dwordx8 s[8:15], s[4:5], 0x0
	s_ashr_i32 s7, s6, 31
	v_lshlrev_b32_e32 v49, 3, v0
	s_waitcnt lgkmcnt(0)
	s_ashr_i32 s5, s12, 31
	s_mov_b32 s4, s12
	s_mul_hi_u32 s12, s14, s6
	s_mul_i32 s7, s14, s7
	s_add_i32 s7, s12, s7
	s_mul_i32 s12, s15, s6
	s_add_i32 s7, s7, s12
	s_mul_i32 s6, s14, s6
	s_lshl_b64 s[6:7], s[6:7], 3
	s_add_u32 s6, s10, s6
	s_addc_u32 s7, s11, s7
	s_lshl_b64 s[4:5], s[4:5], 3
	s_add_u32 s4, s6, s4
	s_addc_u32 s5, s7, s5
	s_add_i32 s6, s13, s13
	v_add_u32_e32 v1, s6, v0
	v_ashrrev_i32_e32 v2, 31, v1
	v_lshlrev_b64 v[2:3], 3, v[1:2]
	v_mov_b32_e32 v4, s5
	v_add_co_u32_e32 v13, vcc, s4, v2
	v_addc_co_u32_e32 v14, vcc, v4, v3, vcc
	v_add_u32_e32 v3, s13, v1
	v_ashrrev_i32_e32 v4, 31, v3
	v_lshlrev_b64 v[1:2], 3, v[3:4]
	v_mov_b32_e32 v4, s5
	v_add_co_u32_e32 v1, vcc, s4, v1
	v_add_u32_e32 v3, s13, v3
	v_addc_co_u32_e32 v2, vcc, v4, v2, vcc
	v_ashrrev_i32_e32 v4, 31, v3
	v_lshlrev_b64 v[4:5], 3, v[3:4]
	v_mov_b32_e32 v6, s5
	v_add_co_u32_e32 v9, vcc, s4, v4
	v_addc_co_u32_e32 v10, vcc, v6, v5, vcc
	v_add_u32_e32 v5, s13, v3
	v_ashrrev_i32_e32 v6, 31, v5
	v_lshlrev_b64 v[3:4], 3, v[5:6]
	v_mov_b32_e32 v6, s5
	v_add_co_u32_e32 v3, vcc, s4, v3
	v_add_u32_e32 v5, s13, v5
	v_addc_co_u32_e32 v4, vcc, v6, v4, vcc
	v_ashrrev_i32_e32 v6, 31, v5
	v_lshlrev_b64 v[6:7], 3, v[5:6]
	v_add_u32_e32 v5, s13, v5
	v_mov_b32_e32 v8, s5
	v_add_co_u32_e32 v11, vcc, s4, v6
	v_ashrrev_i32_e32 v6, 31, v5
	v_addc_co_u32_e32 v12, vcc, v8, v7, vcc
	v_lshlrev_b64 v[7:8], 3, v[5:6]
	v_add_u32_e32 v15, s13, v5
	v_mov_b32_e32 v6, s5
	v_add_co_u32_e32 v7, vcc, s4, v7
	v_ashrrev_i32_e32 v16, 31, v15
	v_addc_co_u32_e32 v8, vcc, v6, v8, vcc
	;; [unrolled: 6-line block ×4, first 2 shown]
	v_lshlrev_b64 v[17:18], 3, v[19:20]
	v_mov_b32_e32 v21, s5
	v_add_co_u32_e32 v17, vcc, s4, v17
	v_addc_co_u32_e32 v18, vcc, v21, v18, vcc
	v_add_u32_e32 v21, s13, v19
	v_ashrrev_i32_e32 v22, 31, v21
	v_lshlrev_b64 v[19:20], 3, v[21:22]
	v_mov_b32_e32 v23, s5
	v_add_co_u32_e32 v19, vcc, s4, v19
	v_addc_co_u32_e32 v20, vcc, v23, v20, vcc
	v_add_u32_e32 v23, s13, v21
	v_ashrrev_i32_e32 v24, 31, v23
	;; [unrolled: 6-line block ×3, first 2 shown]
	v_lshlrev_b64 v[23:24], 3, v[25:26]
	v_mov_b32_e32 v27, s5
	v_add_co_u32_e32 v23, vcc, s4, v23
	v_addc_co_u32_e32 v24, vcc, v27, v24, vcc
	v_add_u32_e32 v27, s13, v25
	global_load_dwordx2 v[47:48], v49, s[4:5]
	v_mov_b32_e32 v25, s5
	v_add_co_u32_e32 v43, vcc, s4, v49
	s_ashr_i32 s7, s13, 31
	s_mov_b32 s6, s13
	v_addc_co_u32_e32 v44, vcc, 0, v25, vcc
	s_lshl_b64 s[6:7], s[6:7], 3
	v_mov_b32_e32 v25, s7
	v_add_co_u32_e32 v45, vcc, s6, v43
	v_addc_co_u32_e32 v46, vcc, v44, v25, vcc
	global_load_dwordx2 v[50:51], v[45:46], off
	v_ashrrev_i32_e32 v28, 31, v27
	v_lshlrev_b64 v[25:26], 3, v[27:28]
	v_mov_b32_e32 v29, s5
	v_add_co_u32_e32 v25, vcc, s4, v25
	v_addc_co_u32_e32 v26, vcc, v29, v26, vcc
	v_add_u32_e32 v29, s13, v27
	v_ashrrev_i32_e32 v30, 31, v29
	v_lshlrev_b64 v[27:28], 3, v[29:30]
	v_mov_b32_e32 v31, s5
	v_add_co_u32_e32 v27, vcc, s4, v27
	v_addc_co_u32_e32 v28, vcc, v31, v28, vcc
	v_add_u32_e32 v31, s13, v29
	;; [unrolled: 6-line block ×7, first 2 shown]
	v_ashrrev_i32_e32 v42, 31, v41
	v_lshlrev_b64 v[39:40], 3, v[41:42]
	v_mov_b32_e32 v52, s5
	v_add_co_u32_e32 v39, vcc, s4, v39
	v_add_u32_e32 v41, s13, v41
	v_addc_co_u32_e32 v40, vcc, v52, v40, vcc
	v_ashrrev_i32_e32 v42, 31, v41
	global_load_dwordx2 v[52:53], v[13:14], off
	global_load_dwordx2 v[54:55], v[1:2], off
	v_lshlrev_b64 v[41:42], 3, v[41:42]
	v_mov_b32_e32 v56, s5
	v_add_co_u32_e32 v41, vcc, s4, v41
	v_addc_co_u32_e32 v42, vcc, v56, v42, vcc
	global_load_dwordx2 v[56:57], v[9:10], off
	global_load_dwordx2 v[58:59], v[41:42], off
	s_waitcnt vmcnt(5)
	buffer_store_dword v48, off, s[0:3], 0 offset:4
	buffer_store_dword v47, off, s[0:3], 0
	global_load_dwordx2 v[47:48], v[3:4], off
	s_waitcnt vmcnt(7)
	buffer_store_dword v51, off, s[0:3], 0 offset:12
	buffer_store_dword v50, off, s[0:3], 0 offset:8
	global_load_dwordx2 v[50:51], v[11:12], off
	s_waitcnt vmcnt(9)
	buffer_store_dword v53, off, s[0:3], 0 offset:20
	buffer_store_dword v52, off, s[0:3], 0 offset:16
	s_waitcnt vmcnt(10)
	buffer_store_dword v55, off, s[0:3], 0 offset:28
	global_load_dwordx2 v[52:53], v[7:8], off
	s_cmpk_lg_i32 s9, 0x84
	buffer_store_dword v54, off, s[0:3], 0 offset:24
	global_load_dwordx2 v[54:55], v[5:6], off
	s_waitcnt vmcnt(13)
	buffer_store_dword v57, off, s[0:3], 0 offset:36
	buffer_store_dword v56, off, s[0:3], 0 offset:32
	global_load_dwordx2 v[56:57], v[15:16], off
	s_waitcnt vmcnt(12)
	buffer_store_dword v48, off, s[0:3], 0 offset:44
	;; [unrolled: 4-line block ×4, first 2 shown]
	buffer_store_dword v52, off, s[0:3], 0 offset:56
	s_waitcnt vmcnt(11)
	buffer_store_dword v55, off, s[0:3], 0 offset:68
	buffer_store_dword v54, off, s[0:3], 0 offset:64
	global_load_dwordx2 v[52:53], v[21:22], off
	s_nop 0
	global_load_dwordx2 v[54:55], v[23:24], off
	s_cselect_b64 s[10:11], -1, 0
	s_cmpk_eq_i32 s9, 0x84
	s_waitcnt vmcnt(12)
	buffer_store_dword v56, off, s[0:3], 0 offset:72
	buffer_store_dword v57, off, s[0:3], 0 offset:76
	global_load_dwordx2 v[56:57], v[25:26], off
	s_waitcnt vmcnt(12)
	buffer_store_dword v47, off, s[0:3], 0 offset:80
	buffer_store_dword v48, off, s[0:3], 0 offset:84
	global_load_dwordx2 v[47:48], v[27:28], off
	;; [unrolled: 4-line block ×3, first 2 shown]
	s_waitcnt vmcnt(10)
	buffer_store_dword v52, off, s[0:3], 0 offset:96
	buffer_store_dword v53, off, s[0:3], 0 offset:100
	s_waitcnt vmcnt(11)
	buffer_store_dword v54, off, s[0:3], 0 offset:104
	buffer_store_dword v55, off, s[0:3], 0 offset:108
	s_waitcnt vmcnt(10)
	buffer_store_dword v57, off, s[0:3], 0 offset:116
	buffer_store_dword v56, off, s[0:3], 0 offset:112
	global_load_dwordx2 v[52:53], v[31:32], off
	global_load_dwordx2 v[54:55], v[33:34], off
	s_nop 0
	global_load_dwordx2 v[56:57], v[37:38], off
	s_waitcnt vmcnt(12)
	buffer_store_dword v47, off, s[0:3], 0 offset:120
	buffer_store_dword v48, off, s[0:3], 0 offset:124
	global_load_dwordx2 v[47:48], v[35:36], off
	s_waitcnt vmcnt(12)
	buffer_store_dword v50, off, s[0:3], 0 offset:128
	buffer_store_dword v51, off, s[0:3], 0 offset:132
	;; [unrolled: 4-line block ×3, first 2 shown]
	s_waitcnt vmcnt(9)
	buffer_store_dword v54, off, s[0:3], 0 offset:144
	buffer_store_dword v55, off, s[0:3], 0 offset:148
	s_waitcnt vmcnt(7)
	buffer_store_dword v48, off, s[0:3], 0 offset:156
	buffer_store_dword v47, off, s[0:3], 0 offset:152
	;; [unrolled: 1-line block ×4, first 2 shown]
	s_waitcnt vmcnt(8)
	buffer_store_dword v50, off, s[0:3], 0 offset:168
	buffer_store_dword v51, off, s[0:3], 0 offset:172
	;; [unrolled: 1-line block ×3, first 2 shown]
	v_mov_b32_e32 v47, 0
	v_mov_b32_e32 v48, 0xbff00000
	buffer_store_dword v59, off, s[0:3], 0 offset:180
	s_cbranch_scc1 .LBB22_3
; %bb.2:
	v_mov_b32_e32 v47, 0
	v_lshl_add_u32 v58, v0, 3, v47
	buffer_load_dword v47, v58, s[0:3], 0 offen
	buffer_load_dword v48, v58, s[0:3], 0 offen offset:4
	s_waitcnt vmcnt(0)
	v_div_scale_f64 v[50:51], s[4:5], v[47:48], v[47:48], 1.0
	v_rcp_f64_e32 v[52:53], v[50:51]
	v_fma_f64 v[54:55], -v[50:51], v[52:53], 1.0
	v_fma_f64 v[52:53], v[52:53], v[54:55], v[52:53]
	v_div_scale_f64 v[54:55], vcc, 1.0, v[47:48], 1.0
	v_fma_f64 v[56:57], -v[50:51], v[52:53], 1.0
	v_fma_f64 v[52:53], v[52:53], v[56:57], v[52:53]
	v_mul_f64 v[56:57], v[54:55], v[52:53]
	v_fma_f64 v[50:51], -v[50:51], v[56:57], v[54:55]
	v_div_fmas_f64 v[50:51], v[50:51], v[52:53], v[56:57]
	v_div_fixup_f64 v[47:48], v[50:51], v[47:48], 1.0
	buffer_store_dword v47, v58, s[0:3], 0 offen
	buffer_store_dword v48, v58, s[0:3], 0 offen offset:4
	v_xor_b32_e32 v48, 0x80000000, v48
.LBB22_3:
	s_cmpk_eq_i32 s8, 0x79
	v_add_u32_e32 v50, 0xc0, v49
	v_mov_b32_e32 v51, v49
	s_mov_b64 s[4:5], -1
	ds_write_b64 v49, v[47:48]
	s_cbranch_scc1 .LBB22_217
; %bb.4:
	buffer_load_dword v47, off, s[0:3], 0 offset:168
	buffer_load_dword v48, off, s[0:3], 0 offset:172
	s_movk_i32 s12, 0x48
	s_movk_i32 s13, 0x50
	;; [unrolled: 1-line block ×12, first 2 shown]
	v_cmp_eq_u32_e64 s[4:5], 22, v0
	s_waitcnt vmcnt(0)
	ds_write_b64 v50, v[47:48]
	s_waitcnt lgkmcnt(0)
	; wave barrier
	s_and_saveexec_b64 s[6:7], s[4:5]
	s_cbranch_execz .LBB22_10
; %bb.5:
	s_and_b64 vcc, exec, s[10:11]
	s_cbranch_vccz .LBB22_7
; %bb.6:
	buffer_load_dword v47, v51, s[0:3], 0 offen
	buffer_load_dword v48, v51, s[0:3], 0 offen offset:4
	ds_read_b64 v[52:53], v50
	s_waitcnt vmcnt(0) lgkmcnt(0)
	v_mul_f64 v[47:48], v[47:48], v[52:53]
	s_cbranch_execz .LBB22_8
	s_branch .LBB22_9
.LBB22_7:
                                        ; implicit-def: $vgpr47_vgpr48
.LBB22_8:
	ds_read_b64 v[47:48], v50
.LBB22_9:
	v_mov_b32_e32 v52, 0
	ds_read_b64 v[52:53], v52 offset:168
	s_waitcnt lgkmcnt(0)
	v_mul_f64 v[47:48], v[47:48], v[52:53]
	buffer_store_dword v48, off, s[0:3], 0 offset:172
	buffer_store_dword v47, off, s[0:3], 0 offset:168
.LBB22_10:
	s_or_b64 exec, exec, s[6:7]
	buffer_load_dword v47, off, s[0:3], 0 offset:160
	buffer_load_dword v48, off, s[0:3], 0 offset:164
	s_or_b32 s14, 0, 8
	s_mov_b32 s15, 16
	s_mov_b32 s16, 24
	;; [unrolled: 1-line block ×9, first 2 shown]
	v_cmp_lt_u32_e64 s[6:7], 20, v0
	s_waitcnt vmcnt(0)
	ds_write_b64 v50, v[47:48]
	s_waitcnt lgkmcnt(0)
	; wave barrier
	s_and_saveexec_b64 s[8:9], s[6:7]
	s_cbranch_execz .LBB22_16
; %bb.11:
	s_andn2_b64 vcc, exec, s[10:11]
	s_cbranch_vccnz .LBB22_13
; %bb.12:
	buffer_load_dword v47, v51, s[0:3], 0 offen
	buffer_load_dword v48, v51, s[0:3], 0 offen offset:4
	ds_read_b64 v[52:53], v50
	s_waitcnt vmcnt(0) lgkmcnt(0)
	v_mul_f64 v[47:48], v[47:48], v[52:53]
	s_cbranch_execz .LBB22_14
	s_branch .LBB22_15
.LBB22_13:
                                        ; implicit-def: $vgpr47_vgpr48
.LBB22_14:
	ds_read_b64 v[47:48], v50
.LBB22_15:
	buffer_load_dword v56, off, s[0:3], 0 offset:168
	buffer_load_dword v57, off, s[0:3], 0 offset:172
	v_mov_b32_e32 v52, 0
	ds_read2_b64 v[52:55], v52 offset0:20 offset1:45
	s_waitcnt vmcnt(0) lgkmcnt(0)
	v_fma_f64 v[54:55], v[56:57], v[54:55], v[47:48]
	v_cndmask_b32_e64 v48, v48, v55, s[4:5]
	v_cndmask_b32_e64 v47, v47, v54, s[4:5]
	v_mul_f64 v[47:48], v[47:48], v[52:53]
	buffer_store_dword v48, off, s[0:3], 0 offset:164
	buffer_store_dword v47, off, s[0:3], 0 offset:160
.LBB22_16:
	s_or_b64 exec, exec, s[8:9]
	buffer_load_dword v47, off, s[0:3], 0 offset:152
	buffer_load_dword v48, off, s[0:3], 0 offset:156
	v_cmp_lt_u32_e64 s[4:5], 19, v0
	s_waitcnt vmcnt(0)
	ds_write_b64 v50, v[47:48]
	s_waitcnt lgkmcnt(0)
	; wave barrier
	s_and_saveexec_b64 s[8:9], s[4:5]
	s_cbranch_execz .LBB22_26
; %bb.17:
	s_andn2_b64 vcc, exec, s[10:11]
	s_cbranch_vccnz .LBB22_19
; %bb.18:
	buffer_load_dword v47, v51, s[0:3], 0 offen
	buffer_load_dword v48, v51, s[0:3], 0 offen offset:4
	ds_read_b64 v[52:53], v50
	s_waitcnt vmcnt(0) lgkmcnt(0)
	v_mul_f64 v[47:48], v[47:48], v[52:53]
	s_cbranch_execz .LBB22_20
	s_branch .LBB22_21
.LBB22_19:
                                        ; implicit-def: $vgpr47_vgpr48
.LBB22_20:
	ds_read_b64 v[47:48], v50
.LBB22_21:
	s_and_saveexec_b64 s[12:13], s[6:7]
	s_cbranch_execz .LBB22_25
; %bb.22:
	v_subrev_u32_e32 v52, 20, v0
	s_movk_i32 s35, 0x160
	s_mov_b64 s[6:7], 0
.LBB22_23:                              ; =>This Inner Loop Header: Depth=1
	v_mov_b32_e32 v55, s34
	buffer_load_dword v53, v55, s[0:3], 0 offen
	buffer_load_dword v54, v55, s[0:3], 0 offen offset:4
	v_mov_b32_e32 v55, s35
	ds_read_b64 v[55:56], v55
	v_add_u32_e32 v52, -1, v52
	s_add_i32 s35, s35, 8
	s_add_i32 s34, s34, 8
	v_cmp_eq_u32_e32 vcc, 0, v52
	s_or_b64 s[6:7], vcc, s[6:7]
	s_waitcnt vmcnt(0) lgkmcnt(0)
	v_fma_f64 v[47:48], v[53:54], v[55:56], v[47:48]
	s_andn2_b64 exec, exec, s[6:7]
	s_cbranch_execnz .LBB22_23
; %bb.24:
	s_or_b64 exec, exec, s[6:7]
.LBB22_25:
	s_or_b64 exec, exec, s[12:13]
	v_mov_b32_e32 v52, 0
	ds_read_b64 v[52:53], v52 offset:152
	s_waitcnt lgkmcnt(0)
	v_mul_f64 v[47:48], v[47:48], v[52:53]
	buffer_store_dword v48, off, s[0:3], 0 offset:156
	buffer_store_dword v47, off, s[0:3], 0 offset:152
.LBB22_26:
	s_or_b64 exec, exec, s[8:9]
	buffer_load_dword v47, off, s[0:3], 0 offset:144
	buffer_load_dword v48, off, s[0:3], 0 offset:148
	v_cmp_lt_u32_e64 s[6:7], 18, v0
	s_waitcnt vmcnt(0)
	ds_write_b64 v50, v[47:48]
	s_waitcnt lgkmcnt(0)
	; wave barrier
	s_and_saveexec_b64 s[8:9], s[6:7]
	s_cbranch_execz .LBB22_36
; %bb.27:
	s_andn2_b64 vcc, exec, s[10:11]
	s_cbranch_vccnz .LBB22_29
; %bb.28:
	buffer_load_dword v47, v51, s[0:3], 0 offen
	buffer_load_dword v48, v51, s[0:3], 0 offen offset:4
	ds_read_b64 v[52:53], v50
	s_waitcnt vmcnt(0) lgkmcnt(0)
	v_mul_f64 v[47:48], v[47:48], v[52:53]
	s_cbranch_execz .LBB22_30
	s_branch .LBB22_31
.LBB22_29:
                                        ; implicit-def: $vgpr47_vgpr48
.LBB22_30:
	ds_read_b64 v[47:48], v50
.LBB22_31:
	s_and_saveexec_b64 s[12:13], s[4:5]
	s_cbranch_execz .LBB22_35
; %bb.32:
	v_subrev_u32_e32 v52, 19, v0
	s_movk_i32 s34, 0x158
	s_mov_b64 s[4:5], 0
.LBB22_33:                              ; =>This Inner Loop Header: Depth=1
	v_mov_b32_e32 v55, s33
	buffer_load_dword v53, v55, s[0:3], 0 offen
	buffer_load_dword v54, v55, s[0:3], 0 offen offset:4
	v_mov_b32_e32 v55, s34
	ds_read_b64 v[55:56], v55
	v_add_u32_e32 v52, -1, v52
	s_add_i32 s34, s34, 8
	s_add_i32 s33, s33, 8
	v_cmp_eq_u32_e32 vcc, 0, v52
	s_or_b64 s[4:5], vcc, s[4:5]
	s_waitcnt vmcnt(0) lgkmcnt(0)
	v_fma_f64 v[47:48], v[53:54], v[55:56], v[47:48]
	s_andn2_b64 exec, exec, s[4:5]
	s_cbranch_execnz .LBB22_33
; %bb.34:
	s_or_b64 exec, exec, s[4:5]
.LBB22_35:
	s_or_b64 exec, exec, s[12:13]
	v_mov_b32_e32 v52, 0
	ds_read_b64 v[52:53], v52 offset:144
	s_waitcnt lgkmcnt(0)
	v_mul_f64 v[47:48], v[47:48], v[52:53]
	buffer_store_dword v48, off, s[0:3], 0 offset:148
	buffer_store_dword v47, off, s[0:3], 0 offset:144
.LBB22_36:
	;; [unrolled: 58-line block ×4, first 2 shown]
	s_or_b64 exec, exec, s[8:9]
	buffer_load_dword v47, off, s[0:3], 0 offset:120
	buffer_load_dword v48, off, s[0:3], 0 offset:124
	v_cmp_lt_u32_e64 s[4:5], 15, v0
	s_waitcnt vmcnt(0)
	ds_write_b64 v50, v[47:48]
	s_waitcnt lgkmcnt(0)
	; wave barrier
	s_and_saveexec_b64 s[8:9], s[4:5]
	s_cbranch_execz .LBB22_66
; %bb.57:
	s_andn2_b64 vcc, exec, s[10:11]
	s_cbranch_vccnz .LBB22_59
; %bb.58:
	buffer_load_dword v47, v51, s[0:3], 0 offen
	buffer_load_dword v48, v51, s[0:3], 0 offen offset:4
	ds_read_b64 v[52:53], v50
	s_waitcnt vmcnt(0) lgkmcnt(0)
	v_mul_f64 v[47:48], v[47:48], v[52:53]
	s_cbranch_execz .LBB22_60
	s_branch .LBB22_61
.LBB22_59:
                                        ; implicit-def: $vgpr47_vgpr48
.LBB22_60:
	ds_read_b64 v[47:48], v50
.LBB22_61:
	s_and_saveexec_b64 s[12:13], s[6:7]
	s_cbranch_execz .LBB22_65
; %bb.62:
	v_add_u32_e32 v52, -16, v0
	s_movk_i32 s30, 0x140
	s_mov_b64 s[6:7], 0
.LBB22_63:                              ; =>This Inner Loop Header: Depth=1
	v_mov_b32_e32 v55, s29
	buffer_load_dword v53, v55, s[0:3], 0 offen
	buffer_load_dword v54, v55, s[0:3], 0 offen offset:4
	v_mov_b32_e32 v55, s30
	ds_read_b64 v[55:56], v55
	v_add_u32_e32 v52, -1, v52
	s_add_i32 s30, s30, 8
	s_add_i32 s29, s29, 8
	v_cmp_eq_u32_e32 vcc, 0, v52
	s_or_b64 s[6:7], vcc, s[6:7]
	s_waitcnt vmcnt(0) lgkmcnt(0)
	v_fma_f64 v[47:48], v[53:54], v[55:56], v[47:48]
	s_andn2_b64 exec, exec, s[6:7]
	s_cbranch_execnz .LBB22_63
; %bb.64:
	s_or_b64 exec, exec, s[6:7]
.LBB22_65:
	s_or_b64 exec, exec, s[12:13]
	v_mov_b32_e32 v52, 0
	ds_read_b64 v[52:53], v52 offset:120
	s_waitcnt lgkmcnt(0)
	v_mul_f64 v[47:48], v[47:48], v[52:53]
	buffer_store_dword v48, off, s[0:3], 0 offset:124
	buffer_store_dword v47, off, s[0:3], 0 offset:120
.LBB22_66:
	s_or_b64 exec, exec, s[8:9]
	buffer_load_dword v47, off, s[0:3], 0 offset:112
	buffer_load_dword v48, off, s[0:3], 0 offset:116
	v_cmp_lt_u32_e64 s[6:7], 14, v0
	s_waitcnt vmcnt(0)
	ds_write_b64 v50, v[47:48]
	s_waitcnt lgkmcnt(0)
	; wave barrier
	s_and_saveexec_b64 s[8:9], s[6:7]
	s_cbranch_execz .LBB22_76
; %bb.67:
	s_andn2_b64 vcc, exec, s[10:11]
	s_cbranch_vccnz .LBB22_69
; %bb.68:
	buffer_load_dword v47, v51, s[0:3], 0 offen
	buffer_load_dword v48, v51, s[0:3], 0 offen offset:4
	ds_read_b64 v[52:53], v50
	s_waitcnt vmcnt(0) lgkmcnt(0)
	v_mul_f64 v[47:48], v[47:48], v[52:53]
	s_cbranch_execz .LBB22_70
	s_branch .LBB22_71
.LBB22_69:
                                        ; implicit-def: $vgpr47_vgpr48
.LBB22_70:
	ds_read_b64 v[47:48], v50
.LBB22_71:
	s_and_saveexec_b64 s[12:13], s[4:5]
	s_cbranch_execz .LBB22_75
; %bb.72:
	v_add_u32_e32 v52, -15, v0
	s_movk_i32 s29, 0x138
	s_mov_b64 s[4:5], 0
.LBB22_73:                              ; =>This Inner Loop Header: Depth=1
	v_mov_b32_e32 v55, s28
	buffer_load_dword v53, v55, s[0:3], 0 offen
	buffer_load_dword v54, v55, s[0:3], 0 offen offset:4
	v_mov_b32_e32 v55, s29
	ds_read_b64 v[55:56], v55
	v_add_u32_e32 v52, -1, v52
	s_add_i32 s29, s29, 8
	s_add_i32 s28, s28, 8
	v_cmp_eq_u32_e32 vcc, 0, v52
	s_or_b64 s[4:5], vcc, s[4:5]
	s_waitcnt vmcnt(0) lgkmcnt(0)
	v_fma_f64 v[47:48], v[53:54], v[55:56], v[47:48]
	s_andn2_b64 exec, exec, s[4:5]
	s_cbranch_execnz .LBB22_73
; %bb.74:
	s_or_b64 exec, exec, s[4:5]
.LBB22_75:
	s_or_b64 exec, exec, s[12:13]
	v_mov_b32_e32 v52, 0
	ds_read_b64 v[52:53], v52 offset:112
	s_waitcnt lgkmcnt(0)
	v_mul_f64 v[47:48], v[47:48], v[52:53]
	buffer_store_dword v48, off, s[0:3], 0 offset:116
	buffer_store_dword v47, off, s[0:3], 0 offset:112
.LBB22_76:
	;; [unrolled: 58-line block ×4, first 2 shown]
	s_or_b64 exec, exec, s[8:9]
	buffer_load_dword v47, off, s[0:3], 0 offset:88
	buffer_load_dword v48, off, s[0:3], 0 offset:92
	v_cmp_lt_u32_e64 s[4:5], 11, v0
	s_waitcnt vmcnt(0)
	ds_write_b64 v50, v[47:48]
	s_waitcnt lgkmcnt(0)
	; wave barrier
	s_and_saveexec_b64 s[8:9], s[4:5]
	s_cbranch_execz .LBB22_106
; %bb.97:
	s_andn2_b64 vcc, exec, s[10:11]
	s_cbranch_vccnz .LBB22_99
; %bb.98:
	buffer_load_dword v47, v51, s[0:3], 0 offen
	buffer_load_dword v48, v51, s[0:3], 0 offen offset:4
	ds_read_b64 v[52:53], v50
	s_waitcnt vmcnt(0) lgkmcnt(0)
	v_mul_f64 v[47:48], v[47:48], v[52:53]
	s_cbranch_execz .LBB22_100
	s_branch .LBB22_101
.LBB22_99:
                                        ; implicit-def: $vgpr47_vgpr48
.LBB22_100:
	ds_read_b64 v[47:48], v50
.LBB22_101:
	s_and_saveexec_b64 s[12:13], s[6:7]
	s_cbranch_execz .LBB22_105
; %bb.102:
	v_add_u32_e32 v52, -12, v0
	s_movk_i32 s26, 0x120
	s_mov_b64 s[6:7], 0
.LBB22_103:                             ; =>This Inner Loop Header: Depth=1
	v_mov_b32_e32 v55, s25
	buffer_load_dword v53, v55, s[0:3], 0 offen
	buffer_load_dword v54, v55, s[0:3], 0 offen offset:4
	v_mov_b32_e32 v55, s26
	ds_read_b64 v[55:56], v55
	v_add_u32_e32 v52, -1, v52
	s_add_i32 s26, s26, 8
	s_add_i32 s25, s25, 8
	v_cmp_eq_u32_e32 vcc, 0, v52
	s_or_b64 s[6:7], vcc, s[6:7]
	s_waitcnt vmcnt(0) lgkmcnt(0)
	v_fma_f64 v[47:48], v[53:54], v[55:56], v[47:48]
	s_andn2_b64 exec, exec, s[6:7]
	s_cbranch_execnz .LBB22_103
; %bb.104:
	s_or_b64 exec, exec, s[6:7]
.LBB22_105:
	s_or_b64 exec, exec, s[12:13]
	v_mov_b32_e32 v52, 0
	ds_read_b64 v[52:53], v52 offset:88
	s_waitcnt lgkmcnt(0)
	v_mul_f64 v[47:48], v[47:48], v[52:53]
	buffer_store_dword v48, off, s[0:3], 0 offset:92
	buffer_store_dword v47, off, s[0:3], 0 offset:88
.LBB22_106:
	s_or_b64 exec, exec, s[8:9]
	buffer_load_dword v47, off, s[0:3], 0 offset:80
	buffer_load_dword v48, off, s[0:3], 0 offset:84
	v_cmp_lt_u32_e64 s[6:7], 10, v0
	s_waitcnt vmcnt(0)
	ds_write_b64 v50, v[47:48]
	s_waitcnt lgkmcnt(0)
	; wave barrier
	s_and_saveexec_b64 s[8:9], s[6:7]
	s_cbranch_execz .LBB22_116
; %bb.107:
	s_andn2_b64 vcc, exec, s[10:11]
	s_cbranch_vccnz .LBB22_109
; %bb.108:
	buffer_load_dword v47, v51, s[0:3], 0 offen
	buffer_load_dword v48, v51, s[0:3], 0 offen offset:4
	ds_read_b64 v[52:53], v50
	s_waitcnt vmcnt(0) lgkmcnt(0)
	v_mul_f64 v[47:48], v[47:48], v[52:53]
	s_cbranch_execz .LBB22_110
	s_branch .LBB22_111
.LBB22_109:
                                        ; implicit-def: $vgpr47_vgpr48
.LBB22_110:
	ds_read_b64 v[47:48], v50
.LBB22_111:
	s_and_saveexec_b64 s[12:13], s[4:5]
	s_cbranch_execz .LBB22_115
; %bb.112:
	v_add_u32_e32 v52, -11, v0
	s_movk_i32 s25, 0x118
	s_mov_b64 s[4:5], 0
.LBB22_113:                             ; =>This Inner Loop Header: Depth=1
	v_mov_b32_e32 v55, s24
	buffer_load_dword v53, v55, s[0:3], 0 offen
	buffer_load_dword v54, v55, s[0:3], 0 offen offset:4
	v_mov_b32_e32 v55, s25
	ds_read_b64 v[55:56], v55
	v_add_u32_e32 v52, -1, v52
	s_add_i32 s25, s25, 8
	s_add_i32 s24, s24, 8
	v_cmp_eq_u32_e32 vcc, 0, v52
	s_or_b64 s[4:5], vcc, s[4:5]
	s_waitcnt vmcnt(0) lgkmcnt(0)
	v_fma_f64 v[47:48], v[53:54], v[55:56], v[47:48]
	s_andn2_b64 exec, exec, s[4:5]
	s_cbranch_execnz .LBB22_113
; %bb.114:
	s_or_b64 exec, exec, s[4:5]
.LBB22_115:
	s_or_b64 exec, exec, s[12:13]
	v_mov_b32_e32 v52, 0
	ds_read_b64 v[52:53], v52 offset:80
	s_waitcnt lgkmcnt(0)
	v_mul_f64 v[47:48], v[47:48], v[52:53]
	buffer_store_dword v48, off, s[0:3], 0 offset:84
	buffer_store_dword v47, off, s[0:3], 0 offset:80
.LBB22_116:
	;; [unrolled: 58-line block ×11, first 2 shown]
	s_or_b64 exec, exec, s[8:9]
	buffer_load_dword v47, off, s[0:3], 0
	buffer_load_dword v48, off, s[0:3], 0 offset:4
	v_cmp_ne_u32_e32 vcc, 0, v0
	s_waitcnt vmcnt(0)
	ds_write_b64 v50, v[47:48]
	s_waitcnt lgkmcnt(0)
	; wave barrier
	s_and_saveexec_b64 s[6:7], vcc
	s_cbranch_execz .LBB22_216
; %bb.207:
	s_andn2_b64 vcc, exec, s[10:11]
	s_cbranch_vccnz .LBB22_209
; %bb.208:
	buffer_load_dword v47, v51, s[0:3], 0 offen
	buffer_load_dword v48, v51, s[0:3], 0 offen offset:4
	ds_read_b64 v[52:53], v50
	s_waitcnt vmcnt(0) lgkmcnt(0)
	v_mul_f64 v[47:48], v[47:48], v[52:53]
	s_cbranch_execz .LBB22_210
	s_branch .LBB22_211
.LBB22_209:
                                        ; implicit-def: $vgpr47_vgpr48
.LBB22_210:
	ds_read_b64 v[47:48], v50
.LBB22_211:
	s_and_saveexec_b64 s[8:9], s[4:5]
	s_cbranch_execz .LBB22_215
; %bb.212:
	v_add_u32_e32 v52, -1, v0
	s_movk_i32 s12, 0xc8
	s_mov_b64 s[4:5], 0
.LBB22_213:                             ; =>This Inner Loop Header: Depth=1
	v_mov_b32_e32 v55, s14
	buffer_load_dword v53, v55, s[0:3], 0 offen
	buffer_load_dword v54, v55, s[0:3], 0 offen offset:4
	v_mov_b32_e32 v55, s12
	ds_read_b64 v[55:56], v55
	v_add_u32_e32 v52, -1, v52
	s_add_i32 s12, s12, 8
	s_add_i32 s14, s14, 8
	v_cmp_eq_u32_e32 vcc, 0, v52
	s_or_b64 s[4:5], vcc, s[4:5]
	s_waitcnt vmcnt(0) lgkmcnt(0)
	v_fma_f64 v[47:48], v[53:54], v[55:56], v[47:48]
	s_andn2_b64 exec, exec, s[4:5]
	s_cbranch_execnz .LBB22_213
; %bb.214:
	s_or_b64 exec, exec, s[4:5]
.LBB22_215:
	s_or_b64 exec, exec, s[8:9]
	v_mov_b32_e32 v52, 0
	ds_read_b64 v[52:53], v52
	s_waitcnt lgkmcnt(0)
	v_mul_f64 v[47:48], v[47:48], v[52:53]
	buffer_store_dword v48, off, s[0:3], 0 offset:4
	buffer_store_dword v47, off, s[0:3], 0
.LBB22_216:
	s_or_b64 exec, exec, s[6:7]
	s_mov_b64 s[4:5], 0
.LBB22_217:
	s_and_b64 vcc, exec, s[4:5]
	s_cbranch_vccz .LBB22_429
; %bb.218:
	buffer_load_dword v47, off, s[0:3], 0 offset:8
	buffer_load_dword v48, off, s[0:3], 0 offset:12
	v_cmp_eq_u32_e64 s[6:7], 0, v0
	s_waitcnt vmcnt(0)
	ds_write_b64 v50, v[47:48]
	s_waitcnt lgkmcnt(0)
	; wave barrier
	s_and_saveexec_b64 s[4:5], s[6:7]
	s_cbranch_execz .LBB22_224
; %bb.219:
	s_and_b64 vcc, exec, s[10:11]
	s_cbranch_vccz .LBB22_221
; %bb.220:
	buffer_load_dword v47, v51, s[0:3], 0 offen
	buffer_load_dword v48, v51, s[0:3], 0 offen offset:4
	ds_read_b64 v[52:53], v50
	s_waitcnt vmcnt(0) lgkmcnt(0)
	v_mul_f64 v[47:48], v[47:48], v[52:53]
	s_cbranch_execz .LBB22_222
	s_branch .LBB22_223
.LBB22_221:
                                        ; implicit-def: $vgpr47_vgpr48
.LBB22_222:
	ds_read_b64 v[47:48], v50
.LBB22_223:
	v_mov_b32_e32 v52, 0
	ds_read_b64 v[52:53], v52 offset:8
	s_waitcnt lgkmcnt(0)
	v_mul_f64 v[47:48], v[47:48], v[52:53]
	buffer_store_dword v48, off, s[0:3], 0 offset:12
	buffer_store_dword v47, off, s[0:3], 0 offset:8
.LBB22_224:
	s_or_b64 exec, exec, s[4:5]
	buffer_load_dword v47, off, s[0:3], 0 offset:16
	buffer_load_dword v48, off, s[0:3], 0 offset:20
	v_cndmask_b32_e64 v52, 0, 1, s[10:11]
	v_cmp_gt_u32_e32 vcc, 2, v0
	v_cmp_ne_u32_e64 s[4:5], 1, v52
	s_waitcnt vmcnt(0)
	ds_write_b64 v50, v[47:48]
	s_waitcnt lgkmcnt(0)
	; wave barrier
	s_and_saveexec_b64 s[8:9], vcc
	s_cbranch_execz .LBB22_230
; %bb.225:
	s_and_b64 vcc, exec, s[4:5]
	s_cbranch_vccnz .LBB22_227
; %bb.226:
	buffer_load_dword v47, v51, s[0:3], 0 offen
	buffer_load_dword v48, v51, s[0:3], 0 offen offset:4
	ds_read_b64 v[52:53], v50
	s_waitcnt vmcnt(0) lgkmcnt(0)
	v_mul_f64 v[47:48], v[47:48], v[52:53]
	s_cbranch_execz .LBB22_228
	s_branch .LBB22_229
.LBB22_227:
                                        ; implicit-def: $vgpr47_vgpr48
.LBB22_228:
	ds_read_b64 v[47:48], v50
.LBB22_229:
	buffer_load_dword v56, off, s[0:3], 0 offset:8
	buffer_load_dword v57, off, s[0:3], 0 offset:12
	v_mov_b32_e32 v52, 0
	ds_read2_b64 v[52:55], v52 offset0:2 offset1:25
	s_waitcnt vmcnt(0) lgkmcnt(0)
	v_fma_f64 v[54:55], v[56:57], v[54:55], v[47:48]
	v_cndmask_b32_e64 v48, v48, v55, s[6:7]
	v_cndmask_b32_e64 v47, v47, v54, s[6:7]
	v_mul_f64 v[47:48], v[47:48], v[52:53]
	buffer_store_dword v48, off, s[0:3], 0 offset:20
	buffer_store_dword v47, off, s[0:3], 0 offset:16
.LBB22_230:
	s_or_b64 exec, exec, s[8:9]
	buffer_load_dword v47, off, s[0:3], 0 offset:24
	buffer_load_dword v48, off, s[0:3], 0 offset:28
	v_cmp_gt_u32_e32 vcc, 3, v0
	s_waitcnt vmcnt(0)
	ds_write_b64 v50, v[47:48]
	s_waitcnt lgkmcnt(0)
	; wave barrier
	s_and_saveexec_b64 s[8:9], vcc
	s_cbranch_execz .LBB22_238
; %bb.231:
	s_and_b64 vcc, exec, s[4:5]
	s_cbranch_vccnz .LBB22_233
; %bb.232:
	buffer_load_dword v47, v51, s[0:3], 0 offen
	buffer_load_dword v48, v51, s[0:3], 0 offen offset:4
	ds_read_b64 v[52:53], v50
	s_waitcnt vmcnt(0) lgkmcnt(0)
	v_mul_f64 v[47:48], v[47:48], v[52:53]
	s_cbranch_execz .LBB22_234
	s_branch .LBB22_235
.LBB22_233:
                                        ; implicit-def: $vgpr47_vgpr48
.LBB22_234:
	ds_read_b64 v[47:48], v50
.LBB22_235:
	v_cmp_ne_u32_e32 vcc, 2, v0
	s_and_saveexec_b64 s[10:11], vcc
	s_cbranch_execz .LBB22_237
; %bb.236:
	buffer_load_dword v52, v51, s[0:3], 0 offen offset:8
	buffer_load_dword v53, v51, s[0:3], 0 offen offset:12
	buffer_load_dword v54, off, s[0:3], 0 offset:16
	buffer_load_dword v55, off, s[0:3], 0 offset:20
	ds_read_b64 v[56:57], v50 offset:8
	v_mov_b32_e32 v58, 0
	ds_read_b64 v[58:59], v58 offset:208
	s_waitcnt vmcnt(2) lgkmcnt(1)
	v_fma_f64 v[47:48], v[52:53], v[56:57], v[47:48]
	s_waitcnt vmcnt(0) lgkmcnt(0)
	v_fma_f64 v[52:53], v[54:55], v[58:59], v[47:48]
	v_cndmask_b32_e64 v48, v48, v53, s[6:7]
	v_cndmask_b32_e64 v47, v47, v52, s[6:7]
.LBB22_237:
	s_or_b64 exec, exec, s[10:11]
	v_mov_b32_e32 v52, 0
	ds_read_b64 v[52:53], v52 offset:24
	s_waitcnt lgkmcnt(0)
	v_mul_f64 v[47:48], v[47:48], v[52:53]
	buffer_store_dword v48, off, s[0:3], 0 offset:28
	buffer_store_dword v47, off, s[0:3], 0 offset:24
.LBB22_238:
	s_or_b64 exec, exec, s[8:9]
	buffer_load_dword v47, off, s[0:3], 0 offset:32
	buffer_load_dword v48, off, s[0:3], 0 offset:36
	v_cmp_gt_u32_e32 vcc, 4, v0
	s_waitcnt vmcnt(0)
	ds_write_b64 v50, v[47:48]
	s_waitcnt lgkmcnt(0)
	; wave barrier
	s_and_saveexec_b64 s[6:7], vcc
	s_cbranch_execz .LBB22_248
; %bb.239:
	s_and_b64 vcc, exec, s[4:5]
	s_cbranch_vccnz .LBB22_241
; %bb.240:
	buffer_load_dword v47, v51, s[0:3], 0 offen
	buffer_load_dword v48, v51, s[0:3], 0 offen offset:4
	ds_read_b64 v[52:53], v50
	s_waitcnt vmcnt(0) lgkmcnt(0)
	v_mul_f64 v[47:48], v[47:48], v[52:53]
	s_cbranch_execz .LBB22_242
	s_branch .LBB22_243
.LBB22_241:
                                        ; implicit-def: $vgpr47_vgpr48
.LBB22_242:
	ds_read_b64 v[47:48], v50
.LBB22_243:
	v_cmp_ne_u32_e32 vcc, 3, v0
	s_and_saveexec_b64 s[8:9], vcc
	s_cbranch_execz .LBB22_247
; %bb.244:
	s_mov_b32 s10, 0
	v_add_u32_e32 v52, 0xc8, v49
	v_add3_u32 v53, v49, s10, 8
	s_mov_b64 s[10:11], 0
	v_mov_b32_e32 v54, v0
.LBB22_245:                             ; =>This Inner Loop Header: Depth=1
	buffer_load_dword v55, v53, s[0:3], 0 offen
	buffer_load_dword v56, v53, s[0:3], 0 offen offset:4
	ds_read_b64 v[57:58], v52
	v_add_u32_e32 v54, 1, v54
	v_cmp_lt_u32_e32 vcc, 2, v54
	v_add_u32_e32 v52, 8, v52
	s_or_b64 s[10:11], vcc, s[10:11]
	v_add_u32_e32 v53, 8, v53
	s_waitcnt vmcnt(0) lgkmcnt(0)
	v_fma_f64 v[47:48], v[55:56], v[57:58], v[47:48]
	s_andn2_b64 exec, exec, s[10:11]
	s_cbranch_execnz .LBB22_245
; %bb.246:
	s_or_b64 exec, exec, s[10:11]
.LBB22_247:
	s_or_b64 exec, exec, s[8:9]
	v_mov_b32_e32 v52, 0
	ds_read_b64 v[52:53], v52 offset:32
	s_waitcnt lgkmcnt(0)
	v_mul_f64 v[47:48], v[47:48], v[52:53]
	buffer_store_dword v48, off, s[0:3], 0 offset:36
	buffer_store_dword v47, off, s[0:3], 0 offset:32
.LBB22_248:
	s_or_b64 exec, exec, s[6:7]
	buffer_load_dword v47, off, s[0:3], 0 offset:40
	buffer_load_dword v48, off, s[0:3], 0 offset:44
	v_cmp_gt_u32_e32 vcc, 5, v0
	s_waitcnt vmcnt(0)
	ds_write_b64 v50, v[47:48]
	s_waitcnt lgkmcnt(0)
	; wave barrier
	s_and_saveexec_b64 s[6:7], vcc
	s_cbranch_execz .LBB22_258
; %bb.249:
	s_and_b64 vcc, exec, s[4:5]
	s_cbranch_vccnz .LBB22_251
; %bb.250:
	buffer_load_dword v47, v51, s[0:3], 0 offen
	buffer_load_dword v48, v51, s[0:3], 0 offen offset:4
	ds_read_b64 v[52:53], v50
	s_waitcnt vmcnt(0) lgkmcnt(0)
	v_mul_f64 v[47:48], v[47:48], v[52:53]
	s_cbranch_execz .LBB22_252
	s_branch .LBB22_253
.LBB22_251:
                                        ; implicit-def: $vgpr47_vgpr48
.LBB22_252:
	ds_read_b64 v[47:48], v50
.LBB22_253:
	v_cmp_ne_u32_e32 vcc, 4, v0
	s_and_saveexec_b64 s[8:9], vcc
	s_cbranch_execz .LBB22_257
; %bb.254:
	s_mov_b32 s10, 0
	v_add_u32_e32 v52, 0xc8, v49
	v_add3_u32 v53, v49, s10, 8
	s_mov_b64 s[10:11], 0
	v_mov_b32_e32 v54, v0
.LBB22_255:                             ; =>This Inner Loop Header: Depth=1
	buffer_load_dword v55, v53, s[0:3], 0 offen
	buffer_load_dword v56, v53, s[0:3], 0 offen offset:4
	ds_read_b64 v[57:58], v52
	v_add_u32_e32 v54, 1, v54
	v_cmp_lt_u32_e32 vcc, 3, v54
	v_add_u32_e32 v52, 8, v52
	s_or_b64 s[10:11], vcc, s[10:11]
	v_add_u32_e32 v53, 8, v53
	s_waitcnt vmcnt(0) lgkmcnt(0)
	v_fma_f64 v[47:48], v[55:56], v[57:58], v[47:48]
	s_andn2_b64 exec, exec, s[10:11]
	s_cbranch_execnz .LBB22_255
; %bb.256:
	s_or_b64 exec, exec, s[10:11]
.LBB22_257:
	s_or_b64 exec, exec, s[8:9]
	v_mov_b32_e32 v52, 0
	ds_read_b64 v[52:53], v52 offset:40
	s_waitcnt lgkmcnt(0)
	v_mul_f64 v[47:48], v[47:48], v[52:53]
	buffer_store_dword v48, off, s[0:3], 0 offset:44
	buffer_store_dword v47, off, s[0:3], 0 offset:40
.LBB22_258:
	;; [unrolled: 59-line block ×17, first 2 shown]
	s_or_b64 exec, exec, s[6:7]
	buffer_load_dword v47, off, s[0:3], 0 offset:168
	buffer_load_dword v48, off, s[0:3], 0 offset:172
	v_cmp_gt_u32_e64 s[6:7], 21, v0
	s_waitcnt vmcnt(0)
	ds_write_b64 v50, v[47:48]
	s_waitcnt lgkmcnt(0)
	; wave barrier
	s_and_saveexec_b64 s[8:9], s[6:7]
	s_cbranch_execz .LBB22_418
; %bb.409:
	s_and_b64 vcc, exec, s[4:5]
	s_cbranch_vccnz .LBB22_411
; %bb.410:
	buffer_load_dword v47, v51, s[0:3], 0 offen
	buffer_load_dword v48, v51, s[0:3], 0 offen offset:4
	ds_read_b64 v[52:53], v50
	s_waitcnt vmcnt(0) lgkmcnt(0)
	v_mul_f64 v[47:48], v[47:48], v[52:53]
	s_cbranch_execz .LBB22_412
	s_branch .LBB22_413
.LBB22_411:
                                        ; implicit-def: $vgpr47_vgpr48
.LBB22_412:
	ds_read_b64 v[47:48], v50
.LBB22_413:
	v_cmp_ne_u32_e32 vcc, 20, v0
	s_and_saveexec_b64 s[10:11], vcc
	s_cbranch_execz .LBB22_417
; %bb.414:
	s_mov_b32 s12, 0
	v_add_u32_e32 v52, 0xc8, v49
	v_add3_u32 v53, v49, s12, 8
	s_mov_b64 s[12:13], 0
	v_mov_b32_e32 v54, v0
.LBB22_415:                             ; =>This Inner Loop Header: Depth=1
	buffer_load_dword v55, v53, s[0:3], 0 offen
	buffer_load_dword v56, v53, s[0:3], 0 offen offset:4
	ds_read_b64 v[57:58], v52
	v_add_u32_e32 v54, 1, v54
	v_cmp_lt_u32_e32 vcc, 19, v54
	v_add_u32_e32 v52, 8, v52
	s_or_b64 s[12:13], vcc, s[12:13]
	v_add_u32_e32 v53, 8, v53
	s_waitcnt vmcnt(0) lgkmcnt(0)
	v_fma_f64 v[47:48], v[55:56], v[57:58], v[47:48]
	s_andn2_b64 exec, exec, s[12:13]
	s_cbranch_execnz .LBB22_415
; %bb.416:
	s_or_b64 exec, exec, s[12:13]
.LBB22_417:
	s_or_b64 exec, exec, s[10:11]
	v_mov_b32_e32 v52, 0
	ds_read_b64 v[52:53], v52 offset:168
	s_waitcnt lgkmcnt(0)
	v_mul_f64 v[47:48], v[47:48], v[52:53]
	buffer_store_dword v48, off, s[0:3], 0 offset:172
	buffer_store_dword v47, off, s[0:3], 0 offset:168
.LBB22_418:
	s_or_b64 exec, exec, s[8:9]
	buffer_load_dword v47, off, s[0:3], 0 offset:176
	buffer_load_dword v48, off, s[0:3], 0 offset:180
	v_cmp_ne_u32_e32 vcc, 22, v0
	s_waitcnt vmcnt(0)
	ds_write_b64 v50, v[47:48]
	s_waitcnt lgkmcnt(0)
	; wave barrier
	s_and_saveexec_b64 s[8:9], vcc
	s_cbranch_execz .LBB22_428
; %bb.419:
	s_and_b64 vcc, exec, s[4:5]
	s_cbranch_vccnz .LBB22_421
; %bb.420:
	buffer_load_dword v47, v51, s[0:3], 0 offen
	buffer_load_dword v48, v51, s[0:3], 0 offen offset:4
	ds_read_b64 v[51:52], v50
	s_waitcnt vmcnt(0) lgkmcnt(0)
	v_mul_f64 v[47:48], v[47:48], v[51:52]
	s_cbranch_execz .LBB22_422
	s_branch .LBB22_423
.LBB22_421:
                                        ; implicit-def: $vgpr47_vgpr48
.LBB22_422:
	ds_read_b64 v[47:48], v50
.LBB22_423:
	s_and_saveexec_b64 s[4:5], s[6:7]
	s_cbranch_execz .LBB22_427
; %bb.424:
	s_mov_b32 s6, 0
	v_add_u32_e32 v50, 0xc8, v49
	v_add3_u32 v49, v49, s6, 8
	s_mov_b64 s[6:7], 0
.LBB22_425:                             ; =>This Inner Loop Header: Depth=1
	buffer_load_dword v51, v49, s[0:3], 0 offen
	buffer_load_dword v52, v49, s[0:3], 0 offen offset:4
	ds_read_b64 v[53:54], v50
	v_add_u32_e32 v0, 1, v0
	v_cmp_lt_u32_e32 vcc, 20, v0
	v_add_u32_e32 v50, 8, v50
	s_or_b64 s[6:7], vcc, s[6:7]
	v_add_u32_e32 v49, 8, v49
	s_waitcnt vmcnt(0) lgkmcnt(0)
	v_fma_f64 v[47:48], v[51:52], v[53:54], v[47:48]
	s_andn2_b64 exec, exec, s[6:7]
	s_cbranch_execnz .LBB22_425
; %bb.426:
	s_or_b64 exec, exec, s[6:7]
.LBB22_427:
	s_or_b64 exec, exec, s[4:5]
	v_mov_b32_e32 v0, 0
	ds_read_b64 v[49:50], v0 offset:176
	s_waitcnt lgkmcnt(0)
	v_mul_f64 v[47:48], v[47:48], v[49:50]
	buffer_store_dword v48, off, s[0:3], 0 offset:180
	buffer_store_dword v47, off, s[0:3], 0 offset:176
.LBB22_428:
	s_or_b64 exec, exec, s[8:9]
.LBB22_429:
	buffer_load_dword v47, off, s[0:3], 0
	buffer_load_dword v48, off, s[0:3], 0 offset:4
	buffer_load_dword v49, off, s[0:3], 0 offset:8
	buffer_load_dword v50, off, s[0:3], 0 offset:12
	buffer_load_dword v51, off, s[0:3], 0 offset:16
	buffer_load_dword v52, off, s[0:3], 0 offset:20
	buffer_load_dword v53, off, s[0:3], 0 offset:24
	buffer_load_dword v54, off, s[0:3], 0 offset:28
	buffer_load_dword v55, off, s[0:3], 0 offset:32
	buffer_load_dword v56, off, s[0:3], 0 offset:36
	buffer_load_dword v57, off, s[0:3], 0 offset:40
	buffer_load_dword v58, off, s[0:3], 0 offset:44
	buffer_load_dword v59, off, s[0:3], 0 offset:48
	buffer_load_dword v60, off, s[0:3], 0 offset:52
	s_waitcnt vmcnt(12)
	global_store_dwordx2 v[43:44], v[47:48], off
	buffer_load_dword v43, off, s[0:3], 0 offset:56
	s_nop 0
	buffer_load_dword v44, off, s[0:3], 0 offset:60
	s_waitcnt vmcnt(13)
	global_store_dwordx2 v[45:46], v[49:50], off
	s_waitcnt vmcnt(12)
	global_store_dwordx2 v[13:14], v[51:52], off
	buffer_load_dword v14, off, s[0:3], 0 offset:68
	s_nop 0
	buffer_load_dword v45, off, s[0:3], 0 offset:72
	buffer_load_dword v46, off, s[0:3], 0 offset:76
	;; [unrolled: 1-line block ×7, first 2 shown]
	s_waitcnt vmcnt(19)
	global_store_dwordx2 v[1:2], v[53:54], off
	s_waitcnt vmcnt(18)
	global_store_dwordx2 v[9:10], v[55:56], off
	buffer_load_dword v0, off, s[0:3], 0 offset:96
	buffer_load_dword v1, off, s[0:3], 0 offset:100
	s_nop 0
	buffer_load_dword v9, off, s[0:3], 0 offset:104
	buffer_load_dword v10, off, s[0:3], 0 offset:108
	;; [unrolled: 1-line block ×6, first 2 shown]
	s_waitcnt vmcnt(25)
	global_store_dwordx2 v[3:4], v[57:58], off
	s_waitcnt vmcnt(24)
	global_store_dwordx2 v[11:12], v[59:60], off
	buffer_load_dword v2, off, s[0:3], 0 offset:128
	buffer_load_dword v3, off, s[0:3], 0 offset:132
	s_nop 0
	buffer_load_dword v11, off, s[0:3], 0 offset:136
	buffer_load_dword v12, off, s[0:3], 0 offset:140
	;; [unrolled: 1-line block ×6, first 2 shown]
	s_waitcnt vmcnt(30)
	global_store_dwordx2 v[7:8], v[43:44], off
	buffer_load_dword v7, off, s[0:3], 0 offset:160
	s_nop 0
	buffer_load_dword v8, off, s[0:3], 0 offset:164
	buffer_load_dword v43, off, s[0:3], 0 offset:168
	;; [unrolled: 1-line block ×5, first 2 shown]
	s_waitcnt vmcnt(27)
	global_store_dwordx2 v[5:6], v[13:14], off
	global_store_dwordx2 v[15:16], v[45:46], off
	;; [unrolled: 1-line block ×4, first 2 shown]
	s_waitcnt vmcnt(27)
	global_store_dwordx2 v[21:22], v[0:1], off
	s_waitcnt vmcnt(26)
	global_store_dwordx2 v[23:24], v[9:10], off
	;; [unrolled: 2-line block ×11, first 2 shown]
.LBB22_430:
	s_endpgm
	.section	.rodata,"a",@progbits
	.p2align	6, 0x0
	.amdhsa_kernel _ZN9rocsolver6v33100L18trti2_kernel_smallILi23EdPdEEv13rocblas_fill_17rocblas_diagonal_T1_iil
		.amdhsa_group_segment_fixed_size 376
		.amdhsa_private_segment_fixed_size 192
		.amdhsa_kernarg_size 32
		.amdhsa_user_sgpr_count 6
		.amdhsa_user_sgpr_private_segment_buffer 1
		.amdhsa_user_sgpr_dispatch_ptr 0
		.amdhsa_user_sgpr_queue_ptr 0
		.amdhsa_user_sgpr_kernarg_segment_ptr 1
		.amdhsa_user_sgpr_dispatch_id 0
		.amdhsa_user_sgpr_flat_scratch_init 0
		.amdhsa_user_sgpr_private_segment_size 0
		.amdhsa_uses_dynamic_stack 0
		.amdhsa_system_sgpr_private_segment_wavefront_offset 1
		.amdhsa_system_sgpr_workgroup_id_x 1
		.amdhsa_system_sgpr_workgroup_id_y 0
		.amdhsa_system_sgpr_workgroup_id_z 0
		.amdhsa_system_sgpr_workgroup_info 0
		.amdhsa_system_vgpr_workitem_id 0
		.amdhsa_next_free_vgpr 61
		.amdhsa_next_free_sgpr 36
		.amdhsa_reserve_vcc 1
		.amdhsa_reserve_flat_scratch 0
		.amdhsa_float_round_mode_32 0
		.amdhsa_float_round_mode_16_64 0
		.amdhsa_float_denorm_mode_32 3
		.amdhsa_float_denorm_mode_16_64 3
		.amdhsa_dx10_clamp 1
		.amdhsa_ieee_mode 1
		.amdhsa_fp16_overflow 0
		.amdhsa_exception_fp_ieee_invalid_op 0
		.amdhsa_exception_fp_denorm_src 0
		.amdhsa_exception_fp_ieee_div_zero 0
		.amdhsa_exception_fp_ieee_overflow 0
		.amdhsa_exception_fp_ieee_underflow 0
		.amdhsa_exception_fp_ieee_inexact 0
		.amdhsa_exception_int_div_zero 0
	.end_amdhsa_kernel
	.section	.text._ZN9rocsolver6v33100L18trti2_kernel_smallILi23EdPdEEv13rocblas_fill_17rocblas_diagonal_T1_iil,"axG",@progbits,_ZN9rocsolver6v33100L18trti2_kernel_smallILi23EdPdEEv13rocblas_fill_17rocblas_diagonal_T1_iil,comdat
.Lfunc_end22:
	.size	_ZN9rocsolver6v33100L18trti2_kernel_smallILi23EdPdEEv13rocblas_fill_17rocblas_diagonal_T1_iil, .Lfunc_end22-_ZN9rocsolver6v33100L18trti2_kernel_smallILi23EdPdEEv13rocblas_fill_17rocblas_diagonal_T1_iil
                                        ; -- End function
	.set _ZN9rocsolver6v33100L18trti2_kernel_smallILi23EdPdEEv13rocblas_fill_17rocblas_diagonal_T1_iil.num_vgpr, 61
	.set _ZN9rocsolver6v33100L18trti2_kernel_smallILi23EdPdEEv13rocblas_fill_17rocblas_diagonal_T1_iil.num_agpr, 0
	.set _ZN9rocsolver6v33100L18trti2_kernel_smallILi23EdPdEEv13rocblas_fill_17rocblas_diagonal_T1_iil.numbered_sgpr, 36
	.set _ZN9rocsolver6v33100L18trti2_kernel_smallILi23EdPdEEv13rocblas_fill_17rocblas_diagonal_T1_iil.num_named_barrier, 0
	.set _ZN9rocsolver6v33100L18trti2_kernel_smallILi23EdPdEEv13rocblas_fill_17rocblas_diagonal_T1_iil.private_seg_size, 192
	.set _ZN9rocsolver6v33100L18trti2_kernel_smallILi23EdPdEEv13rocblas_fill_17rocblas_diagonal_T1_iil.uses_vcc, 1
	.set _ZN9rocsolver6v33100L18trti2_kernel_smallILi23EdPdEEv13rocblas_fill_17rocblas_diagonal_T1_iil.uses_flat_scratch, 0
	.set _ZN9rocsolver6v33100L18trti2_kernel_smallILi23EdPdEEv13rocblas_fill_17rocblas_diagonal_T1_iil.has_dyn_sized_stack, 0
	.set _ZN9rocsolver6v33100L18trti2_kernel_smallILi23EdPdEEv13rocblas_fill_17rocblas_diagonal_T1_iil.has_recursion, 0
	.set _ZN9rocsolver6v33100L18trti2_kernel_smallILi23EdPdEEv13rocblas_fill_17rocblas_diagonal_T1_iil.has_indirect_call, 0
	.section	.AMDGPU.csdata,"",@progbits
; Kernel info:
; codeLenInByte = 13252
; TotalNumSgprs: 40
; NumVgprs: 61
; ScratchSize: 192
; MemoryBound: 0
; FloatMode: 240
; IeeeMode: 1
; LDSByteSize: 376 bytes/workgroup (compile time only)
; SGPRBlocks: 4
; VGPRBlocks: 15
; NumSGPRsForWavesPerEU: 40
; NumVGPRsForWavesPerEU: 61
; Occupancy: 4
; WaveLimiterHint : 0
; COMPUTE_PGM_RSRC2:SCRATCH_EN: 1
; COMPUTE_PGM_RSRC2:USER_SGPR: 6
; COMPUTE_PGM_RSRC2:TRAP_HANDLER: 0
; COMPUTE_PGM_RSRC2:TGID_X_EN: 1
; COMPUTE_PGM_RSRC2:TGID_Y_EN: 0
; COMPUTE_PGM_RSRC2:TGID_Z_EN: 0
; COMPUTE_PGM_RSRC2:TIDIG_COMP_CNT: 0
	.section	.text._ZN9rocsolver6v33100L18trti2_kernel_smallILi24EdPdEEv13rocblas_fill_17rocblas_diagonal_T1_iil,"axG",@progbits,_ZN9rocsolver6v33100L18trti2_kernel_smallILi24EdPdEEv13rocblas_fill_17rocblas_diagonal_T1_iil,comdat
	.globl	_ZN9rocsolver6v33100L18trti2_kernel_smallILi24EdPdEEv13rocblas_fill_17rocblas_diagonal_T1_iil ; -- Begin function _ZN9rocsolver6v33100L18trti2_kernel_smallILi24EdPdEEv13rocblas_fill_17rocblas_diagonal_T1_iil
	.p2align	8
	.type	_ZN9rocsolver6v33100L18trti2_kernel_smallILi24EdPdEEv13rocblas_fill_17rocblas_diagonal_T1_iil,@function
_ZN9rocsolver6v33100L18trti2_kernel_smallILi24EdPdEEv13rocblas_fill_17rocblas_diagonal_T1_iil: ; @_ZN9rocsolver6v33100L18trti2_kernel_smallILi24EdPdEEv13rocblas_fill_17rocblas_diagonal_T1_iil
; %bb.0:
	s_add_u32 s0, s0, s7
	s_addc_u32 s1, s1, 0
	v_cmp_gt_u32_e32 vcc, 24, v0
	s_and_saveexec_b64 s[8:9], vcc
	s_cbranch_execz .LBB23_450
; %bb.1:
	s_load_dwordx8 s[8:15], s[4:5], 0x0
	s_ashr_i32 s7, s6, 31
	v_lshlrev_b32_e32 v51, 3, v0
	s_waitcnt lgkmcnt(0)
	s_ashr_i32 s5, s12, 31
	s_mov_b32 s4, s12
	s_mul_hi_u32 s12, s14, s6
	s_mul_i32 s7, s14, s7
	s_add_i32 s7, s12, s7
	s_mul_i32 s12, s15, s6
	s_add_i32 s7, s7, s12
	s_mul_i32 s6, s14, s6
	s_lshl_b64 s[6:7], s[6:7], 3
	s_add_u32 s6, s10, s6
	s_addc_u32 s7, s11, s7
	s_lshl_b64 s[4:5], s[4:5], 3
	s_add_u32 s4, s6, s4
	s_addc_u32 s5, s7, s5
	s_add_i32 s6, s13, s13
	v_add_u32_e32 v1, s6, v0
	v_ashrrev_i32_e32 v2, 31, v1
	v_lshlrev_b64 v[2:3], 3, v[1:2]
	v_mov_b32_e32 v4, s5
	v_add_co_u32_e32 v13, vcc, s4, v2
	v_addc_co_u32_e32 v14, vcc, v4, v3, vcc
	v_add_u32_e32 v3, s13, v1
	v_ashrrev_i32_e32 v4, 31, v3
	v_lshlrev_b64 v[1:2], 3, v[3:4]
	v_mov_b32_e32 v4, s5
	v_add_co_u32_e32 v1, vcc, s4, v1
	v_add_u32_e32 v3, s13, v3
	v_addc_co_u32_e32 v2, vcc, v4, v2, vcc
	v_ashrrev_i32_e32 v4, 31, v3
	v_lshlrev_b64 v[4:5], 3, v[3:4]
	v_mov_b32_e32 v6, s5
	v_add_co_u32_e32 v7, vcc, s4, v4
	v_addc_co_u32_e32 v8, vcc, v6, v5, vcc
	v_add_u32_e32 v5, s13, v3
	v_ashrrev_i32_e32 v6, 31, v5
	v_lshlrev_b64 v[3:4], 3, v[5:6]
	v_mov_b32_e32 v6, s5
	v_add_co_u32_e32 v3, vcc, s4, v3
	v_add_u32_e32 v5, s13, v5
	v_addc_co_u32_e32 v4, vcc, v6, v4, vcc
	v_ashrrev_i32_e32 v6, 31, v5
	v_lshlrev_b64 v[9:10], 3, v[5:6]
	v_mov_b32_e32 v6, s5
	v_add_co_u32_e32 v11, vcc, s4, v9
	v_add_u32_e32 v9, s13, v5
	v_addc_co_u32_e32 v12, vcc, v6, v10, vcc
	;; [unrolled: 6-line block ×3, first 2 shown]
	v_ashrrev_i32_e32 v10, 31, v9
	v_lshlrev_b64 v[15:16], 3, v[9:10]
	v_add_u32_e32 v17, s13, v9
	v_mov_b32_e32 v10, s5
	v_add_co_u32_e32 v15, vcc, s4, v15
	v_ashrrev_i32_e32 v18, 31, v17
	v_addc_co_u32_e32 v16, vcc, v10, v16, vcc
	v_lshlrev_b64 v[9:10], 3, v[17:18]
	v_add_u32_e32 v19, s13, v17
	v_mov_b32_e32 v18, s5
	v_add_co_u32_e32 v9, vcc, s4, v9
	v_ashrrev_i32_e32 v20, 31, v19
	v_addc_co_u32_e32 v10, vcc, v18, v10, vcc
	v_lshlrev_b64 v[17:18], 3, v[19:20]
	v_mov_b32_e32 v21, s5
	v_add_co_u32_e32 v17, vcc, s4, v17
	v_addc_co_u32_e32 v18, vcc, v21, v18, vcc
	v_add_u32_e32 v21, s13, v19
	v_ashrrev_i32_e32 v22, 31, v21
	v_lshlrev_b64 v[19:20], 3, v[21:22]
	v_mov_b32_e32 v23, s5
	v_add_co_u32_e32 v19, vcc, s4, v19
	v_addc_co_u32_e32 v20, vcc, v23, v20, vcc
	v_add_u32_e32 v23, s13, v21
	v_ashrrev_i32_e32 v24, 31, v23
	;; [unrolled: 6-line block ×4, first 2 shown]
	v_lshlrev_b64 v[25:26], 3, v[27:28]
	v_mov_b32_e32 v28, s5
	v_add_co_u32_e32 v47, vcc, s4, v51
	s_ashr_i32 s7, s13, 31
	s_mov_b32 s6, s13
	v_addc_co_u32_e32 v48, vcc, 0, v28, vcc
	s_lshl_b64 s[6:7], s[6:7], 3
	v_mov_b32_e32 v28, s7
	v_add_co_u32_e32 v45, vcc, s6, v47
	global_load_dwordx2 v[49:50], v51, s[4:5]
	global_load_dwordx2 v[54:55], v[13:14], off
	global_load_dwordx2 v[58:59], v[1:2], off
	v_addc_co_u32_e32 v46, vcc, v48, v28, vcc
	global_load_dwordx2 v[52:53], v[45:46], off
	v_mov_b32_e32 v29, s5
	v_add_co_u32_e32 v25, vcc, s4, v25
	v_addc_co_u32_e32 v26, vcc, v29, v26, vcc
	v_add_u32_e32 v29, s13, v27
	v_ashrrev_i32_e32 v30, 31, v29
	v_lshlrev_b64 v[27:28], 3, v[29:30]
	v_mov_b32_e32 v31, s5
	v_add_co_u32_e32 v27, vcc, s4, v27
	v_addc_co_u32_e32 v28, vcc, v31, v28, vcc
	v_add_u32_e32 v31, s13, v29
	v_ashrrev_i32_e32 v32, 31, v31
	v_lshlrev_b64 v[29:30], 3, v[31:32]
	;; [unrolled: 6-line block ×8, first 2 shown]
	v_add_u32_e32 v43, s13, v43
	v_ashrrev_i32_e32 v44, 31, v43
	v_mov_b32_e32 v56, s5
	v_add_co_u32_e32 v41, vcc, s4, v41
	v_lshlrev_b64 v[43:44], 3, v[43:44]
	v_addc_co_u32_e32 v42, vcc, v56, v42, vcc
	v_add_co_u32_e32 v43, vcc, s4, v43
	v_addc_co_u32_e32 v44, vcc, v56, v44, vcc
	global_load_dwordx2 v[56:57], v[43:44], off
	s_cmpk_lg_i32 s9, 0x84
	s_waitcnt vmcnt(4)
	buffer_store_dword v50, off, s[0:3], 0 offset:4
	buffer_store_dword v49, off, s[0:3], 0
	global_load_dwordx2 v[49:50], v[7:8], off
	s_waitcnt vmcnt(4)
	buffer_store_dword v53, off, s[0:3], 0 offset:12
	buffer_store_dword v52, off, s[0:3], 0 offset:8
	;; [unrolled: 1-line block ×3, first 2 shown]
	global_load_dwordx2 v[52:53], v[3:4], off
	s_cselect_b64 s[10:11], -1, 0
	buffer_store_dword v54, off, s[0:3], 0 offset:16
	global_load_dwordx2 v[54:55], v[11:12], off
	s_nop 0
	buffer_store_dword v59, off, s[0:3], 0 offset:28
	buffer_store_dword v58, off, s[0:3], 0 offset:24
	s_waitcnt vmcnt(8)
	buffer_store_dword v50, off, s[0:3], 0 offset:36
	global_load_dwordx2 v[58:59], v[5:6], off
	s_cmpk_eq_i32 s9, 0x84
	buffer_store_dword v49, off, s[0:3], 0 offset:32
	global_load_dwordx2 v[49:50], v[15:16], off
	s_waitcnt vmcnt(8)
	buffer_store_dword v53, off, s[0:3], 0 offset:44
	buffer_store_dword v52, off, s[0:3], 0 offset:40
	s_waitcnt vmcnt(8)
	buffer_store_dword v55, off, s[0:3], 0 offset:52
	global_load_dwordx2 v[52:53], v[9:10], off
	s_nop 0
	buffer_store_dword v54, off, s[0:3], 0 offset:48
	global_load_dwordx2 v[54:55], v[17:18], off
	s_waitcnt vmcnt(8)
	buffer_store_dword v59, off, s[0:3], 0 offset:60
	buffer_store_dword v58, off, s[0:3], 0 offset:56
	s_waitcnt vmcnt(8)
	buffer_store_dword v50, off, s[0:3], 0 offset:68
	global_load_dwordx2 v[58:59], v[19:20], off
	s_nop 0
	;; [unrolled: 9-line block ×5, first 2 shown]
	buffer_store_dword v54, off, s[0:3], 0 offset:112
	global_load_dwordx2 v[54:55], v[33:34], off
	s_waitcnt vmcnt(8)
	buffer_store_dword v58, off, s[0:3], 0 offset:120
	buffer_store_dword v59, off, s[0:3], 0 offset:124
	s_waitcnt vmcnt(8)
	buffer_store_dword v49, off, s[0:3], 0 offset:128
	buffer_store_dword v50, off, s[0:3], 0 offset:132
	global_load_dwordx2 v[49:50], v[35:36], off
	s_nop 0
	global_load_dwordx2 v[58:59], v[37:38], off
	s_waitcnt vmcnt(8)
	buffer_store_dword v52, off, s[0:3], 0 offset:136
	buffer_store_dword v53, off, s[0:3], 0 offset:140
	s_waitcnt vmcnt(8)
	buffer_store_dword v54, off, s[0:3], 0 offset:144
	global_load_dwordx2 v[52:53], v[39:40], off
	s_nop 0
	buffer_store_dword v55, off, s[0:3], 0 offset:148
	global_load_dwordx2 v[54:55], v[41:42], off
	s_waitcnt vmcnt(7)
	buffer_store_dword v50, off, s[0:3], 0 offset:156
	buffer_store_dword v49, off, s[0:3], 0 offset:152
	s_waitcnt vmcnt(8)
	buffer_store_dword v59, off, s[0:3], 0 offset:164
	buffer_store_dword v58, off, s[0:3], 0 offset:160
	;; [unrolled: 3-line block ×4, first 2 shown]
	buffer_store_dword v56, off, s[0:3], 0 offset:184
	v_mov_b32_e32 v49, 0
	v_mov_b32_e32 v50, 0xbff00000
	buffer_store_dword v57, off, s[0:3], 0 offset:188
	s_cbranch_scc1 .LBB23_3
; %bb.2:
	v_mov_b32_e32 v49, 0
	v_lshl_add_u32 v60, v0, 3, v49
	buffer_load_dword v49, v60, s[0:3], 0 offen
	buffer_load_dword v50, v60, s[0:3], 0 offen offset:4
	s_waitcnt vmcnt(0)
	v_div_scale_f64 v[52:53], s[4:5], v[49:50], v[49:50], 1.0
	v_rcp_f64_e32 v[54:55], v[52:53]
	v_fma_f64 v[56:57], -v[52:53], v[54:55], 1.0
	v_fma_f64 v[54:55], v[54:55], v[56:57], v[54:55]
	v_div_scale_f64 v[56:57], vcc, 1.0, v[49:50], 1.0
	v_fma_f64 v[58:59], -v[52:53], v[54:55], 1.0
	v_fma_f64 v[54:55], v[54:55], v[58:59], v[54:55]
	v_mul_f64 v[58:59], v[56:57], v[54:55]
	v_fma_f64 v[52:53], -v[52:53], v[58:59], v[56:57]
	v_div_fmas_f64 v[52:53], v[52:53], v[54:55], v[58:59]
	v_div_fixup_f64 v[49:50], v[52:53], v[49:50], 1.0
	buffer_store_dword v49, v60, s[0:3], 0 offen
	buffer_store_dword v50, v60, s[0:3], 0 offen offset:4
	v_xor_b32_e32 v50, 0x80000000, v50
.LBB23_3:
	s_cmpk_eq_i32 s8, 0x79
	v_add_u32_e32 v52, 0xc0, v51
	v_mov_b32_e32 v53, v51
	s_mov_b64 s[4:5], -1
	ds_write_b64 v51, v[49:50]
	s_cbranch_scc1 .LBB23_227
; %bb.4:
	buffer_load_dword v49, off, s[0:3], 0 offset:176
	buffer_load_dword v50, off, s[0:3], 0 offset:180
	s_movk_i32 s12, 0x48
	s_movk_i32 s13, 0x50
	;; [unrolled: 1-line block ×13, first 2 shown]
	v_cmp_eq_u32_e64 s[4:5], 23, v0
	s_waitcnt vmcnt(0)
	ds_write_b64 v52, v[49:50]
	s_waitcnt lgkmcnt(0)
	; wave barrier
	s_and_saveexec_b64 s[6:7], s[4:5]
	s_cbranch_execz .LBB23_10
; %bb.5:
	s_and_b64 vcc, exec, s[10:11]
	s_cbranch_vccz .LBB23_7
; %bb.6:
	buffer_load_dword v49, v53, s[0:3], 0 offen
	buffer_load_dword v50, v53, s[0:3], 0 offen offset:4
	ds_read_b64 v[54:55], v52
	s_waitcnt vmcnt(0) lgkmcnt(0)
	v_mul_f64 v[49:50], v[49:50], v[54:55]
	s_cbranch_execz .LBB23_8
	s_branch .LBB23_9
.LBB23_7:
                                        ; implicit-def: $vgpr49_vgpr50
.LBB23_8:
	ds_read_b64 v[49:50], v52
.LBB23_9:
	v_mov_b32_e32 v54, 0
	ds_read_b64 v[54:55], v54 offset:176
	s_waitcnt lgkmcnt(0)
	v_mul_f64 v[49:50], v[49:50], v[54:55]
	buffer_store_dword v50, off, s[0:3], 0 offset:180
	buffer_store_dword v49, off, s[0:3], 0 offset:176
.LBB23_10:
	s_or_b64 exec, exec, s[6:7]
	buffer_load_dword v49, off, s[0:3], 0 offset:168
	buffer_load_dword v50, off, s[0:3], 0 offset:172
	s_or_b32 s14, 0, 8
	s_mov_b32 s15, 16
	s_mov_b32 s16, 24
	;; [unrolled: 1-line block ×9, first 2 shown]
	v_cmp_lt_u32_e64 s[6:7], 21, v0
	s_waitcnt vmcnt(0)
	ds_write_b64 v52, v[49:50]
	s_waitcnt lgkmcnt(0)
	; wave barrier
	s_and_saveexec_b64 s[8:9], s[6:7]
	s_cbranch_execz .LBB23_16
; %bb.11:
	s_andn2_b64 vcc, exec, s[10:11]
	s_cbranch_vccnz .LBB23_13
; %bb.12:
	buffer_load_dword v49, v53, s[0:3], 0 offen
	buffer_load_dword v50, v53, s[0:3], 0 offen offset:4
	ds_read_b64 v[54:55], v52
	s_waitcnt vmcnt(0) lgkmcnt(0)
	v_mul_f64 v[49:50], v[49:50], v[54:55]
	s_cbranch_execz .LBB23_14
	s_branch .LBB23_15
.LBB23_13:
                                        ; implicit-def: $vgpr49_vgpr50
.LBB23_14:
	ds_read_b64 v[49:50], v52
.LBB23_15:
	buffer_load_dword v58, off, s[0:3], 0 offset:176
	buffer_load_dword v59, off, s[0:3], 0 offset:180
	v_mov_b32_e32 v54, 0
	ds_read2_b64 v[54:57], v54 offset0:21 offset1:46
	s_waitcnt vmcnt(0) lgkmcnt(0)
	v_fma_f64 v[56:57], v[58:59], v[56:57], v[49:50]
	v_cndmask_b32_e64 v50, v50, v57, s[4:5]
	v_cndmask_b32_e64 v49, v49, v56, s[4:5]
	v_mul_f64 v[49:50], v[49:50], v[54:55]
	buffer_store_dword v50, off, s[0:3], 0 offset:172
	buffer_store_dword v49, off, s[0:3], 0 offset:168
.LBB23_16:
	s_or_b64 exec, exec, s[8:9]
	buffer_load_dword v49, off, s[0:3], 0 offset:160
	buffer_load_dword v50, off, s[0:3], 0 offset:164
	v_cmp_lt_u32_e64 s[4:5], 20, v0
	s_waitcnt vmcnt(0)
	ds_write_b64 v52, v[49:50]
	s_waitcnt lgkmcnt(0)
	; wave barrier
	s_and_saveexec_b64 s[8:9], s[4:5]
	s_cbranch_execz .LBB23_26
; %bb.17:
	s_andn2_b64 vcc, exec, s[10:11]
	s_cbranch_vccnz .LBB23_19
; %bb.18:
	buffer_load_dword v49, v53, s[0:3], 0 offen
	buffer_load_dword v50, v53, s[0:3], 0 offen offset:4
	ds_read_b64 v[54:55], v52
	s_waitcnt vmcnt(0) lgkmcnt(0)
	v_mul_f64 v[49:50], v[49:50], v[54:55]
	s_cbranch_execz .LBB23_20
	s_branch .LBB23_21
.LBB23_19:
                                        ; implicit-def: $vgpr49_vgpr50
.LBB23_20:
	ds_read_b64 v[49:50], v52
.LBB23_21:
	s_and_saveexec_b64 s[12:13], s[6:7]
	s_cbranch_execz .LBB23_25
; %bb.22:
	v_subrev_u32_e32 v54, 21, v0
	s_movk_i32 s36, 0x168
	s_mov_b64 s[6:7], 0
.LBB23_23:                              ; =>This Inner Loop Header: Depth=1
	v_mov_b32_e32 v57, s35
	buffer_load_dword v55, v57, s[0:3], 0 offen
	buffer_load_dword v56, v57, s[0:3], 0 offen offset:4
	v_mov_b32_e32 v57, s36
	ds_read_b64 v[57:58], v57
	v_add_u32_e32 v54, -1, v54
	s_add_i32 s36, s36, 8
	s_add_i32 s35, s35, 8
	v_cmp_eq_u32_e32 vcc, 0, v54
	s_or_b64 s[6:7], vcc, s[6:7]
	s_waitcnt vmcnt(0) lgkmcnt(0)
	v_fma_f64 v[49:50], v[55:56], v[57:58], v[49:50]
	s_andn2_b64 exec, exec, s[6:7]
	s_cbranch_execnz .LBB23_23
; %bb.24:
	s_or_b64 exec, exec, s[6:7]
.LBB23_25:
	s_or_b64 exec, exec, s[12:13]
	v_mov_b32_e32 v54, 0
	ds_read_b64 v[54:55], v54 offset:160
	s_waitcnt lgkmcnt(0)
	v_mul_f64 v[49:50], v[49:50], v[54:55]
	buffer_store_dword v50, off, s[0:3], 0 offset:164
	buffer_store_dword v49, off, s[0:3], 0 offset:160
.LBB23_26:
	s_or_b64 exec, exec, s[8:9]
	buffer_load_dword v49, off, s[0:3], 0 offset:152
	buffer_load_dword v50, off, s[0:3], 0 offset:156
	v_cmp_lt_u32_e64 s[6:7], 19, v0
	s_waitcnt vmcnt(0)
	ds_write_b64 v52, v[49:50]
	s_waitcnt lgkmcnt(0)
	; wave barrier
	s_and_saveexec_b64 s[8:9], s[6:7]
	s_cbranch_execz .LBB23_36
; %bb.27:
	s_andn2_b64 vcc, exec, s[10:11]
	s_cbranch_vccnz .LBB23_29
; %bb.28:
	buffer_load_dword v49, v53, s[0:3], 0 offen
	buffer_load_dword v50, v53, s[0:3], 0 offen offset:4
	ds_read_b64 v[54:55], v52
	s_waitcnt vmcnt(0) lgkmcnt(0)
	v_mul_f64 v[49:50], v[49:50], v[54:55]
	s_cbranch_execz .LBB23_30
	s_branch .LBB23_31
.LBB23_29:
                                        ; implicit-def: $vgpr49_vgpr50
.LBB23_30:
	ds_read_b64 v[49:50], v52
.LBB23_31:
	s_and_saveexec_b64 s[12:13], s[4:5]
	s_cbranch_execz .LBB23_35
; %bb.32:
	v_subrev_u32_e32 v54, 20, v0
	s_movk_i32 s35, 0x160
	s_mov_b64 s[4:5], 0
.LBB23_33:                              ; =>This Inner Loop Header: Depth=1
	v_mov_b32_e32 v57, s34
	buffer_load_dword v55, v57, s[0:3], 0 offen
	buffer_load_dword v56, v57, s[0:3], 0 offen offset:4
	v_mov_b32_e32 v57, s35
	ds_read_b64 v[57:58], v57
	v_add_u32_e32 v54, -1, v54
	s_add_i32 s35, s35, 8
	s_add_i32 s34, s34, 8
	v_cmp_eq_u32_e32 vcc, 0, v54
	s_or_b64 s[4:5], vcc, s[4:5]
	s_waitcnt vmcnt(0) lgkmcnt(0)
	v_fma_f64 v[49:50], v[55:56], v[57:58], v[49:50]
	s_andn2_b64 exec, exec, s[4:5]
	s_cbranch_execnz .LBB23_33
; %bb.34:
	s_or_b64 exec, exec, s[4:5]
.LBB23_35:
	s_or_b64 exec, exec, s[12:13]
	v_mov_b32_e32 v54, 0
	ds_read_b64 v[54:55], v54 offset:152
	s_waitcnt lgkmcnt(0)
	v_mul_f64 v[49:50], v[49:50], v[54:55]
	buffer_store_dword v50, off, s[0:3], 0 offset:156
	buffer_store_dword v49, off, s[0:3], 0 offset:152
.LBB23_36:
	;; [unrolled: 58-line block ×5, first 2 shown]
	s_or_b64 exec, exec, s[8:9]
	buffer_load_dword v49, off, s[0:3], 0 offset:120
	buffer_load_dword v50, off, s[0:3], 0 offset:124
	v_cmp_lt_u32_e64 s[6:7], 15, v0
	s_waitcnt vmcnt(0)
	ds_write_b64 v52, v[49:50]
	s_waitcnt lgkmcnt(0)
	; wave barrier
	s_and_saveexec_b64 s[8:9], s[6:7]
	s_cbranch_execz .LBB23_76
; %bb.67:
	s_andn2_b64 vcc, exec, s[10:11]
	s_cbranch_vccnz .LBB23_69
; %bb.68:
	buffer_load_dword v49, v53, s[0:3], 0 offen
	buffer_load_dword v50, v53, s[0:3], 0 offen offset:4
	ds_read_b64 v[54:55], v52
	s_waitcnt vmcnt(0) lgkmcnt(0)
	v_mul_f64 v[49:50], v[49:50], v[54:55]
	s_cbranch_execz .LBB23_70
	s_branch .LBB23_71
.LBB23_69:
                                        ; implicit-def: $vgpr49_vgpr50
.LBB23_70:
	ds_read_b64 v[49:50], v52
.LBB23_71:
	s_and_saveexec_b64 s[12:13], s[4:5]
	s_cbranch_execz .LBB23_75
; %bb.72:
	v_add_u32_e32 v54, -16, v0
	s_movk_i32 s30, 0x140
	s_mov_b64 s[4:5], 0
.LBB23_73:                              ; =>This Inner Loop Header: Depth=1
	v_mov_b32_e32 v57, s29
	buffer_load_dword v55, v57, s[0:3], 0 offen
	buffer_load_dword v56, v57, s[0:3], 0 offen offset:4
	v_mov_b32_e32 v57, s30
	ds_read_b64 v[57:58], v57
	v_add_u32_e32 v54, -1, v54
	s_add_i32 s30, s30, 8
	s_add_i32 s29, s29, 8
	v_cmp_eq_u32_e32 vcc, 0, v54
	s_or_b64 s[4:5], vcc, s[4:5]
	s_waitcnt vmcnt(0) lgkmcnt(0)
	v_fma_f64 v[49:50], v[55:56], v[57:58], v[49:50]
	s_andn2_b64 exec, exec, s[4:5]
	s_cbranch_execnz .LBB23_73
; %bb.74:
	s_or_b64 exec, exec, s[4:5]
.LBB23_75:
	s_or_b64 exec, exec, s[12:13]
	v_mov_b32_e32 v54, 0
	ds_read_b64 v[54:55], v54 offset:120
	s_waitcnt lgkmcnt(0)
	v_mul_f64 v[49:50], v[49:50], v[54:55]
	buffer_store_dword v50, off, s[0:3], 0 offset:124
	buffer_store_dword v49, off, s[0:3], 0 offset:120
.LBB23_76:
	s_or_b64 exec, exec, s[8:9]
	buffer_load_dword v49, off, s[0:3], 0 offset:112
	buffer_load_dword v50, off, s[0:3], 0 offset:116
	v_cmp_lt_u32_e64 s[4:5], 14, v0
	s_waitcnt vmcnt(0)
	ds_write_b64 v52, v[49:50]
	s_waitcnt lgkmcnt(0)
	; wave barrier
	s_and_saveexec_b64 s[8:9], s[4:5]
	s_cbranch_execz .LBB23_86
; %bb.77:
	s_andn2_b64 vcc, exec, s[10:11]
	s_cbranch_vccnz .LBB23_79
; %bb.78:
	buffer_load_dword v49, v53, s[0:3], 0 offen
	buffer_load_dword v50, v53, s[0:3], 0 offen offset:4
	ds_read_b64 v[54:55], v52
	s_waitcnt vmcnt(0) lgkmcnt(0)
	v_mul_f64 v[49:50], v[49:50], v[54:55]
	s_cbranch_execz .LBB23_80
	s_branch .LBB23_81
.LBB23_79:
                                        ; implicit-def: $vgpr49_vgpr50
.LBB23_80:
	ds_read_b64 v[49:50], v52
.LBB23_81:
	s_and_saveexec_b64 s[12:13], s[6:7]
	s_cbranch_execz .LBB23_85
; %bb.82:
	v_add_u32_e32 v54, -15, v0
	s_movk_i32 s29, 0x138
	s_mov_b64 s[6:7], 0
.LBB23_83:                              ; =>This Inner Loop Header: Depth=1
	v_mov_b32_e32 v57, s28
	buffer_load_dword v55, v57, s[0:3], 0 offen
	buffer_load_dword v56, v57, s[0:3], 0 offen offset:4
	v_mov_b32_e32 v57, s29
	ds_read_b64 v[57:58], v57
	v_add_u32_e32 v54, -1, v54
	s_add_i32 s29, s29, 8
	s_add_i32 s28, s28, 8
	v_cmp_eq_u32_e32 vcc, 0, v54
	s_or_b64 s[6:7], vcc, s[6:7]
	s_waitcnt vmcnt(0) lgkmcnt(0)
	v_fma_f64 v[49:50], v[55:56], v[57:58], v[49:50]
	s_andn2_b64 exec, exec, s[6:7]
	s_cbranch_execnz .LBB23_83
; %bb.84:
	s_or_b64 exec, exec, s[6:7]
.LBB23_85:
	s_or_b64 exec, exec, s[12:13]
	v_mov_b32_e32 v54, 0
	ds_read_b64 v[54:55], v54 offset:112
	s_waitcnt lgkmcnt(0)
	v_mul_f64 v[49:50], v[49:50], v[54:55]
	buffer_store_dword v50, off, s[0:3], 0 offset:116
	buffer_store_dword v49, off, s[0:3], 0 offset:112
.LBB23_86:
	s_or_b64 exec, exec, s[8:9]
	buffer_load_dword v49, off, s[0:3], 0 offset:104
	buffer_load_dword v50, off, s[0:3], 0 offset:108
	v_cmp_lt_u32_e64 s[6:7], 13, v0
	s_waitcnt vmcnt(0)
	ds_write_b64 v52, v[49:50]
	s_waitcnt lgkmcnt(0)
	; wave barrier
	s_and_saveexec_b64 s[8:9], s[6:7]
	s_cbranch_execz .LBB23_96
; %bb.87:
	s_andn2_b64 vcc, exec, s[10:11]
	s_cbranch_vccnz .LBB23_89
; %bb.88:
	buffer_load_dword v49, v53, s[0:3], 0 offen
	buffer_load_dword v50, v53, s[0:3], 0 offen offset:4
	ds_read_b64 v[54:55], v52
	s_waitcnt vmcnt(0) lgkmcnt(0)
	v_mul_f64 v[49:50], v[49:50], v[54:55]
	s_cbranch_execz .LBB23_90
	s_branch .LBB23_91
.LBB23_89:
                                        ; implicit-def: $vgpr49_vgpr50
.LBB23_90:
	ds_read_b64 v[49:50], v52
.LBB23_91:
	s_and_saveexec_b64 s[12:13], s[4:5]
	s_cbranch_execz .LBB23_95
; %bb.92:
	v_add_u32_e32 v54, -14, v0
	s_movk_i32 s28, 0x130
	s_mov_b64 s[4:5], 0
.LBB23_93:                              ; =>This Inner Loop Header: Depth=1
	v_mov_b32_e32 v57, s27
	buffer_load_dword v55, v57, s[0:3], 0 offen
	buffer_load_dword v56, v57, s[0:3], 0 offen offset:4
	v_mov_b32_e32 v57, s28
	ds_read_b64 v[57:58], v57
	v_add_u32_e32 v54, -1, v54
	s_add_i32 s28, s28, 8
	s_add_i32 s27, s27, 8
	v_cmp_eq_u32_e32 vcc, 0, v54
	s_or_b64 s[4:5], vcc, s[4:5]
	s_waitcnt vmcnt(0) lgkmcnt(0)
	v_fma_f64 v[49:50], v[55:56], v[57:58], v[49:50]
	s_andn2_b64 exec, exec, s[4:5]
	s_cbranch_execnz .LBB23_93
; %bb.94:
	s_or_b64 exec, exec, s[4:5]
.LBB23_95:
	s_or_b64 exec, exec, s[12:13]
	v_mov_b32_e32 v54, 0
	ds_read_b64 v[54:55], v54 offset:104
	s_waitcnt lgkmcnt(0)
	v_mul_f64 v[49:50], v[49:50], v[54:55]
	buffer_store_dword v50, off, s[0:3], 0 offset:108
	buffer_store_dword v49, off, s[0:3], 0 offset:104
.LBB23_96:
	s_or_b64 exec, exec, s[8:9]
	buffer_load_dword v49, off, s[0:3], 0 offset:96
	buffer_load_dword v50, off, s[0:3], 0 offset:100
	v_cmp_lt_u32_e64 s[4:5], 12, v0
	s_waitcnt vmcnt(0)
	ds_write_b64 v52, v[49:50]
	s_waitcnt lgkmcnt(0)
	; wave barrier
	s_and_saveexec_b64 s[8:9], s[4:5]
	s_cbranch_execz .LBB23_106
; %bb.97:
	s_andn2_b64 vcc, exec, s[10:11]
	s_cbranch_vccnz .LBB23_99
; %bb.98:
	buffer_load_dword v49, v53, s[0:3], 0 offen
	buffer_load_dword v50, v53, s[0:3], 0 offen offset:4
	ds_read_b64 v[54:55], v52
	s_waitcnt vmcnt(0) lgkmcnt(0)
	v_mul_f64 v[49:50], v[49:50], v[54:55]
	s_cbranch_execz .LBB23_100
	s_branch .LBB23_101
.LBB23_99:
                                        ; implicit-def: $vgpr49_vgpr50
.LBB23_100:
	ds_read_b64 v[49:50], v52
.LBB23_101:
	s_and_saveexec_b64 s[12:13], s[6:7]
	s_cbranch_execz .LBB23_105
; %bb.102:
	v_add_u32_e32 v54, -13, v0
	s_movk_i32 s27, 0x128
	s_mov_b64 s[6:7], 0
.LBB23_103:                             ; =>This Inner Loop Header: Depth=1
	v_mov_b32_e32 v57, s26
	buffer_load_dword v55, v57, s[0:3], 0 offen
	buffer_load_dword v56, v57, s[0:3], 0 offen offset:4
	v_mov_b32_e32 v57, s27
	ds_read_b64 v[57:58], v57
	v_add_u32_e32 v54, -1, v54
	s_add_i32 s27, s27, 8
	s_add_i32 s26, s26, 8
	v_cmp_eq_u32_e32 vcc, 0, v54
	s_or_b64 s[6:7], vcc, s[6:7]
	s_waitcnt vmcnt(0) lgkmcnt(0)
	v_fma_f64 v[49:50], v[55:56], v[57:58], v[49:50]
	s_andn2_b64 exec, exec, s[6:7]
	s_cbranch_execnz .LBB23_103
; %bb.104:
	s_or_b64 exec, exec, s[6:7]
.LBB23_105:
	s_or_b64 exec, exec, s[12:13]
	v_mov_b32_e32 v54, 0
	ds_read_b64 v[54:55], v54 offset:96
	s_waitcnt lgkmcnt(0)
	v_mul_f64 v[49:50], v[49:50], v[54:55]
	buffer_store_dword v50, off, s[0:3], 0 offset:100
	buffer_store_dword v49, off, s[0:3], 0 offset:96
.LBB23_106:
	s_or_b64 exec, exec, s[8:9]
	buffer_load_dword v49, off, s[0:3], 0 offset:88
	buffer_load_dword v50, off, s[0:3], 0 offset:92
	v_cmp_lt_u32_e64 s[6:7], 11, v0
	s_waitcnt vmcnt(0)
	ds_write_b64 v52, v[49:50]
	s_waitcnt lgkmcnt(0)
	; wave barrier
	s_and_saveexec_b64 s[8:9], s[6:7]
	s_cbranch_execz .LBB23_116
; %bb.107:
	s_andn2_b64 vcc, exec, s[10:11]
	s_cbranch_vccnz .LBB23_109
; %bb.108:
	buffer_load_dword v49, v53, s[0:3], 0 offen
	buffer_load_dword v50, v53, s[0:3], 0 offen offset:4
	ds_read_b64 v[54:55], v52
	s_waitcnt vmcnt(0) lgkmcnt(0)
	v_mul_f64 v[49:50], v[49:50], v[54:55]
	s_cbranch_execz .LBB23_110
	s_branch .LBB23_111
.LBB23_109:
                                        ; implicit-def: $vgpr49_vgpr50
.LBB23_110:
	ds_read_b64 v[49:50], v52
.LBB23_111:
	s_and_saveexec_b64 s[12:13], s[4:5]
	s_cbranch_execz .LBB23_115
; %bb.112:
	v_add_u32_e32 v54, -12, v0
	s_movk_i32 s26, 0x120
	s_mov_b64 s[4:5], 0
.LBB23_113:                             ; =>This Inner Loop Header: Depth=1
	v_mov_b32_e32 v57, s25
	buffer_load_dword v55, v57, s[0:3], 0 offen
	buffer_load_dword v56, v57, s[0:3], 0 offen offset:4
	v_mov_b32_e32 v57, s26
	ds_read_b64 v[57:58], v57
	v_add_u32_e32 v54, -1, v54
	s_add_i32 s26, s26, 8
	s_add_i32 s25, s25, 8
	v_cmp_eq_u32_e32 vcc, 0, v54
	s_or_b64 s[4:5], vcc, s[4:5]
	s_waitcnt vmcnt(0) lgkmcnt(0)
	v_fma_f64 v[49:50], v[55:56], v[57:58], v[49:50]
	s_andn2_b64 exec, exec, s[4:5]
	s_cbranch_execnz .LBB23_113
; %bb.114:
	s_or_b64 exec, exec, s[4:5]
.LBB23_115:
	s_or_b64 exec, exec, s[12:13]
	v_mov_b32_e32 v54, 0
	ds_read_b64 v[54:55], v54 offset:88
	s_waitcnt lgkmcnt(0)
	v_mul_f64 v[49:50], v[49:50], v[54:55]
	buffer_store_dword v50, off, s[0:3], 0 offset:92
	buffer_store_dword v49, off, s[0:3], 0 offset:88
.LBB23_116:
	;; [unrolled: 58-line block ×12, first 2 shown]
	s_or_b64 exec, exec, s[8:9]
	buffer_load_dword v49, off, s[0:3], 0
	buffer_load_dword v50, off, s[0:3], 0 offset:4
	v_cmp_ne_u32_e32 vcc, 0, v0
	s_waitcnt vmcnt(0)
	ds_write_b64 v52, v[49:50]
	s_waitcnt lgkmcnt(0)
	; wave barrier
	s_and_saveexec_b64 s[4:5], vcc
	s_cbranch_execz .LBB23_226
; %bb.217:
	s_andn2_b64 vcc, exec, s[10:11]
	s_cbranch_vccnz .LBB23_219
; %bb.218:
	buffer_load_dword v49, v53, s[0:3], 0 offen
	buffer_load_dword v50, v53, s[0:3], 0 offen offset:4
	ds_read_b64 v[54:55], v52
	s_waitcnt vmcnt(0) lgkmcnt(0)
	v_mul_f64 v[49:50], v[49:50], v[54:55]
	s_cbranch_execz .LBB23_220
	s_branch .LBB23_221
.LBB23_219:
                                        ; implicit-def: $vgpr49_vgpr50
.LBB23_220:
	ds_read_b64 v[49:50], v52
.LBB23_221:
	s_and_saveexec_b64 s[8:9], s[6:7]
	s_cbranch_execz .LBB23_225
; %bb.222:
	v_add_u32_e32 v54, -1, v0
	s_movk_i32 s12, 0xc8
	s_mov_b64 s[6:7], 0
.LBB23_223:                             ; =>This Inner Loop Header: Depth=1
	v_mov_b32_e32 v57, s14
	buffer_load_dword v55, v57, s[0:3], 0 offen
	buffer_load_dword v56, v57, s[0:3], 0 offen offset:4
	v_mov_b32_e32 v57, s12
	ds_read_b64 v[57:58], v57
	v_add_u32_e32 v54, -1, v54
	s_add_i32 s12, s12, 8
	s_add_i32 s14, s14, 8
	v_cmp_eq_u32_e32 vcc, 0, v54
	s_or_b64 s[6:7], vcc, s[6:7]
	s_waitcnt vmcnt(0) lgkmcnt(0)
	v_fma_f64 v[49:50], v[55:56], v[57:58], v[49:50]
	s_andn2_b64 exec, exec, s[6:7]
	s_cbranch_execnz .LBB23_223
; %bb.224:
	s_or_b64 exec, exec, s[6:7]
.LBB23_225:
	s_or_b64 exec, exec, s[8:9]
	v_mov_b32_e32 v54, 0
	ds_read_b64 v[54:55], v54
	s_waitcnt lgkmcnt(0)
	v_mul_f64 v[49:50], v[49:50], v[54:55]
	buffer_store_dword v50, off, s[0:3], 0 offset:4
	buffer_store_dword v49, off, s[0:3], 0
.LBB23_226:
	s_or_b64 exec, exec, s[4:5]
	s_mov_b64 s[4:5], 0
.LBB23_227:
	s_and_b64 vcc, exec, s[4:5]
	s_cbranch_vccz .LBB23_449
; %bb.228:
	buffer_load_dword v49, off, s[0:3], 0 offset:8
	buffer_load_dword v50, off, s[0:3], 0 offset:12
	v_cmp_eq_u32_e64 s[6:7], 0, v0
	s_waitcnt vmcnt(0)
	ds_write_b64 v52, v[49:50]
	s_waitcnt lgkmcnt(0)
	; wave barrier
	s_and_saveexec_b64 s[4:5], s[6:7]
	s_cbranch_execz .LBB23_234
; %bb.229:
	s_and_b64 vcc, exec, s[10:11]
	s_cbranch_vccz .LBB23_231
; %bb.230:
	buffer_load_dword v49, v53, s[0:3], 0 offen
	buffer_load_dword v50, v53, s[0:3], 0 offen offset:4
	ds_read_b64 v[54:55], v52
	s_waitcnt vmcnt(0) lgkmcnt(0)
	v_mul_f64 v[49:50], v[49:50], v[54:55]
	s_cbranch_execz .LBB23_232
	s_branch .LBB23_233
.LBB23_231:
                                        ; implicit-def: $vgpr49_vgpr50
.LBB23_232:
	ds_read_b64 v[49:50], v52
.LBB23_233:
	v_mov_b32_e32 v54, 0
	ds_read_b64 v[54:55], v54 offset:8
	s_waitcnt lgkmcnt(0)
	v_mul_f64 v[49:50], v[49:50], v[54:55]
	buffer_store_dword v50, off, s[0:3], 0 offset:12
	buffer_store_dword v49, off, s[0:3], 0 offset:8
.LBB23_234:
	s_or_b64 exec, exec, s[4:5]
	buffer_load_dword v49, off, s[0:3], 0 offset:16
	buffer_load_dword v50, off, s[0:3], 0 offset:20
	v_cndmask_b32_e64 v54, 0, 1, s[10:11]
	v_cmp_gt_u32_e32 vcc, 2, v0
	v_cmp_ne_u32_e64 s[4:5], 1, v54
	s_waitcnt vmcnt(0)
	ds_write_b64 v52, v[49:50]
	s_waitcnt lgkmcnt(0)
	; wave barrier
	s_and_saveexec_b64 s[8:9], vcc
	s_cbranch_execz .LBB23_240
; %bb.235:
	s_and_b64 vcc, exec, s[4:5]
	s_cbranch_vccnz .LBB23_237
; %bb.236:
	buffer_load_dword v49, v53, s[0:3], 0 offen
	buffer_load_dword v50, v53, s[0:3], 0 offen offset:4
	ds_read_b64 v[54:55], v52
	s_waitcnt vmcnt(0) lgkmcnt(0)
	v_mul_f64 v[49:50], v[49:50], v[54:55]
	s_cbranch_execz .LBB23_238
	s_branch .LBB23_239
.LBB23_237:
                                        ; implicit-def: $vgpr49_vgpr50
.LBB23_238:
	ds_read_b64 v[49:50], v52
.LBB23_239:
	buffer_load_dword v58, off, s[0:3], 0 offset:8
	buffer_load_dword v59, off, s[0:3], 0 offset:12
	v_mov_b32_e32 v54, 0
	ds_read2_b64 v[54:57], v54 offset0:2 offset1:25
	s_waitcnt vmcnt(0) lgkmcnt(0)
	v_fma_f64 v[56:57], v[58:59], v[56:57], v[49:50]
	v_cndmask_b32_e64 v50, v50, v57, s[6:7]
	v_cndmask_b32_e64 v49, v49, v56, s[6:7]
	v_mul_f64 v[49:50], v[49:50], v[54:55]
	buffer_store_dword v50, off, s[0:3], 0 offset:20
	buffer_store_dword v49, off, s[0:3], 0 offset:16
.LBB23_240:
	s_or_b64 exec, exec, s[8:9]
	buffer_load_dword v49, off, s[0:3], 0 offset:24
	buffer_load_dword v50, off, s[0:3], 0 offset:28
	v_cmp_gt_u32_e32 vcc, 3, v0
	s_waitcnt vmcnt(0)
	ds_write_b64 v52, v[49:50]
	s_waitcnt lgkmcnt(0)
	; wave barrier
	s_and_saveexec_b64 s[8:9], vcc
	s_cbranch_execz .LBB23_248
; %bb.241:
	s_and_b64 vcc, exec, s[4:5]
	s_cbranch_vccnz .LBB23_243
; %bb.242:
	buffer_load_dword v49, v53, s[0:3], 0 offen
	buffer_load_dword v50, v53, s[0:3], 0 offen offset:4
	ds_read_b64 v[54:55], v52
	s_waitcnt vmcnt(0) lgkmcnt(0)
	v_mul_f64 v[49:50], v[49:50], v[54:55]
	s_cbranch_execz .LBB23_244
	s_branch .LBB23_245
.LBB23_243:
                                        ; implicit-def: $vgpr49_vgpr50
.LBB23_244:
	ds_read_b64 v[49:50], v52
.LBB23_245:
	v_cmp_ne_u32_e32 vcc, 2, v0
	s_and_saveexec_b64 s[10:11], vcc
	s_cbranch_execz .LBB23_247
; %bb.246:
	buffer_load_dword v54, v53, s[0:3], 0 offen offset:8
	buffer_load_dword v55, v53, s[0:3], 0 offen offset:12
	buffer_load_dword v56, off, s[0:3], 0 offset:16
	buffer_load_dword v57, off, s[0:3], 0 offset:20
	ds_read_b64 v[58:59], v52 offset:8
	v_mov_b32_e32 v60, 0
	ds_read_b64 v[60:61], v60 offset:208
	s_waitcnt vmcnt(2) lgkmcnt(1)
	v_fma_f64 v[49:50], v[54:55], v[58:59], v[49:50]
	s_waitcnt vmcnt(0) lgkmcnt(0)
	v_fma_f64 v[54:55], v[56:57], v[60:61], v[49:50]
	v_cndmask_b32_e64 v50, v50, v55, s[6:7]
	v_cndmask_b32_e64 v49, v49, v54, s[6:7]
.LBB23_247:
	s_or_b64 exec, exec, s[10:11]
	v_mov_b32_e32 v54, 0
	ds_read_b64 v[54:55], v54 offset:24
	s_waitcnt lgkmcnt(0)
	v_mul_f64 v[49:50], v[49:50], v[54:55]
	buffer_store_dword v50, off, s[0:3], 0 offset:28
	buffer_store_dword v49, off, s[0:3], 0 offset:24
.LBB23_248:
	s_or_b64 exec, exec, s[8:9]
	buffer_load_dword v49, off, s[0:3], 0 offset:32
	buffer_load_dword v50, off, s[0:3], 0 offset:36
	v_cmp_gt_u32_e32 vcc, 4, v0
	s_waitcnt vmcnt(0)
	ds_write_b64 v52, v[49:50]
	s_waitcnt lgkmcnt(0)
	; wave barrier
	s_and_saveexec_b64 s[6:7], vcc
	s_cbranch_execz .LBB23_258
; %bb.249:
	s_and_b64 vcc, exec, s[4:5]
	s_cbranch_vccnz .LBB23_251
; %bb.250:
	buffer_load_dword v49, v53, s[0:3], 0 offen
	buffer_load_dword v50, v53, s[0:3], 0 offen offset:4
	ds_read_b64 v[54:55], v52
	s_waitcnt vmcnt(0) lgkmcnt(0)
	v_mul_f64 v[49:50], v[49:50], v[54:55]
	s_cbranch_execz .LBB23_252
	s_branch .LBB23_253
.LBB23_251:
                                        ; implicit-def: $vgpr49_vgpr50
.LBB23_252:
	ds_read_b64 v[49:50], v52
.LBB23_253:
	v_cmp_ne_u32_e32 vcc, 3, v0
	s_and_saveexec_b64 s[8:9], vcc
	s_cbranch_execz .LBB23_257
; %bb.254:
	s_mov_b32 s10, 0
	v_add_u32_e32 v54, 0xc8, v51
	v_add3_u32 v55, v51, s10, 8
	s_mov_b64 s[10:11], 0
	v_mov_b32_e32 v56, v0
.LBB23_255:                             ; =>This Inner Loop Header: Depth=1
	buffer_load_dword v57, v55, s[0:3], 0 offen
	buffer_load_dword v58, v55, s[0:3], 0 offen offset:4
	ds_read_b64 v[59:60], v54
	v_add_u32_e32 v56, 1, v56
	v_cmp_lt_u32_e32 vcc, 2, v56
	v_add_u32_e32 v54, 8, v54
	s_or_b64 s[10:11], vcc, s[10:11]
	v_add_u32_e32 v55, 8, v55
	s_waitcnt vmcnt(0) lgkmcnt(0)
	v_fma_f64 v[49:50], v[57:58], v[59:60], v[49:50]
	s_andn2_b64 exec, exec, s[10:11]
	s_cbranch_execnz .LBB23_255
; %bb.256:
	s_or_b64 exec, exec, s[10:11]
.LBB23_257:
	s_or_b64 exec, exec, s[8:9]
	v_mov_b32_e32 v54, 0
	ds_read_b64 v[54:55], v54 offset:32
	s_waitcnt lgkmcnt(0)
	v_mul_f64 v[49:50], v[49:50], v[54:55]
	buffer_store_dword v50, off, s[0:3], 0 offset:36
	buffer_store_dword v49, off, s[0:3], 0 offset:32
.LBB23_258:
	s_or_b64 exec, exec, s[6:7]
	buffer_load_dword v49, off, s[0:3], 0 offset:40
	buffer_load_dword v50, off, s[0:3], 0 offset:44
	v_cmp_gt_u32_e32 vcc, 5, v0
	s_waitcnt vmcnt(0)
	ds_write_b64 v52, v[49:50]
	s_waitcnt lgkmcnt(0)
	; wave barrier
	s_and_saveexec_b64 s[6:7], vcc
	s_cbranch_execz .LBB23_268
; %bb.259:
	s_and_b64 vcc, exec, s[4:5]
	s_cbranch_vccnz .LBB23_261
; %bb.260:
	buffer_load_dword v49, v53, s[0:3], 0 offen
	buffer_load_dword v50, v53, s[0:3], 0 offen offset:4
	ds_read_b64 v[54:55], v52
	s_waitcnt vmcnt(0) lgkmcnt(0)
	v_mul_f64 v[49:50], v[49:50], v[54:55]
	s_cbranch_execz .LBB23_262
	s_branch .LBB23_263
.LBB23_261:
                                        ; implicit-def: $vgpr49_vgpr50
.LBB23_262:
	ds_read_b64 v[49:50], v52
.LBB23_263:
	v_cmp_ne_u32_e32 vcc, 4, v0
	s_and_saveexec_b64 s[8:9], vcc
	s_cbranch_execz .LBB23_267
; %bb.264:
	s_mov_b32 s10, 0
	v_add_u32_e32 v54, 0xc8, v51
	v_add3_u32 v55, v51, s10, 8
	s_mov_b64 s[10:11], 0
	v_mov_b32_e32 v56, v0
.LBB23_265:                             ; =>This Inner Loop Header: Depth=1
	buffer_load_dword v57, v55, s[0:3], 0 offen
	buffer_load_dword v58, v55, s[0:3], 0 offen offset:4
	ds_read_b64 v[59:60], v54
	v_add_u32_e32 v56, 1, v56
	v_cmp_lt_u32_e32 vcc, 3, v56
	v_add_u32_e32 v54, 8, v54
	s_or_b64 s[10:11], vcc, s[10:11]
	v_add_u32_e32 v55, 8, v55
	s_waitcnt vmcnt(0) lgkmcnt(0)
	v_fma_f64 v[49:50], v[57:58], v[59:60], v[49:50]
	s_andn2_b64 exec, exec, s[10:11]
	s_cbranch_execnz .LBB23_265
; %bb.266:
	s_or_b64 exec, exec, s[10:11]
.LBB23_267:
	s_or_b64 exec, exec, s[8:9]
	v_mov_b32_e32 v54, 0
	ds_read_b64 v[54:55], v54 offset:40
	s_waitcnt lgkmcnt(0)
	v_mul_f64 v[49:50], v[49:50], v[54:55]
	buffer_store_dword v50, off, s[0:3], 0 offset:44
	buffer_store_dword v49, off, s[0:3], 0 offset:40
.LBB23_268:
	;; [unrolled: 59-line block ×18, first 2 shown]
	s_or_b64 exec, exec, s[6:7]
	buffer_load_dword v49, off, s[0:3], 0 offset:176
	buffer_load_dword v50, off, s[0:3], 0 offset:180
	v_cmp_gt_u32_e64 s[6:7], 22, v0
	s_waitcnt vmcnt(0)
	ds_write_b64 v52, v[49:50]
	s_waitcnt lgkmcnt(0)
	; wave barrier
	s_and_saveexec_b64 s[8:9], s[6:7]
	s_cbranch_execz .LBB23_438
; %bb.429:
	s_and_b64 vcc, exec, s[4:5]
	s_cbranch_vccnz .LBB23_431
; %bb.430:
	buffer_load_dword v49, v53, s[0:3], 0 offen
	buffer_load_dword v50, v53, s[0:3], 0 offen offset:4
	ds_read_b64 v[54:55], v52
	s_waitcnt vmcnt(0) lgkmcnt(0)
	v_mul_f64 v[49:50], v[49:50], v[54:55]
	s_cbranch_execz .LBB23_432
	s_branch .LBB23_433
.LBB23_431:
                                        ; implicit-def: $vgpr49_vgpr50
.LBB23_432:
	ds_read_b64 v[49:50], v52
.LBB23_433:
	v_cmp_ne_u32_e32 vcc, 21, v0
	s_and_saveexec_b64 s[10:11], vcc
	s_cbranch_execz .LBB23_437
; %bb.434:
	s_mov_b32 s12, 0
	v_add_u32_e32 v54, 0xc8, v51
	v_add3_u32 v55, v51, s12, 8
	s_mov_b64 s[12:13], 0
	v_mov_b32_e32 v56, v0
.LBB23_435:                             ; =>This Inner Loop Header: Depth=1
	buffer_load_dword v57, v55, s[0:3], 0 offen
	buffer_load_dword v58, v55, s[0:3], 0 offen offset:4
	ds_read_b64 v[59:60], v54
	v_add_u32_e32 v56, 1, v56
	v_cmp_lt_u32_e32 vcc, 20, v56
	v_add_u32_e32 v54, 8, v54
	s_or_b64 s[12:13], vcc, s[12:13]
	v_add_u32_e32 v55, 8, v55
	s_waitcnt vmcnt(0) lgkmcnt(0)
	v_fma_f64 v[49:50], v[57:58], v[59:60], v[49:50]
	s_andn2_b64 exec, exec, s[12:13]
	s_cbranch_execnz .LBB23_435
; %bb.436:
	s_or_b64 exec, exec, s[12:13]
.LBB23_437:
	s_or_b64 exec, exec, s[10:11]
	v_mov_b32_e32 v54, 0
	ds_read_b64 v[54:55], v54 offset:176
	s_waitcnt lgkmcnt(0)
	v_mul_f64 v[49:50], v[49:50], v[54:55]
	buffer_store_dword v50, off, s[0:3], 0 offset:180
	buffer_store_dword v49, off, s[0:3], 0 offset:176
.LBB23_438:
	s_or_b64 exec, exec, s[8:9]
	buffer_load_dword v49, off, s[0:3], 0 offset:184
	buffer_load_dword v50, off, s[0:3], 0 offset:188
	v_cmp_ne_u32_e32 vcc, 23, v0
	s_waitcnt vmcnt(0)
	ds_write_b64 v52, v[49:50]
	s_waitcnt lgkmcnt(0)
	; wave barrier
	s_and_saveexec_b64 s[8:9], vcc
	s_cbranch_execz .LBB23_448
; %bb.439:
	s_and_b64 vcc, exec, s[4:5]
	s_cbranch_vccnz .LBB23_441
; %bb.440:
	buffer_load_dword v49, v53, s[0:3], 0 offen
	buffer_load_dword v50, v53, s[0:3], 0 offen offset:4
	ds_read_b64 v[53:54], v52
	s_waitcnt vmcnt(0) lgkmcnt(0)
	v_mul_f64 v[49:50], v[49:50], v[53:54]
	s_cbranch_execz .LBB23_442
	s_branch .LBB23_443
.LBB23_441:
                                        ; implicit-def: $vgpr49_vgpr50
.LBB23_442:
	ds_read_b64 v[49:50], v52
.LBB23_443:
	s_and_saveexec_b64 s[4:5], s[6:7]
	s_cbranch_execz .LBB23_447
; %bb.444:
	s_mov_b32 s6, 0
	v_add_u32_e32 v52, 0xc8, v51
	v_add3_u32 v51, v51, s6, 8
	s_mov_b64 s[6:7], 0
.LBB23_445:                             ; =>This Inner Loop Header: Depth=1
	buffer_load_dword v53, v51, s[0:3], 0 offen
	buffer_load_dword v54, v51, s[0:3], 0 offen offset:4
	ds_read_b64 v[55:56], v52
	v_add_u32_e32 v0, 1, v0
	v_cmp_lt_u32_e32 vcc, 21, v0
	v_add_u32_e32 v52, 8, v52
	s_or_b64 s[6:7], vcc, s[6:7]
	v_add_u32_e32 v51, 8, v51
	s_waitcnt vmcnt(0) lgkmcnt(0)
	v_fma_f64 v[49:50], v[53:54], v[55:56], v[49:50]
	s_andn2_b64 exec, exec, s[6:7]
	s_cbranch_execnz .LBB23_445
; %bb.446:
	s_or_b64 exec, exec, s[6:7]
.LBB23_447:
	s_or_b64 exec, exec, s[4:5]
	v_mov_b32_e32 v0, 0
	ds_read_b64 v[51:52], v0 offset:184
	s_waitcnt lgkmcnt(0)
	v_mul_f64 v[49:50], v[49:50], v[51:52]
	buffer_store_dword v50, off, s[0:3], 0 offset:188
	buffer_store_dword v49, off, s[0:3], 0 offset:184
.LBB23_448:
	s_or_b64 exec, exec, s[8:9]
.LBB23_449:
	buffer_load_dword v49, off, s[0:3], 0
	buffer_load_dword v50, off, s[0:3], 0 offset:4
	buffer_load_dword v51, off, s[0:3], 0 offset:8
	;; [unrolled: 1-line block ×9, first 2 shown]
	s_waitcnt vmcnt(8)
	global_store_dwordx2 v[47:48], v[49:50], off
	buffer_load_dword v47, off, s[0:3], 0 offset:40
	s_nop 0
	buffer_load_dword v48, off, s[0:3], 0 offset:44
	buffer_load_dword v49, off, s[0:3], 0 offset:48
	;; [unrolled: 1-line block ×5, first 2 shown]
	s_waitcnt vmcnt(13)
	global_store_dwordx2 v[45:46], v[51:52], off
	s_waitcnt vmcnt(12)
	global_store_dwordx2 v[13:14], v[53:54], off
	buffer_load_dword v14, off, s[0:3], 0 offset:68
	s_nop 0
	buffer_load_dword v45, off, s[0:3], 0 offset:72
	buffer_load_dword v46, off, s[0:3], 0 offset:76
	;; [unrolled: 1-line block ×7, first 2 shown]
	s_waitcnt vmcnt(19)
	global_store_dwordx2 v[1:2], v[55:56], off
	s_waitcnt vmcnt(18)
	global_store_dwordx2 v[7:8], v[57:58], off
	buffer_load_dword v0, off, s[0:3], 0 offset:96
	buffer_load_dword v1, off, s[0:3], 0 offset:100
	s_nop 0
	buffer_load_dword v7, off, s[0:3], 0 offset:104
	buffer_load_dword v8, off, s[0:3], 0 offset:108
	buffer_load_dword v55, off, s[0:3], 0 offset:112
	buffer_load_dword v56, off, s[0:3], 0 offset:116
	buffer_load_dword v57, off, s[0:3], 0 offset:120
	buffer_load_dword v58, off, s[0:3], 0 offset:124
	s_waitcnt vmcnt(24)
	global_store_dwordx2 v[3:4], v[47:48], off
	s_waitcnt vmcnt(23)
	global_store_dwordx2 v[11:12], v[49:50], off
	buffer_load_dword v2, off, s[0:3], 0 offset:128
	buffer_load_dword v3, off, s[0:3], 0 offset:132
	s_nop 0
	buffer_load_dword v11, off, s[0:3], 0 offset:136
	buffer_load_dword v12, off, s[0:3], 0 offset:140
	buffer_load_dword v47, off, s[0:3], 0 offset:144
	buffer_load_dword v48, off, s[0:3], 0 offset:148
	buffer_load_dword v49, off, s[0:3], 0 offset:152
	buffer_load_dword v50, off, s[0:3], 0 offset:156
	;; [unrolled: 13-line block ×3, first 2 shown]
	s_nop 0
	global_store_dwordx2 v[9:10], v[45:46], off
	global_store_dwordx2 v[17:18], v[51:52], off
	;; [unrolled: 1-line block ×3, first 2 shown]
	s_waitcnt vmcnt(29)
	global_store_dwordx2 v[21:22], v[0:1], off
	s_waitcnt vmcnt(28)
	global_store_dwordx2 v[23:24], v[7:8], off
	;; [unrolled: 2-line block ×12, first 2 shown]
.LBB23_450:
	s_endpgm
	.section	.rodata,"a",@progbits
	.p2align	6, 0x0
	.amdhsa_kernel _ZN9rocsolver6v33100L18trti2_kernel_smallILi24EdPdEEv13rocblas_fill_17rocblas_diagonal_T1_iil
		.amdhsa_group_segment_fixed_size 384
		.amdhsa_private_segment_fixed_size 208
		.amdhsa_kernarg_size 32
		.amdhsa_user_sgpr_count 6
		.amdhsa_user_sgpr_private_segment_buffer 1
		.amdhsa_user_sgpr_dispatch_ptr 0
		.amdhsa_user_sgpr_queue_ptr 0
		.amdhsa_user_sgpr_kernarg_segment_ptr 1
		.amdhsa_user_sgpr_dispatch_id 0
		.amdhsa_user_sgpr_flat_scratch_init 0
		.amdhsa_user_sgpr_private_segment_size 0
		.amdhsa_uses_dynamic_stack 0
		.amdhsa_system_sgpr_private_segment_wavefront_offset 1
		.amdhsa_system_sgpr_workgroup_id_x 1
		.amdhsa_system_sgpr_workgroup_id_y 0
		.amdhsa_system_sgpr_workgroup_id_z 0
		.amdhsa_system_sgpr_workgroup_info 0
		.amdhsa_system_vgpr_workitem_id 0
		.amdhsa_next_free_vgpr 62
		.amdhsa_next_free_sgpr 37
		.amdhsa_reserve_vcc 1
		.amdhsa_reserve_flat_scratch 0
		.amdhsa_float_round_mode_32 0
		.amdhsa_float_round_mode_16_64 0
		.amdhsa_float_denorm_mode_32 3
		.amdhsa_float_denorm_mode_16_64 3
		.amdhsa_dx10_clamp 1
		.amdhsa_ieee_mode 1
		.amdhsa_fp16_overflow 0
		.amdhsa_exception_fp_ieee_invalid_op 0
		.amdhsa_exception_fp_denorm_src 0
		.amdhsa_exception_fp_ieee_div_zero 0
		.amdhsa_exception_fp_ieee_overflow 0
		.amdhsa_exception_fp_ieee_underflow 0
		.amdhsa_exception_fp_ieee_inexact 0
		.amdhsa_exception_int_div_zero 0
	.end_amdhsa_kernel
	.section	.text._ZN9rocsolver6v33100L18trti2_kernel_smallILi24EdPdEEv13rocblas_fill_17rocblas_diagonal_T1_iil,"axG",@progbits,_ZN9rocsolver6v33100L18trti2_kernel_smallILi24EdPdEEv13rocblas_fill_17rocblas_diagonal_T1_iil,comdat
.Lfunc_end23:
	.size	_ZN9rocsolver6v33100L18trti2_kernel_smallILi24EdPdEEv13rocblas_fill_17rocblas_diagonal_T1_iil, .Lfunc_end23-_ZN9rocsolver6v33100L18trti2_kernel_smallILi24EdPdEEv13rocblas_fill_17rocblas_diagonal_T1_iil
                                        ; -- End function
	.set _ZN9rocsolver6v33100L18trti2_kernel_smallILi24EdPdEEv13rocblas_fill_17rocblas_diagonal_T1_iil.num_vgpr, 62
	.set _ZN9rocsolver6v33100L18trti2_kernel_smallILi24EdPdEEv13rocblas_fill_17rocblas_diagonal_T1_iil.num_agpr, 0
	.set _ZN9rocsolver6v33100L18trti2_kernel_smallILi24EdPdEEv13rocblas_fill_17rocblas_diagonal_T1_iil.numbered_sgpr, 37
	.set _ZN9rocsolver6v33100L18trti2_kernel_smallILi24EdPdEEv13rocblas_fill_17rocblas_diagonal_T1_iil.num_named_barrier, 0
	.set _ZN9rocsolver6v33100L18trti2_kernel_smallILi24EdPdEEv13rocblas_fill_17rocblas_diagonal_T1_iil.private_seg_size, 208
	.set _ZN9rocsolver6v33100L18trti2_kernel_smallILi24EdPdEEv13rocblas_fill_17rocblas_diagonal_T1_iil.uses_vcc, 1
	.set _ZN9rocsolver6v33100L18trti2_kernel_smallILi24EdPdEEv13rocblas_fill_17rocblas_diagonal_T1_iil.uses_flat_scratch, 0
	.set _ZN9rocsolver6v33100L18trti2_kernel_smallILi24EdPdEEv13rocblas_fill_17rocblas_diagonal_T1_iil.has_dyn_sized_stack, 0
	.set _ZN9rocsolver6v33100L18trti2_kernel_smallILi24EdPdEEv13rocblas_fill_17rocblas_diagonal_T1_iil.has_recursion, 0
	.set _ZN9rocsolver6v33100L18trti2_kernel_smallILi24EdPdEEv13rocblas_fill_17rocblas_diagonal_T1_iil.has_indirect_call, 0
	.section	.AMDGPU.csdata,"",@progbits
; Kernel info:
; codeLenInByte = 13872
; TotalNumSgprs: 41
; NumVgprs: 62
; ScratchSize: 208
; MemoryBound: 0
; FloatMode: 240
; IeeeMode: 1
; LDSByteSize: 384 bytes/workgroup (compile time only)
; SGPRBlocks: 5
; VGPRBlocks: 15
; NumSGPRsForWavesPerEU: 41
; NumVGPRsForWavesPerEU: 62
; Occupancy: 4
; WaveLimiterHint : 0
; COMPUTE_PGM_RSRC2:SCRATCH_EN: 1
; COMPUTE_PGM_RSRC2:USER_SGPR: 6
; COMPUTE_PGM_RSRC2:TRAP_HANDLER: 0
; COMPUTE_PGM_RSRC2:TGID_X_EN: 1
; COMPUTE_PGM_RSRC2:TGID_Y_EN: 0
; COMPUTE_PGM_RSRC2:TGID_Z_EN: 0
; COMPUTE_PGM_RSRC2:TIDIG_COMP_CNT: 0
	.section	.text._ZN9rocsolver6v33100L18trti2_kernel_smallILi25EdPdEEv13rocblas_fill_17rocblas_diagonal_T1_iil,"axG",@progbits,_ZN9rocsolver6v33100L18trti2_kernel_smallILi25EdPdEEv13rocblas_fill_17rocblas_diagonal_T1_iil,comdat
	.globl	_ZN9rocsolver6v33100L18trti2_kernel_smallILi25EdPdEEv13rocblas_fill_17rocblas_diagonal_T1_iil ; -- Begin function _ZN9rocsolver6v33100L18trti2_kernel_smallILi25EdPdEEv13rocblas_fill_17rocblas_diagonal_T1_iil
	.p2align	8
	.type	_ZN9rocsolver6v33100L18trti2_kernel_smallILi25EdPdEEv13rocblas_fill_17rocblas_diagonal_T1_iil,@function
_ZN9rocsolver6v33100L18trti2_kernel_smallILi25EdPdEEv13rocblas_fill_17rocblas_diagonal_T1_iil: ; @_ZN9rocsolver6v33100L18trti2_kernel_smallILi25EdPdEEv13rocblas_fill_17rocblas_diagonal_T1_iil
; %bb.0:
	s_add_u32 s0, s0, s7
	s_addc_u32 s1, s1, 0
	v_cmp_gt_u32_e32 vcc, 25, v0
	s_and_saveexec_b64 s[8:9], vcc
	s_cbranch_execz .LBB24_470
; %bb.1:
	s_load_dwordx8 s[8:15], s[4:5], 0x0
	s_ashr_i32 s7, s6, 31
	v_lshlrev_b32_e32 v53, 3, v0
	s_waitcnt lgkmcnt(0)
	s_ashr_i32 s5, s12, 31
	s_mov_b32 s4, s12
	s_mul_hi_u32 s12, s14, s6
	s_mul_i32 s7, s14, s7
	s_add_i32 s7, s12, s7
	s_mul_i32 s12, s15, s6
	s_add_i32 s7, s7, s12
	s_mul_i32 s6, s14, s6
	s_lshl_b64 s[6:7], s[6:7], 3
	s_add_u32 s6, s10, s6
	s_addc_u32 s7, s11, s7
	s_lshl_b64 s[4:5], s[4:5], 3
	s_add_u32 s4, s6, s4
	s_addc_u32 s5, s7, s5
	s_add_i32 s6, s13, s13
	v_add_u32_e32 v1, s6, v0
	v_ashrrev_i32_e32 v2, 31, v1
	v_lshlrev_b64 v[2:3], 3, v[1:2]
	v_mov_b32_e32 v4, s5
	v_add_co_u32_e32 v5, vcc, s4, v2
	v_addc_co_u32_e32 v6, vcc, v4, v3, vcc
	v_add_u32_e32 v3, s13, v1
	v_ashrrev_i32_e32 v4, 31, v3
	v_lshlrev_b64 v[1:2], 3, v[3:4]
	v_mov_b32_e32 v4, s5
	v_add_co_u32_e32 v1, vcc, s4, v1
	v_add_u32_e32 v3, s13, v3
	v_addc_co_u32_e32 v2, vcc, v4, v2, vcc
	v_ashrrev_i32_e32 v4, 31, v3
	v_lshlrev_b64 v[7:8], 3, v[3:4]
	v_add_u32_e32 v9, s13, v3
	v_mov_b32_e32 v4, s5
	v_add_co_u32_e32 v7, vcc, s4, v7
	v_ashrrev_i32_e32 v10, 31, v9
	v_addc_co_u32_e32 v8, vcc, v4, v8, vcc
	v_lshlrev_b64 v[3:4], 3, v[9:10]
	v_add_u32_e32 v11, s13, v9
	v_mov_b32_e32 v10, s5
	v_add_co_u32_e32 v3, vcc, s4, v3
	v_ashrrev_i32_e32 v12, 31, v11
	v_addc_co_u32_e32 v4, vcc, v10, v4, vcc
	;; [unrolled: 6-line block ×6, first 2 shown]
	v_lshlrev_b64 v[17:18], 3, v[19:20]
	v_mov_b32_e32 v21, s5
	v_add_co_u32_e32 v17, vcc, s4, v17
	v_addc_co_u32_e32 v18, vcc, v21, v18, vcc
	v_add_u32_e32 v21, s13, v19
	v_ashrrev_i32_e32 v22, 31, v21
	v_lshlrev_b64 v[19:20], 3, v[21:22]
	v_mov_b32_e32 v23, s5
	v_add_co_u32_e32 v19, vcc, s4, v19
	v_addc_co_u32_e32 v20, vcc, v23, v20, vcc
	v_add_u32_e32 v23, s13, v21
	v_ashrrev_i32_e32 v24, 31, v23
	;; [unrolled: 6-line block ×6, first 2 shown]
	v_lshlrev_b64 v[29:30], 3, v[31:32]
	v_mov_b32_e32 v32, s5
	v_add_co_u32_e32 v49, vcc, s4, v53
	s_ashr_i32 s7, s13, 31
	s_mov_b32 s6, s13
	v_addc_co_u32_e32 v50, vcc, 0, v32, vcc
	s_lshl_b64 s[6:7], s[6:7], 3
	v_mov_b32_e32 v32, s7
	v_add_co_u32_e32 v43, vcc, s6, v49
	v_addc_co_u32_e32 v44, vcc, v50, v32, vcc
	global_load_dwordx2 v[51:52], v53, s[4:5]
	global_load_dwordx2 v[54:55], v[43:44], off
	global_load_dwordx2 v[56:57], v[5:6], off
	;; [unrolled: 1-line block ×10, first 2 shown]
	v_mov_b32_e32 v33, s5
	v_add_co_u32_e32 v29, vcc, s4, v29
	v_addc_co_u32_e32 v30, vcc, v33, v30, vcc
	v_add_u32_e32 v33, s13, v31
	v_ashrrev_i32_e32 v34, 31, v33
	v_lshlrev_b64 v[31:32], 3, v[33:34]
	v_mov_b32_e32 v35, s5
	v_add_co_u32_e32 v31, vcc, s4, v31
	v_addc_co_u32_e32 v32, vcc, v35, v32, vcc
	v_add_u32_e32 v35, s13, v33
	v_ashrrev_i32_e32 v36, 31, v35
	v_lshlrev_b64 v[33:34], 3, v[35:36]
	;; [unrolled: 6-line block ×7, first 2 shown]
	v_add_u32_e32 v47, s13, v47
	v_ashrrev_i32_e32 v48, 31, v47
	v_mov_b32_e32 v74, s5
	v_add_co_u32_e32 v45, vcc, s4, v45
	v_lshlrev_b64 v[47:48], 3, v[47:48]
	v_addc_co_u32_e32 v46, vcc, v74, v46, vcc
	s_waitcnt vmcnt(10)
	buffer_store_dword v52, off, s[0:3], 0 offset:4
	buffer_store_dword v51, off, s[0:3], 0
	s_waitcnt vmcnt(11)
	buffer_store_dword v55, off, s[0:3], 0 offset:12
	buffer_store_dword v54, off, s[0:3], 0 offset:8
	s_waitcnt vmcnt(12)
	buffer_store_dword v57, off, s[0:3], 0 offset:20
	buffer_store_dword v56, off, s[0:3], 0 offset:16
	;; [unrolled: 3-line block ×3, first 2 shown]
	s_waitcnt vmcnt(14)
	buffer_store_dword v61, off, s[0:3], 0 offset:36
	v_add_co_u32_e32 v47, vcc, s4, v47
	global_load_dwordx2 v[51:52], v[19:20], off
	global_load_dwordx2 v[54:55], v[21:22], off
	;; [unrolled: 1-line block ×4, first 2 shown]
	v_addc_co_u32_e32 v48, vcc, v74, v48, vcc
	s_waitcnt vmcnt(17)
	buffer_store_dword v72, off, s[0:3], 0 offset:80
	global_load_dwordx2 v[78:79], v[45:46], off
	global_load_dwordx2 v[74:75], v[35:36], off
	;; [unrolled: 1-line block ×3, first 2 shown]
	s_cmpk_lg_i32 s9, 0x84
	buffer_store_dword v73, off, s[0:3], 0 offset:84
	global_load_dwordx2 v[72:73], v[47:48], off
	s_cselect_b64 s[10:11], -1, 0
	buffer_store_dword v60, off, s[0:3], 0 offset:32
	global_load_dwordx2 v[60:61], v[27:28], off
	s_cmpk_eq_i32 s9, 0x84
	s_waitcnt vmcnt(24)
	buffer_store_dword v63, off, s[0:3], 0 offset:44
	buffer_store_dword v62, off, s[0:3], 0 offset:40
	global_load_dwordx2 v[62:63], v[29:30], off
	s_waitcnt vmcnt(26)
	buffer_store_dword v65, off, s[0:3], 0 offset:52
	buffer_store_dword v64, off, s[0:3], 0 offset:48
	global_load_dwordx2 v[64:65], v[31:32], off
	;; [unrolled: 4-line block ×4, first 2 shown]
	s_nop 0
	buffer_store_dword v70, off, s[0:3], 0 offset:72
	buffer_store_dword v71, off, s[0:3], 0 offset:76
	global_load_dwordx2 v[70:71], v[41:42], off
	s_waitcnt vmcnt(26)
	buffer_store_dword v51, off, s[0:3], 0 offset:88
	buffer_store_dword v52, off, s[0:3], 0 offset:92
	s_waitcnt vmcnt(27)
	buffer_store_dword v54, off, s[0:3], 0 offset:96
	buffer_store_dword v55, off, s[0:3], 0 offset:100
	;; [unrolled: 3-line block ×8, first 2 shown]
	buffer_store_dword v75, off, s[0:3], 0 offset:156
	buffer_store_dword v74, off, s[0:3], 0 offset:152
	s_waitcnt vmcnt(21)
	buffer_store_dword v69, off, s[0:3], 0 offset:164
	buffer_store_dword v68, off, s[0:3], 0 offset:160
	;; [unrolled: 1-line block ×4, first 2 shown]
	s_waitcnt vmcnt(22)
	buffer_store_dword v70, off, s[0:3], 0 offset:176
	buffer_store_dword v71, off, s[0:3], 0 offset:180
	;; [unrolled: 1-line block ×5, first 2 shown]
	v_mov_b32_e32 v51, 0
	v_mov_b32_e32 v52, 0xbff00000
	buffer_store_dword v73, off, s[0:3], 0 offset:196
	s_cbranch_scc1 .LBB24_3
; %bb.2:
	v_mov_b32_e32 v51, 0
	v_lshl_add_u32 v62, v0, 3, v51
	buffer_load_dword v51, v62, s[0:3], 0 offen
	buffer_load_dword v52, v62, s[0:3], 0 offen offset:4
	s_waitcnt vmcnt(0)
	v_div_scale_f64 v[54:55], s[4:5], v[51:52], v[51:52], 1.0
	v_rcp_f64_e32 v[56:57], v[54:55]
	v_fma_f64 v[58:59], -v[54:55], v[56:57], 1.0
	v_fma_f64 v[56:57], v[56:57], v[58:59], v[56:57]
	v_div_scale_f64 v[58:59], vcc, 1.0, v[51:52], 1.0
	v_fma_f64 v[60:61], -v[54:55], v[56:57], 1.0
	v_fma_f64 v[56:57], v[56:57], v[60:61], v[56:57]
	v_mul_f64 v[60:61], v[58:59], v[56:57]
	v_fma_f64 v[54:55], -v[54:55], v[60:61], v[58:59]
	v_div_fmas_f64 v[54:55], v[54:55], v[56:57], v[60:61]
	v_div_fixup_f64 v[51:52], v[54:55], v[51:52], 1.0
	buffer_store_dword v51, v62, s[0:3], 0 offen
	buffer_store_dword v52, v62, s[0:3], 0 offen offset:4
	v_xor_b32_e32 v52, 0x80000000, v52
.LBB24_3:
	s_cmpk_eq_i32 s8, 0x79
	v_add_u32_e32 v54, 0xd0, v53
	v_mov_b32_e32 v55, v53
	s_mov_b64 s[4:5], -1
	ds_write_b64 v53, v[51:52]
	s_cbranch_scc1 .LBB24_237
; %bb.4:
	buffer_load_dword v51, off, s[0:3], 0 offset:184
	buffer_load_dword v52, off, s[0:3], 0 offset:188
	s_movk_i32 s12, 0x48
	s_movk_i32 s13, 0x50
	;; [unrolled: 1-line block ×14, first 2 shown]
	v_cmp_eq_u32_e64 s[4:5], 24, v0
	s_waitcnt vmcnt(0)
	ds_write_b64 v54, v[51:52]
	s_waitcnt lgkmcnt(0)
	; wave barrier
	s_and_saveexec_b64 s[6:7], s[4:5]
	s_cbranch_execz .LBB24_10
; %bb.5:
	s_and_b64 vcc, exec, s[10:11]
	s_cbranch_vccz .LBB24_7
; %bb.6:
	buffer_load_dword v51, v55, s[0:3], 0 offen
	buffer_load_dword v52, v55, s[0:3], 0 offen offset:4
	ds_read_b64 v[56:57], v54
	s_waitcnt vmcnt(0) lgkmcnt(0)
	v_mul_f64 v[51:52], v[51:52], v[56:57]
	s_cbranch_execz .LBB24_8
	s_branch .LBB24_9
.LBB24_7:
                                        ; implicit-def: $vgpr51_vgpr52
.LBB24_8:
	ds_read_b64 v[51:52], v54
.LBB24_9:
	v_mov_b32_e32 v56, 0
	ds_read_b64 v[56:57], v56 offset:184
	s_waitcnt lgkmcnt(0)
	v_mul_f64 v[51:52], v[51:52], v[56:57]
	buffer_store_dword v52, off, s[0:3], 0 offset:188
	buffer_store_dword v51, off, s[0:3], 0 offset:184
.LBB24_10:
	s_or_b64 exec, exec, s[6:7]
	buffer_load_dword v51, off, s[0:3], 0 offset:176
	buffer_load_dword v52, off, s[0:3], 0 offset:180
	s_or_b32 s14, 0, 8
	s_mov_b32 s15, 16
	s_mov_b32 s16, 24
	;; [unrolled: 1-line block ×9, first 2 shown]
	v_cmp_lt_u32_e64 s[6:7], 22, v0
	s_waitcnt vmcnt(0)
	ds_write_b64 v54, v[51:52]
	s_waitcnt lgkmcnt(0)
	; wave barrier
	s_and_saveexec_b64 s[8:9], s[6:7]
	s_cbranch_execz .LBB24_16
; %bb.11:
	s_andn2_b64 vcc, exec, s[10:11]
	s_cbranch_vccnz .LBB24_13
; %bb.12:
	buffer_load_dword v51, v55, s[0:3], 0 offen
	buffer_load_dword v52, v55, s[0:3], 0 offen offset:4
	ds_read_b64 v[56:57], v54
	s_waitcnt vmcnt(0) lgkmcnt(0)
	v_mul_f64 v[51:52], v[51:52], v[56:57]
	s_cbranch_execz .LBB24_14
	s_branch .LBB24_15
.LBB24_13:
                                        ; implicit-def: $vgpr51_vgpr52
.LBB24_14:
	ds_read_b64 v[51:52], v54
.LBB24_15:
	buffer_load_dword v60, off, s[0:3], 0 offset:184
	buffer_load_dword v61, off, s[0:3], 0 offset:188
	v_mov_b32_e32 v56, 0
	ds_read2_b64 v[56:59], v56 offset0:22 offset1:49
	s_waitcnt vmcnt(0) lgkmcnt(0)
	v_fma_f64 v[58:59], v[60:61], v[58:59], v[51:52]
	v_cndmask_b32_e64 v52, v52, v59, s[4:5]
	v_cndmask_b32_e64 v51, v51, v58, s[4:5]
	v_mul_f64 v[51:52], v[51:52], v[56:57]
	buffer_store_dword v52, off, s[0:3], 0 offset:180
	buffer_store_dword v51, off, s[0:3], 0 offset:176
.LBB24_16:
	s_or_b64 exec, exec, s[8:9]
	buffer_load_dword v51, off, s[0:3], 0 offset:168
	buffer_load_dword v52, off, s[0:3], 0 offset:172
	v_cmp_lt_u32_e64 s[4:5], 21, v0
	s_waitcnt vmcnt(0)
	ds_write_b64 v54, v[51:52]
	s_waitcnt lgkmcnt(0)
	; wave barrier
	s_and_saveexec_b64 s[8:9], s[4:5]
	s_cbranch_execz .LBB24_26
; %bb.17:
	s_andn2_b64 vcc, exec, s[10:11]
	s_cbranch_vccnz .LBB24_19
; %bb.18:
	buffer_load_dword v51, v55, s[0:3], 0 offen
	buffer_load_dword v52, v55, s[0:3], 0 offen offset:4
	ds_read_b64 v[56:57], v54
	s_waitcnt vmcnt(0) lgkmcnt(0)
	v_mul_f64 v[51:52], v[51:52], v[56:57]
	s_cbranch_execz .LBB24_20
	s_branch .LBB24_21
.LBB24_19:
                                        ; implicit-def: $vgpr51_vgpr52
.LBB24_20:
	ds_read_b64 v[51:52], v54
.LBB24_21:
	s_and_saveexec_b64 s[12:13], s[6:7]
	s_cbranch_execz .LBB24_25
; %bb.22:
	v_subrev_u32_e32 v56, 22, v0
	s_movk_i32 s37, 0x180
	s_mov_b64 s[6:7], 0
.LBB24_23:                              ; =>This Inner Loop Header: Depth=1
	v_mov_b32_e32 v59, s36
	buffer_load_dword v57, v59, s[0:3], 0 offen
	buffer_load_dword v58, v59, s[0:3], 0 offen offset:4
	v_mov_b32_e32 v59, s37
	ds_read_b64 v[59:60], v59
	v_add_u32_e32 v56, -1, v56
	s_add_i32 s37, s37, 8
	s_add_i32 s36, s36, 8
	v_cmp_eq_u32_e32 vcc, 0, v56
	s_or_b64 s[6:7], vcc, s[6:7]
	s_waitcnt vmcnt(0) lgkmcnt(0)
	v_fma_f64 v[51:52], v[57:58], v[59:60], v[51:52]
	s_andn2_b64 exec, exec, s[6:7]
	s_cbranch_execnz .LBB24_23
; %bb.24:
	s_or_b64 exec, exec, s[6:7]
.LBB24_25:
	s_or_b64 exec, exec, s[12:13]
	v_mov_b32_e32 v56, 0
	ds_read_b64 v[56:57], v56 offset:168
	s_waitcnt lgkmcnt(0)
	v_mul_f64 v[51:52], v[51:52], v[56:57]
	buffer_store_dword v52, off, s[0:3], 0 offset:172
	buffer_store_dword v51, off, s[0:3], 0 offset:168
.LBB24_26:
	s_or_b64 exec, exec, s[8:9]
	buffer_load_dword v51, off, s[0:3], 0 offset:160
	buffer_load_dword v52, off, s[0:3], 0 offset:164
	v_cmp_lt_u32_e64 s[6:7], 20, v0
	s_waitcnt vmcnt(0)
	ds_write_b64 v54, v[51:52]
	s_waitcnt lgkmcnt(0)
	; wave barrier
	s_and_saveexec_b64 s[8:9], s[6:7]
	s_cbranch_execz .LBB24_36
; %bb.27:
	s_andn2_b64 vcc, exec, s[10:11]
	s_cbranch_vccnz .LBB24_29
; %bb.28:
	buffer_load_dword v51, v55, s[0:3], 0 offen
	buffer_load_dword v52, v55, s[0:3], 0 offen offset:4
	ds_read_b64 v[56:57], v54
	s_waitcnt vmcnt(0) lgkmcnt(0)
	v_mul_f64 v[51:52], v[51:52], v[56:57]
	s_cbranch_execz .LBB24_30
	s_branch .LBB24_31
.LBB24_29:
                                        ; implicit-def: $vgpr51_vgpr52
.LBB24_30:
	ds_read_b64 v[51:52], v54
.LBB24_31:
	s_and_saveexec_b64 s[12:13], s[4:5]
	s_cbranch_execz .LBB24_35
; %bb.32:
	v_subrev_u32_e32 v56, 21, v0
	s_movk_i32 s36, 0x178
	s_mov_b64 s[4:5], 0
.LBB24_33:                              ; =>This Inner Loop Header: Depth=1
	v_mov_b32_e32 v59, s35
	buffer_load_dword v57, v59, s[0:3], 0 offen
	buffer_load_dword v58, v59, s[0:3], 0 offen offset:4
	v_mov_b32_e32 v59, s36
	ds_read_b64 v[59:60], v59
	v_add_u32_e32 v56, -1, v56
	s_add_i32 s36, s36, 8
	s_add_i32 s35, s35, 8
	v_cmp_eq_u32_e32 vcc, 0, v56
	s_or_b64 s[4:5], vcc, s[4:5]
	s_waitcnt vmcnt(0) lgkmcnt(0)
	v_fma_f64 v[51:52], v[57:58], v[59:60], v[51:52]
	s_andn2_b64 exec, exec, s[4:5]
	s_cbranch_execnz .LBB24_33
; %bb.34:
	s_or_b64 exec, exec, s[4:5]
.LBB24_35:
	s_or_b64 exec, exec, s[12:13]
	v_mov_b32_e32 v56, 0
	ds_read_b64 v[56:57], v56 offset:160
	s_waitcnt lgkmcnt(0)
	v_mul_f64 v[51:52], v[51:52], v[56:57]
	buffer_store_dword v52, off, s[0:3], 0 offset:164
	buffer_store_dword v51, off, s[0:3], 0 offset:160
.LBB24_36:
	;; [unrolled: 58-line block ×6, first 2 shown]
	s_or_b64 exec, exec, s[8:9]
	buffer_load_dword v51, off, s[0:3], 0 offset:120
	buffer_load_dword v52, off, s[0:3], 0 offset:124
	v_cmp_lt_u32_e64 s[4:5], 15, v0
	s_waitcnt vmcnt(0)
	ds_write_b64 v54, v[51:52]
	s_waitcnt lgkmcnt(0)
	; wave barrier
	s_and_saveexec_b64 s[8:9], s[4:5]
	s_cbranch_execz .LBB24_86
; %bb.77:
	s_andn2_b64 vcc, exec, s[10:11]
	s_cbranch_vccnz .LBB24_79
; %bb.78:
	buffer_load_dword v51, v55, s[0:3], 0 offen
	buffer_load_dword v52, v55, s[0:3], 0 offen offset:4
	ds_read_b64 v[56:57], v54
	s_waitcnt vmcnt(0) lgkmcnt(0)
	v_mul_f64 v[51:52], v[51:52], v[56:57]
	s_cbranch_execz .LBB24_80
	s_branch .LBB24_81
.LBB24_79:
                                        ; implicit-def: $vgpr51_vgpr52
.LBB24_80:
	ds_read_b64 v[51:52], v54
.LBB24_81:
	s_and_saveexec_b64 s[12:13], s[6:7]
	s_cbranch_execz .LBB24_85
; %bb.82:
	v_add_u32_e32 v56, -16, v0
	s_movk_i32 s30, 0x150
	s_mov_b64 s[6:7], 0
.LBB24_83:                              ; =>This Inner Loop Header: Depth=1
	v_mov_b32_e32 v59, s29
	buffer_load_dword v57, v59, s[0:3], 0 offen
	buffer_load_dword v58, v59, s[0:3], 0 offen offset:4
	v_mov_b32_e32 v59, s30
	ds_read_b64 v[59:60], v59
	v_add_u32_e32 v56, -1, v56
	s_add_i32 s30, s30, 8
	s_add_i32 s29, s29, 8
	v_cmp_eq_u32_e32 vcc, 0, v56
	s_or_b64 s[6:7], vcc, s[6:7]
	s_waitcnt vmcnt(0) lgkmcnt(0)
	v_fma_f64 v[51:52], v[57:58], v[59:60], v[51:52]
	s_andn2_b64 exec, exec, s[6:7]
	s_cbranch_execnz .LBB24_83
; %bb.84:
	s_or_b64 exec, exec, s[6:7]
.LBB24_85:
	s_or_b64 exec, exec, s[12:13]
	v_mov_b32_e32 v56, 0
	ds_read_b64 v[56:57], v56 offset:120
	s_waitcnt lgkmcnt(0)
	v_mul_f64 v[51:52], v[51:52], v[56:57]
	buffer_store_dword v52, off, s[0:3], 0 offset:124
	buffer_store_dword v51, off, s[0:3], 0 offset:120
.LBB24_86:
	s_or_b64 exec, exec, s[8:9]
	buffer_load_dword v51, off, s[0:3], 0 offset:112
	buffer_load_dword v52, off, s[0:3], 0 offset:116
	v_cmp_lt_u32_e64 s[6:7], 14, v0
	s_waitcnt vmcnt(0)
	ds_write_b64 v54, v[51:52]
	s_waitcnt lgkmcnt(0)
	; wave barrier
	s_and_saveexec_b64 s[8:9], s[6:7]
	s_cbranch_execz .LBB24_96
; %bb.87:
	s_andn2_b64 vcc, exec, s[10:11]
	s_cbranch_vccnz .LBB24_89
; %bb.88:
	buffer_load_dword v51, v55, s[0:3], 0 offen
	buffer_load_dword v52, v55, s[0:3], 0 offen offset:4
	ds_read_b64 v[56:57], v54
	s_waitcnt vmcnt(0) lgkmcnt(0)
	v_mul_f64 v[51:52], v[51:52], v[56:57]
	s_cbranch_execz .LBB24_90
	s_branch .LBB24_91
.LBB24_89:
                                        ; implicit-def: $vgpr51_vgpr52
.LBB24_90:
	ds_read_b64 v[51:52], v54
.LBB24_91:
	s_and_saveexec_b64 s[12:13], s[4:5]
	s_cbranch_execz .LBB24_95
; %bb.92:
	v_add_u32_e32 v56, -15, v0
	s_movk_i32 s29, 0x148
	s_mov_b64 s[4:5], 0
.LBB24_93:                              ; =>This Inner Loop Header: Depth=1
	v_mov_b32_e32 v59, s28
	buffer_load_dword v57, v59, s[0:3], 0 offen
	buffer_load_dword v58, v59, s[0:3], 0 offen offset:4
	v_mov_b32_e32 v59, s29
	ds_read_b64 v[59:60], v59
	v_add_u32_e32 v56, -1, v56
	s_add_i32 s29, s29, 8
	s_add_i32 s28, s28, 8
	v_cmp_eq_u32_e32 vcc, 0, v56
	s_or_b64 s[4:5], vcc, s[4:5]
	s_waitcnt vmcnt(0) lgkmcnt(0)
	v_fma_f64 v[51:52], v[57:58], v[59:60], v[51:52]
	s_andn2_b64 exec, exec, s[4:5]
	s_cbranch_execnz .LBB24_93
; %bb.94:
	s_or_b64 exec, exec, s[4:5]
.LBB24_95:
	s_or_b64 exec, exec, s[12:13]
	v_mov_b32_e32 v56, 0
	ds_read_b64 v[56:57], v56 offset:112
	s_waitcnt lgkmcnt(0)
	v_mul_f64 v[51:52], v[51:52], v[56:57]
	buffer_store_dword v52, off, s[0:3], 0 offset:116
	buffer_store_dword v51, off, s[0:3], 0 offset:112
.LBB24_96:
	s_or_b64 exec, exec, s[8:9]
	buffer_load_dword v51, off, s[0:3], 0 offset:104
	buffer_load_dword v52, off, s[0:3], 0 offset:108
	v_cmp_lt_u32_e64 s[4:5], 13, v0
	s_waitcnt vmcnt(0)
	ds_write_b64 v54, v[51:52]
	s_waitcnt lgkmcnt(0)
	; wave barrier
	s_and_saveexec_b64 s[8:9], s[4:5]
	s_cbranch_execz .LBB24_106
; %bb.97:
	s_andn2_b64 vcc, exec, s[10:11]
	s_cbranch_vccnz .LBB24_99
; %bb.98:
	buffer_load_dword v51, v55, s[0:3], 0 offen
	buffer_load_dword v52, v55, s[0:3], 0 offen offset:4
	ds_read_b64 v[56:57], v54
	s_waitcnt vmcnt(0) lgkmcnt(0)
	v_mul_f64 v[51:52], v[51:52], v[56:57]
	s_cbranch_execz .LBB24_100
	s_branch .LBB24_101
.LBB24_99:
                                        ; implicit-def: $vgpr51_vgpr52
.LBB24_100:
	ds_read_b64 v[51:52], v54
.LBB24_101:
	s_and_saveexec_b64 s[12:13], s[6:7]
	s_cbranch_execz .LBB24_105
; %bb.102:
	v_add_u32_e32 v56, -14, v0
	s_movk_i32 s28, 0x140
	s_mov_b64 s[6:7], 0
.LBB24_103:                             ; =>This Inner Loop Header: Depth=1
	v_mov_b32_e32 v59, s27
	buffer_load_dword v57, v59, s[0:3], 0 offen
	buffer_load_dword v58, v59, s[0:3], 0 offen offset:4
	v_mov_b32_e32 v59, s28
	ds_read_b64 v[59:60], v59
	v_add_u32_e32 v56, -1, v56
	s_add_i32 s28, s28, 8
	s_add_i32 s27, s27, 8
	v_cmp_eq_u32_e32 vcc, 0, v56
	s_or_b64 s[6:7], vcc, s[6:7]
	s_waitcnt vmcnt(0) lgkmcnt(0)
	v_fma_f64 v[51:52], v[57:58], v[59:60], v[51:52]
	s_andn2_b64 exec, exec, s[6:7]
	s_cbranch_execnz .LBB24_103
; %bb.104:
	s_or_b64 exec, exec, s[6:7]
.LBB24_105:
	s_or_b64 exec, exec, s[12:13]
	v_mov_b32_e32 v56, 0
	ds_read_b64 v[56:57], v56 offset:104
	s_waitcnt lgkmcnt(0)
	v_mul_f64 v[51:52], v[51:52], v[56:57]
	buffer_store_dword v52, off, s[0:3], 0 offset:108
	buffer_store_dword v51, off, s[0:3], 0 offset:104
.LBB24_106:
	s_or_b64 exec, exec, s[8:9]
	buffer_load_dword v51, off, s[0:3], 0 offset:96
	buffer_load_dword v52, off, s[0:3], 0 offset:100
	v_cmp_lt_u32_e64 s[6:7], 12, v0
	s_waitcnt vmcnt(0)
	ds_write_b64 v54, v[51:52]
	s_waitcnt lgkmcnt(0)
	; wave barrier
	s_and_saveexec_b64 s[8:9], s[6:7]
	s_cbranch_execz .LBB24_116
; %bb.107:
	s_andn2_b64 vcc, exec, s[10:11]
	s_cbranch_vccnz .LBB24_109
; %bb.108:
	buffer_load_dword v51, v55, s[0:3], 0 offen
	buffer_load_dword v52, v55, s[0:3], 0 offen offset:4
	ds_read_b64 v[56:57], v54
	s_waitcnt vmcnt(0) lgkmcnt(0)
	v_mul_f64 v[51:52], v[51:52], v[56:57]
	s_cbranch_execz .LBB24_110
	s_branch .LBB24_111
.LBB24_109:
                                        ; implicit-def: $vgpr51_vgpr52
.LBB24_110:
	ds_read_b64 v[51:52], v54
.LBB24_111:
	s_and_saveexec_b64 s[12:13], s[4:5]
	s_cbranch_execz .LBB24_115
; %bb.112:
	v_add_u32_e32 v56, -13, v0
	s_movk_i32 s27, 0x138
	s_mov_b64 s[4:5], 0
.LBB24_113:                             ; =>This Inner Loop Header: Depth=1
	v_mov_b32_e32 v59, s26
	buffer_load_dword v57, v59, s[0:3], 0 offen
	buffer_load_dword v58, v59, s[0:3], 0 offen offset:4
	v_mov_b32_e32 v59, s27
	ds_read_b64 v[59:60], v59
	v_add_u32_e32 v56, -1, v56
	s_add_i32 s27, s27, 8
	s_add_i32 s26, s26, 8
	v_cmp_eq_u32_e32 vcc, 0, v56
	s_or_b64 s[4:5], vcc, s[4:5]
	s_waitcnt vmcnt(0) lgkmcnt(0)
	v_fma_f64 v[51:52], v[57:58], v[59:60], v[51:52]
	s_andn2_b64 exec, exec, s[4:5]
	s_cbranch_execnz .LBB24_113
; %bb.114:
	s_or_b64 exec, exec, s[4:5]
.LBB24_115:
	s_or_b64 exec, exec, s[12:13]
	v_mov_b32_e32 v56, 0
	ds_read_b64 v[56:57], v56 offset:96
	s_waitcnt lgkmcnt(0)
	v_mul_f64 v[51:52], v[51:52], v[56:57]
	buffer_store_dword v52, off, s[0:3], 0 offset:100
	buffer_store_dword v51, off, s[0:3], 0 offset:96
.LBB24_116:
	;; [unrolled: 58-line block ×13, first 2 shown]
	s_or_b64 exec, exec, s[8:9]
	buffer_load_dword v51, off, s[0:3], 0
	buffer_load_dword v52, off, s[0:3], 0 offset:4
	v_cmp_ne_u32_e32 vcc, 0, v0
	s_waitcnt vmcnt(0)
	ds_write_b64 v54, v[51:52]
	s_waitcnt lgkmcnt(0)
	; wave barrier
	s_and_saveexec_b64 s[6:7], vcc
	s_cbranch_execz .LBB24_236
; %bb.227:
	s_andn2_b64 vcc, exec, s[10:11]
	s_cbranch_vccnz .LBB24_229
; %bb.228:
	buffer_load_dword v51, v55, s[0:3], 0 offen
	buffer_load_dword v52, v55, s[0:3], 0 offen offset:4
	ds_read_b64 v[56:57], v54
	s_waitcnt vmcnt(0) lgkmcnt(0)
	v_mul_f64 v[51:52], v[51:52], v[56:57]
	s_cbranch_execz .LBB24_230
	s_branch .LBB24_231
.LBB24_229:
                                        ; implicit-def: $vgpr51_vgpr52
.LBB24_230:
	ds_read_b64 v[51:52], v54
.LBB24_231:
	s_and_saveexec_b64 s[8:9], s[4:5]
	s_cbranch_execz .LBB24_235
; %bb.232:
	v_add_u32_e32 v56, -1, v0
	s_movk_i32 s12, 0xd8
	s_mov_b64 s[4:5], 0
.LBB24_233:                             ; =>This Inner Loop Header: Depth=1
	v_mov_b32_e32 v59, s14
	buffer_load_dword v57, v59, s[0:3], 0 offen
	buffer_load_dword v58, v59, s[0:3], 0 offen offset:4
	v_mov_b32_e32 v59, s12
	ds_read_b64 v[59:60], v59
	v_add_u32_e32 v56, -1, v56
	s_add_i32 s12, s12, 8
	s_add_i32 s14, s14, 8
	v_cmp_eq_u32_e32 vcc, 0, v56
	s_or_b64 s[4:5], vcc, s[4:5]
	s_waitcnt vmcnt(0) lgkmcnt(0)
	v_fma_f64 v[51:52], v[57:58], v[59:60], v[51:52]
	s_andn2_b64 exec, exec, s[4:5]
	s_cbranch_execnz .LBB24_233
; %bb.234:
	s_or_b64 exec, exec, s[4:5]
.LBB24_235:
	s_or_b64 exec, exec, s[8:9]
	v_mov_b32_e32 v56, 0
	ds_read_b64 v[56:57], v56
	s_waitcnt lgkmcnt(0)
	v_mul_f64 v[51:52], v[51:52], v[56:57]
	buffer_store_dword v52, off, s[0:3], 0 offset:4
	buffer_store_dword v51, off, s[0:3], 0
.LBB24_236:
	s_or_b64 exec, exec, s[6:7]
	s_mov_b64 s[4:5], 0
.LBB24_237:
	s_and_b64 vcc, exec, s[4:5]
	s_cbranch_vccz .LBB24_469
; %bb.238:
	buffer_load_dword v51, off, s[0:3], 0 offset:8
	buffer_load_dword v52, off, s[0:3], 0 offset:12
	v_cmp_eq_u32_e64 s[6:7], 0, v0
	s_waitcnt vmcnt(0)
	ds_write_b64 v54, v[51:52]
	s_waitcnt lgkmcnt(0)
	; wave barrier
	s_and_saveexec_b64 s[4:5], s[6:7]
	s_cbranch_execz .LBB24_244
; %bb.239:
	s_and_b64 vcc, exec, s[10:11]
	s_cbranch_vccz .LBB24_241
; %bb.240:
	buffer_load_dword v51, v55, s[0:3], 0 offen
	buffer_load_dword v52, v55, s[0:3], 0 offen offset:4
	ds_read_b64 v[56:57], v54
	s_waitcnt vmcnt(0) lgkmcnt(0)
	v_mul_f64 v[51:52], v[51:52], v[56:57]
	s_cbranch_execz .LBB24_242
	s_branch .LBB24_243
.LBB24_241:
                                        ; implicit-def: $vgpr51_vgpr52
.LBB24_242:
	ds_read_b64 v[51:52], v54
.LBB24_243:
	v_mov_b32_e32 v56, 0
	ds_read_b64 v[56:57], v56 offset:8
	s_waitcnt lgkmcnt(0)
	v_mul_f64 v[51:52], v[51:52], v[56:57]
	buffer_store_dword v52, off, s[0:3], 0 offset:12
	buffer_store_dword v51, off, s[0:3], 0 offset:8
.LBB24_244:
	s_or_b64 exec, exec, s[4:5]
	buffer_load_dword v51, off, s[0:3], 0 offset:16
	buffer_load_dword v52, off, s[0:3], 0 offset:20
	v_cndmask_b32_e64 v56, 0, 1, s[10:11]
	v_cmp_gt_u32_e32 vcc, 2, v0
	v_cmp_ne_u32_e64 s[4:5], 1, v56
	s_waitcnt vmcnt(0)
	ds_write_b64 v54, v[51:52]
	s_waitcnt lgkmcnt(0)
	; wave barrier
	s_and_saveexec_b64 s[8:9], vcc
	s_cbranch_execz .LBB24_250
; %bb.245:
	s_and_b64 vcc, exec, s[4:5]
	s_cbranch_vccnz .LBB24_247
; %bb.246:
	buffer_load_dword v51, v55, s[0:3], 0 offen
	buffer_load_dword v52, v55, s[0:3], 0 offen offset:4
	ds_read_b64 v[56:57], v54
	s_waitcnt vmcnt(0) lgkmcnt(0)
	v_mul_f64 v[51:52], v[51:52], v[56:57]
	s_cbranch_execz .LBB24_248
	s_branch .LBB24_249
.LBB24_247:
                                        ; implicit-def: $vgpr51_vgpr52
.LBB24_248:
	ds_read_b64 v[51:52], v54
.LBB24_249:
	buffer_load_dword v60, off, s[0:3], 0 offset:8
	buffer_load_dword v61, off, s[0:3], 0 offset:12
	v_mov_b32_e32 v56, 0
	ds_read2_b64 v[56:59], v56 offset0:2 offset1:27
	s_waitcnt vmcnt(0) lgkmcnt(0)
	v_fma_f64 v[58:59], v[60:61], v[58:59], v[51:52]
	v_cndmask_b32_e64 v52, v52, v59, s[6:7]
	v_cndmask_b32_e64 v51, v51, v58, s[6:7]
	v_mul_f64 v[51:52], v[51:52], v[56:57]
	buffer_store_dword v52, off, s[0:3], 0 offset:20
	buffer_store_dword v51, off, s[0:3], 0 offset:16
.LBB24_250:
	s_or_b64 exec, exec, s[8:9]
	buffer_load_dword v51, off, s[0:3], 0 offset:24
	buffer_load_dword v52, off, s[0:3], 0 offset:28
	v_cmp_gt_u32_e32 vcc, 3, v0
	s_waitcnt vmcnt(0)
	ds_write_b64 v54, v[51:52]
	s_waitcnt lgkmcnt(0)
	; wave barrier
	s_and_saveexec_b64 s[8:9], vcc
	s_cbranch_execz .LBB24_258
; %bb.251:
	s_and_b64 vcc, exec, s[4:5]
	s_cbranch_vccnz .LBB24_253
; %bb.252:
	buffer_load_dword v51, v55, s[0:3], 0 offen
	buffer_load_dword v52, v55, s[0:3], 0 offen offset:4
	ds_read_b64 v[56:57], v54
	s_waitcnt vmcnt(0) lgkmcnt(0)
	v_mul_f64 v[51:52], v[51:52], v[56:57]
	s_cbranch_execz .LBB24_254
	s_branch .LBB24_255
.LBB24_253:
                                        ; implicit-def: $vgpr51_vgpr52
.LBB24_254:
	ds_read_b64 v[51:52], v54
.LBB24_255:
	v_cmp_ne_u32_e32 vcc, 2, v0
	s_and_saveexec_b64 s[10:11], vcc
	s_cbranch_execz .LBB24_257
; %bb.256:
	buffer_load_dword v56, v55, s[0:3], 0 offen offset:8
	buffer_load_dword v57, v55, s[0:3], 0 offen offset:12
	buffer_load_dword v58, off, s[0:3], 0 offset:16
	buffer_load_dword v59, off, s[0:3], 0 offset:20
	ds_read_b64 v[60:61], v54 offset:8
	v_mov_b32_e32 v62, 0
	ds_read_b64 v[62:63], v62 offset:224
	s_waitcnt vmcnt(2) lgkmcnt(1)
	v_fma_f64 v[51:52], v[56:57], v[60:61], v[51:52]
	s_waitcnt vmcnt(0) lgkmcnt(0)
	v_fma_f64 v[56:57], v[58:59], v[62:63], v[51:52]
	v_cndmask_b32_e64 v52, v52, v57, s[6:7]
	v_cndmask_b32_e64 v51, v51, v56, s[6:7]
.LBB24_257:
	s_or_b64 exec, exec, s[10:11]
	v_mov_b32_e32 v56, 0
	ds_read_b64 v[56:57], v56 offset:24
	s_waitcnt lgkmcnt(0)
	v_mul_f64 v[51:52], v[51:52], v[56:57]
	buffer_store_dword v52, off, s[0:3], 0 offset:28
	buffer_store_dword v51, off, s[0:3], 0 offset:24
.LBB24_258:
	s_or_b64 exec, exec, s[8:9]
	buffer_load_dword v51, off, s[0:3], 0 offset:32
	buffer_load_dword v52, off, s[0:3], 0 offset:36
	v_cmp_gt_u32_e32 vcc, 4, v0
	s_waitcnt vmcnt(0)
	ds_write_b64 v54, v[51:52]
	s_waitcnt lgkmcnt(0)
	; wave barrier
	s_and_saveexec_b64 s[6:7], vcc
	s_cbranch_execz .LBB24_268
; %bb.259:
	s_and_b64 vcc, exec, s[4:5]
	s_cbranch_vccnz .LBB24_261
; %bb.260:
	buffer_load_dword v51, v55, s[0:3], 0 offen
	buffer_load_dword v52, v55, s[0:3], 0 offen offset:4
	ds_read_b64 v[56:57], v54
	s_waitcnt vmcnt(0) lgkmcnt(0)
	v_mul_f64 v[51:52], v[51:52], v[56:57]
	s_cbranch_execz .LBB24_262
	s_branch .LBB24_263
.LBB24_261:
                                        ; implicit-def: $vgpr51_vgpr52
.LBB24_262:
	ds_read_b64 v[51:52], v54
.LBB24_263:
	v_cmp_ne_u32_e32 vcc, 3, v0
	s_and_saveexec_b64 s[8:9], vcc
	s_cbranch_execz .LBB24_267
; %bb.264:
	s_mov_b32 s10, 0
	v_add_u32_e32 v56, 0xd8, v53
	v_add3_u32 v57, v53, s10, 8
	s_mov_b64 s[10:11], 0
	v_mov_b32_e32 v58, v0
.LBB24_265:                             ; =>This Inner Loop Header: Depth=1
	buffer_load_dword v59, v57, s[0:3], 0 offen
	buffer_load_dword v60, v57, s[0:3], 0 offen offset:4
	ds_read_b64 v[61:62], v56
	v_add_u32_e32 v58, 1, v58
	v_cmp_lt_u32_e32 vcc, 2, v58
	v_add_u32_e32 v56, 8, v56
	s_or_b64 s[10:11], vcc, s[10:11]
	v_add_u32_e32 v57, 8, v57
	s_waitcnt vmcnt(0) lgkmcnt(0)
	v_fma_f64 v[51:52], v[59:60], v[61:62], v[51:52]
	s_andn2_b64 exec, exec, s[10:11]
	s_cbranch_execnz .LBB24_265
; %bb.266:
	s_or_b64 exec, exec, s[10:11]
.LBB24_267:
	s_or_b64 exec, exec, s[8:9]
	v_mov_b32_e32 v56, 0
	ds_read_b64 v[56:57], v56 offset:32
	s_waitcnt lgkmcnt(0)
	v_mul_f64 v[51:52], v[51:52], v[56:57]
	buffer_store_dword v52, off, s[0:3], 0 offset:36
	buffer_store_dword v51, off, s[0:3], 0 offset:32
.LBB24_268:
	s_or_b64 exec, exec, s[6:7]
	buffer_load_dword v51, off, s[0:3], 0 offset:40
	buffer_load_dword v52, off, s[0:3], 0 offset:44
	v_cmp_gt_u32_e32 vcc, 5, v0
	s_waitcnt vmcnt(0)
	ds_write_b64 v54, v[51:52]
	s_waitcnt lgkmcnt(0)
	; wave barrier
	s_and_saveexec_b64 s[6:7], vcc
	s_cbranch_execz .LBB24_278
; %bb.269:
	s_and_b64 vcc, exec, s[4:5]
	s_cbranch_vccnz .LBB24_271
; %bb.270:
	buffer_load_dword v51, v55, s[0:3], 0 offen
	buffer_load_dword v52, v55, s[0:3], 0 offen offset:4
	ds_read_b64 v[56:57], v54
	s_waitcnt vmcnt(0) lgkmcnt(0)
	v_mul_f64 v[51:52], v[51:52], v[56:57]
	s_cbranch_execz .LBB24_272
	s_branch .LBB24_273
.LBB24_271:
                                        ; implicit-def: $vgpr51_vgpr52
.LBB24_272:
	ds_read_b64 v[51:52], v54
.LBB24_273:
	v_cmp_ne_u32_e32 vcc, 4, v0
	s_and_saveexec_b64 s[8:9], vcc
	s_cbranch_execz .LBB24_277
; %bb.274:
	s_mov_b32 s10, 0
	v_add_u32_e32 v56, 0xd8, v53
	v_add3_u32 v57, v53, s10, 8
	s_mov_b64 s[10:11], 0
	v_mov_b32_e32 v58, v0
.LBB24_275:                             ; =>This Inner Loop Header: Depth=1
	buffer_load_dword v59, v57, s[0:3], 0 offen
	buffer_load_dword v60, v57, s[0:3], 0 offen offset:4
	ds_read_b64 v[61:62], v56
	v_add_u32_e32 v58, 1, v58
	v_cmp_lt_u32_e32 vcc, 3, v58
	v_add_u32_e32 v56, 8, v56
	s_or_b64 s[10:11], vcc, s[10:11]
	v_add_u32_e32 v57, 8, v57
	s_waitcnt vmcnt(0) lgkmcnt(0)
	v_fma_f64 v[51:52], v[59:60], v[61:62], v[51:52]
	s_andn2_b64 exec, exec, s[10:11]
	s_cbranch_execnz .LBB24_275
; %bb.276:
	s_or_b64 exec, exec, s[10:11]
.LBB24_277:
	s_or_b64 exec, exec, s[8:9]
	v_mov_b32_e32 v56, 0
	ds_read_b64 v[56:57], v56 offset:40
	s_waitcnt lgkmcnt(0)
	v_mul_f64 v[51:52], v[51:52], v[56:57]
	buffer_store_dword v52, off, s[0:3], 0 offset:44
	buffer_store_dword v51, off, s[0:3], 0 offset:40
.LBB24_278:
	;; [unrolled: 59-line block ×19, first 2 shown]
	s_or_b64 exec, exec, s[6:7]
	buffer_load_dword v51, off, s[0:3], 0 offset:184
	buffer_load_dword v52, off, s[0:3], 0 offset:188
	v_cmp_gt_u32_e64 s[6:7], 23, v0
	s_waitcnt vmcnt(0)
	ds_write_b64 v54, v[51:52]
	s_waitcnt lgkmcnt(0)
	; wave barrier
	s_and_saveexec_b64 s[8:9], s[6:7]
	s_cbranch_execz .LBB24_458
; %bb.449:
	s_and_b64 vcc, exec, s[4:5]
	s_cbranch_vccnz .LBB24_451
; %bb.450:
	buffer_load_dword v51, v55, s[0:3], 0 offen
	buffer_load_dword v52, v55, s[0:3], 0 offen offset:4
	ds_read_b64 v[56:57], v54
	s_waitcnt vmcnt(0) lgkmcnt(0)
	v_mul_f64 v[51:52], v[51:52], v[56:57]
	s_cbranch_execz .LBB24_452
	s_branch .LBB24_453
.LBB24_451:
                                        ; implicit-def: $vgpr51_vgpr52
.LBB24_452:
	ds_read_b64 v[51:52], v54
.LBB24_453:
	v_cmp_ne_u32_e32 vcc, 22, v0
	s_and_saveexec_b64 s[10:11], vcc
	s_cbranch_execz .LBB24_457
; %bb.454:
	s_mov_b32 s12, 0
	v_add_u32_e32 v56, 0xd8, v53
	v_add3_u32 v57, v53, s12, 8
	s_mov_b64 s[12:13], 0
	v_mov_b32_e32 v58, v0
.LBB24_455:                             ; =>This Inner Loop Header: Depth=1
	buffer_load_dword v59, v57, s[0:3], 0 offen
	buffer_load_dword v60, v57, s[0:3], 0 offen offset:4
	ds_read_b64 v[61:62], v56
	v_add_u32_e32 v58, 1, v58
	v_cmp_lt_u32_e32 vcc, 21, v58
	v_add_u32_e32 v56, 8, v56
	s_or_b64 s[12:13], vcc, s[12:13]
	v_add_u32_e32 v57, 8, v57
	s_waitcnt vmcnt(0) lgkmcnt(0)
	v_fma_f64 v[51:52], v[59:60], v[61:62], v[51:52]
	s_andn2_b64 exec, exec, s[12:13]
	s_cbranch_execnz .LBB24_455
; %bb.456:
	s_or_b64 exec, exec, s[12:13]
.LBB24_457:
	s_or_b64 exec, exec, s[10:11]
	v_mov_b32_e32 v56, 0
	ds_read_b64 v[56:57], v56 offset:184
	s_waitcnt lgkmcnt(0)
	v_mul_f64 v[51:52], v[51:52], v[56:57]
	buffer_store_dword v52, off, s[0:3], 0 offset:188
	buffer_store_dword v51, off, s[0:3], 0 offset:184
.LBB24_458:
	s_or_b64 exec, exec, s[8:9]
	buffer_load_dword v51, off, s[0:3], 0 offset:192
	buffer_load_dword v52, off, s[0:3], 0 offset:196
	v_cmp_ne_u32_e32 vcc, 24, v0
	s_waitcnt vmcnt(0)
	ds_write_b64 v54, v[51:52]
	s_waitcnt lgkmcnt(0)
	; wave barrier
	s_and_saveexec_b64 s[8:9], vcc
	s_cbranch_execz .LBB24_468
; %bb.459:
	s_and_b64 vcc, exec, s[4:5]
	s_cbranch_vccnz .LBB24_461
; %bb.460:
	buffer_load_dword v51, v55, s[0:3], 0 offen
	buffer_load_dword v52, v55, s[0:3], 0 offen offset:4
	ds_read_b64 v[55:56], v54
	s_waitcnt vmcnt(0) lgkmcnt(0)
	v_mul_f64 v[51:52], v[51:52], v[55:56]
	s_cbranch_execz .LBB24_462
	s_branch .LBB24_463
.LBB24_461:
                                        ; implicit-def: $vgpr51_vgpr52
.LBB24_462:
	ds_read_b64 v[51:52], v54
.LBB24_463:
	s_and_saveexec_b64 s[4:5], s[6:7]
	s_cbranch_execz .LBB24_467
; %bb.464:
	s_mov_b32 s6, 0
	v_add_u32_e32 v54, 0xd8, v53
	v_add3_u32 v53, v53, s6, 8
	s_mov_b64 s[6:7], 0
.LBB24_465:                             ; =>This Inner Loop Header: Depth=1
	buffer_load_dword v55, v53, s[0:3], 0 offen
	buffer_load_dword v56, v53, s[0:3], 0 offen offset:4
	ds_read_b64 v[57:58], v54
	v_add_u32_e32 v0, 1, v0
	v_cmp_lt_u32_e32 vcc, 22, v0
	v_add_u32_e32 v54, 8, v54
	s_or_b64 s[6:7], vcc, s[6:7]
	v_add_u32_e32 v53, 8, v53
	s_waitcnt vmcnt(0) lgkmcnt(0)
	v_fma_f64 v[51:52], v[55:56], v[57:58], v[51:52]
	s_andn2_b64 exec, exec, s[6:7]
	s_cbranch_execnz .LBB24_465
; %bb.466:
	s_or_b64 exec, exec, s[6:7]
.LBB24_467:
	s_or_b64 exec, exec, s[4:5]
	v_mov_b32_e32 v0, 0
	ds_read_b64 v[53:54], v0 offset:192
	s_waitcnt lgkmcnt(0)
	v_mul_f64 v[51:52], v[51:52], v[53:54]
	buffer_store_dword v52, off, s[0:3], 0 offset:196
	buffer_store_dword v51, off, s[0:3], 0 offset:192
.LBB24_468:
	s_or_b64 exec, exec, s[8:9]
.LBB24_469:
	buffer_load_dword v51, off, s[0:3], 0
	buffer_load_dword v52, off, s[0:3], 0 offset:4
	buffer_load_dword v53, off, s[0:3], 0 offset:8
	;; [unrolled: 1-line block ×23, first 2 shown]
	s_waitcnt vmcnt(22)
	global_store_dwordx2 v[49:50], v[51:52], off
	buffer_load_dword v49, off, s[0:3], 0 offset:96
	s_nop 0
	buffer_load_dword v50, off, s[0:3], 0 offset:100
	buffer_load_dword v51, off, s[0:3], 0 offset:104
	;; [unrolled: 1-line block ×7, first 2 shown]
	s_waitcnt vmcnt(29)
	global_store_dwordx2 v[43:44], v[53:54], off
	s_waitcnt vmcnt(28)
	global_store_dwordx2 v[5:6], v[55:56], off
	buffer_load_dword v5, off, s[0:3], 0 offset:128
	s_nop 0
	buffer_load_dword v6, off, s[0:3], 0 offset:132
	buffer_load_dword v43, off, s[0:3], 0 offset:136
	;; [unrolled: 1-line block ×7, first 2 shown]
	s_waitcnt vmcnt(35)
	global_store_dwordx2 v[1:2], v[57:58], off
	s_waitcnt vmcnt(34)
	global_store_dwordx2 v[7:8], v[59:60], off
	buffer_load_dword v0, off, s[0:3], 0 offset:160
	buffer_load_dword v1, off, s[0:3], 0 offset:164
	s_nop 0
	buffer_load_dword v7, off, s[0:3], 0 offset:168
	buffer_load_dword v8, off, s[0:3], 0 offset:172
	;; [unrolled: 1-line block ×8, first 2 shown]
	s_waitcnt vmcnt(43)
	global_store_dwordx2 v[3:4], v[61:62], off
	s_waitcnt vmcnt(42)
	global_store_dwordx2 v[9:10], v[63:64], off
	;; [unrolled: 2-line block ×4, first 2 shown]
	global_store_dwordx2 v[15:16], v[69:70], off
	global_store_dwordx2 v[17:18], v[71:72], off
	;; [unrolled: 1-line block ×3, first 2 shown]
	s_waitcnt vmcnt(35)
	global_store_dwordx2 v[21:22], v[49:50], off
	s_waitcnt vmcnt(34)
	global_store_dwordx2 v[23:24], v[51:52], off
	;; [unrolled: 2-line block ×13, first 2 shown]
.LBB24_470:
	s_endpgm
	.section	.rodata,"a",@progbits
	.p2align	6, 0x0
	.amdhsa_kernel _ZN9rocsolver6v33100L18trti2_kernel_smallILi25EdPdEEv13rocblas_fill_17rocblas_diagonal_T1_iil
		.amdhsa_group_segment_fixed_size 408
		.amdhsa_private_segment_fixed_size 208
		.amdhsa_kernarg_size 32
		.amdhsa_user_sgpr_count 6
		.amdhsa_user_sgpr_private_segment_buffer 1
		.amdhsa_user_sgpr_dispatch_ptr 0
		.amdhsa_user_sgpr_queue_ptr 0
		.amdhsa_user_sgpr_kernarg_segment_ptr 1
		.amdhsa_user_sgpr_dispatch_id 0
		.amdhsa_user_sgpr_flat_scratch_init 0
		.amdhsa_user_sgpr_private_segment_size 0
		.amdhsa_uses_dynamic_stack 0
		.amdhsa_system_sgpr_private_segment_wavefront_offset 1
		.amdhsa_system_sgpr_workgroup_id_x 1
		.amdhsa_system_sgpr_workgroup_id_y 0
		.amdhsa_system_sgpr_workgroup_id_z 0
		.amdhsa_system_sgpr_workgroup_info 0
		.amdhsa_system_vgpr_workitem_id 0
		.amdhsa_next_free_vgpr 81
		.amdhsa_next_free_sgpr 38
		.amdhsa_reserve_vcc 1
		.amdhsa_reserve_flat_scratch 0
		.amdhsa_float_round_mode_32 0
		.amdhsa_float_round_mode_16_64 0
		.amdhsa_float_denorm_mode_32 3
		.amdhsa_float_denorm_mode_16_64 3
		.amdhsa_dx10_clamp 1
		.amdhsa_ieee_mode 1
		.amdhsa_fp16_overflow 0
		.amdhsa_exception_fp_ieee_invalid_op 0
		.amdhsa_exception_fp_denorm_src 0
		.amdhsa_exception_fp_ieee_div_zero 0
		.amdhsa_exception_fp_ieee_overflow 0
		.amdhsa_exception_fp_ieee_underflow 0
		.amdhsa_exception_fp_ieee_inexact 0
		.amdhsa_exception_int_div_zero 0
	.end_amdhsa_kernel
	.section	.text._ZN9rocsolver6v33100L18trti2_kernel_smallILi25EdPdEEv13rocblas_fill_17rocblas_diagonal_T1_iil,"axG",@progbits,_ZN9rocsolver6v33100L18trti2_kernel_smallILi25EdPdEEv13rocblas_fill_17rocblas_diagonal_T1_iil,comdat
.Lfunc_end24:
	.size	_ZN9rocsolver6v33100L18trti2_kernel_smallILi25EdPdEEv13rocblas_fill_17rocblas_diagonal_T1_iil, .Lfunc_end24-_ZN9rocsolver6v33100L18trti2_kernel_smallILi25EdPdEEv13rocblas_fill_17rocblas_diagonal_T1_iil
                                        ; -- End function
	.set _ZN9rocsolver6v33100L18trti2_kernel_smallILi25EdPdEEv13rocblas_fill_17rocblas_diagonal_T1_iil.num_vgpr, 81
	.set _ZN9rocsolver6v33100L18trti2_kernel_smallILi25EdPdEEv13rocblas_fill_17rocblas_diagonal_T1_iil.num_agpr, 0
	.set _ZN9rocsolver6v33100L18trti2_kernel_smallILi25EdPdEEv13rocblas_fill_17rocblas_diagonal_T1_iil.numbered_sgpr, 38
	.set _ZN9rocsolver6v33100L18trti2_kernel_smallILi25EdPdEEv13rocblas_fill_17rocblas_diagonal_T1_iil.num_named_barrier, 0
	.set _ZN9rocsolver6v33100L18trti2_kernel_smallILi25EdPdEEv13rocblas_fill_17rocblas_diagonal_T1_iil.private_seg_size, 208
	.set _ZN9rocsolver6v33100L18trti2_kernel_smallILi25EdPdEEv13rocblas_fill_17rocblas_diagonal_T1_iil.uses_vcc, 1
	.set _ZN9rocsolver6v33100L18trti2_kernel_smallILi25EdPdEEv13rocblas_fill_17rocblas_diagonal_T1_iil.uses_flat_scratch, 0
	.set _ZN9rocsolver6v33100L18trti2_kernel_smallILi25EdPdEEv13rocblas_fill_17rocblas_diagonal_T1_iil.has_dyn_sized_stack, 0
	.set _ZN9rocsolver6v33100L18trti2_kernel_smallILi25EdPdEEv13rocblas_fill_17rocblas_diagonal_T1_iil.has_recursion, 0
	.set _ZN9rocsolver6v33100L18trti2_kernel_smallILi25EdPdEEv13rocblas_fill_17rocblas_diagonal_T1_iil.has_indirect_call, 0
	.section	.AMDGPU.csdata,"",@progbits
; Kernel info:
; codeLenInByte = 14424
; TotalNumSgprs: 42
; NumVgprs: 81
; ScratchSize: 208
; MemoryBound: 0
; FloatMode: 240
; IeeeMode: 1
; LDSByteSize: 408 bytes/workgroup (compile time only)
; SGPRBlocks: 5
; VGPRBlocks: 20
; NumSGPRsForWavesPerEU: 42
; NumVGPRsForWavesPerEU: 81
; Occupancy: 3
; WaveLimiterHint : 0
; COMPUTE_PGM_RSRC2:SCRATCH_EN: 1
; COMPUTE_PGM_RSRC2:USER_SGPR: 6
; COMPUTE_PGM_RSRC2:TRAP_HANDLER: 0
; COMPUTE_PGM_RSRC2:TGID_X_EN: 1
; COMPUTE_PGM_RSRC2:TGID_Y_EN: 0
; COMPUTE_PGM_RSRC2:TGID_Z_EN: 0
; COMPUTE_PGM_RSRC2:TIDIG_COMP_CNT: 0
	.section	.text._ZN9rocsolver6v33100L18trti2_kernel_smallILi26EdPdEEv13rocblas_fill_17rocblas_diagonal_T1_iil,"axG",@progbits,_ZN9rocsolver6v33100L18trti2_kernel_smallILi26EdPdEEv13rocblas_fill_17rocblas_diagonal_T1_iil,comdat
	.globl	_ZN9rocsolver6v33100L18trti2_kernel_smallILi26EdPdEEv13rocblas_fill_17rocblas_diagonal_T1_iil ; -- Begin function _ZN9rocsolver6v33100L18trti2_kernel_smallILi26EdPdEEv13rocblas_fill_17rocblas_diagonal_T1_iil
	.p2align	8
	.type	_ZN9rocsolver6v33100L18trti2_kernel_smallILi26EdPdEEv13rocblas_fill_17rocblas_diagonal_T1_iil,@function
_ZN9rocsolver6v33100L18trti2_kernel_smallILi26EdPdEEv13rocblas_fill_17rocblas_diagonal_T1_iil: ; @_ZN9rocsolver6v33100L18trti2_kernel_smallILi26EdPdEEv13rocblas_fill_17rocblas_diagonal_T1_iil
; %bb.0:
	s_add_u32 s0, s0, s7
	s_addc_u32 s1, s1, 0
	v_cmp_gt_u32_e32 vcc, 26, v0
	s_and_saveexec_b64 s[8:9], vcc
	s_cbranch_execz .LBB25_490
; %bb.1:
	s_load_dwordx8 s[8:15], s[4:5], 0x0
	s_ashr_i32 s7, s6, 31
	v_lshlrev_b32_e32 v55, 3, v0
	s_waitcnt lgkmcnt(0)
	s_ashr_i32 s5, s12, 31
	s_mov_b32 s4, s12
	s_mul_hi_u32 s12, s14, s6
	s_mul_i32 s7, s14, s7
	s_add_i32 s7, s12, s7
	s_mul_i32 s12, s15, s6
	s_add_i32 s7, s7, s12
	s_mul_i32 s6, s14, s6
	s_lshl_b64 s[6:7], s[6:7], 3
	s_add_u32 s6, s10, s6
	s_addc_u32 s7, s11, s7
	s_lshl_b64 s[4:5], s[4:5], 3
	s_add_u32 s4, s6, s4
	s_addc_u32 s5, s7, s5
	s_add_i32 s6, s13, s13
	v_add_u32_e32 v1, s6, v0
	v_ashrrev_i32_e32 v2, 31, v1
	v_lshlrev_b64 v[2:3], 3, v[1:2]
	v_mov_b32_e32 v4, s5
	v_add_co_u32_e32 v5, vcc, s4, v2
	v_addc_co_u32_e32 v6, vcc, v4, v3, vcc
	v_add_u32_e32 v3, s13, v1
	v_ashrrev_i32_e32 v4, 31, v3
	v_lshlrev_b64 v[1:2], 3, v[3:4]
	v_mov_b32_e32 v4, s5
	v_add_co_u32_e32 v1, vcc, s4, v1
	v_add_u32_e32 v3, s13, v3
	v_addc_co_u32_e32 v2, vcc, v4, v2, vcc
	v_ashrrev_i32_e32 v4, 31, v3
	v_lshlrev_b64 v[7:8], 3, v[3:4]
	v_mov_b32_e32 v4, s5
	v_add_co_u32_e32 v9, vcc, s4, v7
	v_add_u32_e32 v7, s13, v3
	v_addc_co_u32_e32 v10, vcc, v4, v8, vcc
	v_ashrrev_i32_e32 v8, 31, v7
	v_lshlrev_b64 v[3:4], 3, v[7:8]
	v_add_u32_e32 v11, s13, v7
	v_mov_b32_e32 v8, s5
	v_add_co_u32_e32 v3, vcc, s4, v3
	v_ashrrev_i32_e32 v12, 31, v11
	v_addc_co_u32_e32 v4, vcc, v8, v4, vcc
	v_lshlrev_b64 v[7:8], 3, v[11:12]
	v_add_u32_e32 v13, s13, v11
	v_mov_b32_e32 v12, s5
	v_add_co_u32_e32 v7, vcc, s4, v7
	v_ashrrev_i32_e32 v14, 31, v13
	v_addc_co_u32_e32 v8, vcc, v12, v8, vcc
	;; [unrolled: 6-line block ×5, first 2 shown]
	v_lshlrev_b64 v[17:18], 3, v[19:20]
	v_mov_b32_e32 v21, s5
	v_add_co_u32_e32 v17, vcc, s4, v17
	v_addc_co_u32_e32 v18, vcc, v21, v18, vcc
	v_add_u32_e32 v21, s13, v19
	v_ashrrev_i32_e32 v22, 31, v21
	v_lshlrev_b64 v[19:20], 3, v[21:22]
	v_mov_b32_e32 v23, s5
	v_add_co_u32_e32 v19, vcc, s4, v19
	v_addc_co_u32_e32 v20, vcc, v23, v20, vcc
	v_add_u32_e32 v23, s13, v21
	v_ashrrev_i32_e32 v24, 31, v23
	v_lshlrev_b64 v[21:22], 3, v[23:24]
	global_load_dwordx2 v[53:54], v55, s[4:5]
	v_mov_b32_e32 v25, s5
	v_add_co_u32_e32 v21, vcc, s4, v21
	v_addc_co_u32_e32 v22, vcc, v25, v22, vcc
	v_add_u32_e32 v25, s13, v23
	v_ashrrev_i32_e32 v26, 31, v25
	v_lshlrev_b64 v[23:24], 3, v[25:26]
	v_mov_b32_e32 v27, s5
	v_add_co_u32_e32 v23, vcc, s4, v23
	v_addc_co_u32_e32 v24, vcc, v27, v24, vcc
	v_add_u32_e32 v27, s13, v25
	v_ashrrev_i32_e32 v28, 31, v27
	v_lshlrev_b64 v[25:26], 3, v[27:28]
	;; [unrolled: 6-line block ×11, first 2 shown]
	v_mov_b32_e32 v46, s5
	v_add_co_u32_e32 v51, vcc, s4, v55
	s_ashr_i32 s7, s13, 31
	s_mov_b32 s6, s13
	v_addc_co_u32_e32 v52, vcc, 0, v46, vcc
	s_lshl_b64 s[6:7], s[6:7], 3
	v_mov_b32_e32 v46, s7
	v_add_co_u32_e32 v49, vcc, s6, v51
	v_addc_co_u32_e32 v50, vcc, v52, v46, vcc
	global_load_dwordx2 v[56:57], v[49:50], off
	global_load_dwordx2 v[58:59], v[5:6], off
	;; [unrolled: 1-line block ×8, first 2 shown]
	v_mov_b32_e32 v47, s5
	v_add_co_u32_e32 v43, vcc, s4, v43
	v_addc_co_u32_e32 v44, vcc, v47, v44, vcc
	v_add_u32_e32 v47, s13, v45
	v_ashrrev_i32_e32 v48, 31, v47
	v_lshlrev_b64 v[45:46], 3, v[47:48]
	v_mov_b32_e32 v72, s5
	v_add_co_u32_e32 v45, vcc, s4, v45
	v_addc_co_u32_e32 v46, vcc, v72, v46, vcc
	v_add_u32_e32 v47, s13, v47
	global_load_dwordx2 v[72:73], v[15:16], off
	global_load_dwordx2 v[74:75], v[17:18], off
	v_ashrrev_i32_e32 v48, 31, v47
	v_lshlrev_b64 v[47:48], 3, v[47:48]
	v_mov_b32_e32 v76, s5
	v_add_co_u32_e32 v47, vcc, s4, v47
	v_addc_co_u32_e32 v48, vcc, v76, v48, vcc
	global_load_dwordx2 v[76:77], v[19:20], off
	global_load_dwordx2 v[78:79], v[47:48], off
	s_waitcnt vmcnt(12)
	buffer_store_dword v54, off, s[0:3], 0 offset:4
	buffer_store_dword v53, off, s[0:3], 0
	global_load_dwordx2 v[53:54], v[21:22], off
	s_waitcnt vmcnt(14)
	buffer_store_dword v57, off, s[0:3], 0 offset:12
	buffer_store_dword v56, off, s[0:3], 0 offset:8
	s_waitcnt vmcnt(15)
	buffer_store_dword v59, off, s[0:3], 0 offset:20
	buffer_store_dword v58, off, s[0:3], 0 offset:16
	;; [unrolled: 3-line block ×6, first 2 shown]
	s_waitcnt vmcnt(20)
	buffer_store_dword v69, off, s[0:3], 0 offset:60
	global_load_dwordx2 v[56:57], v[23:24], off
	global_load_dwordx2 v[58:59], v[25:26], off
	;; [unrolled: 1-line block ×6, first 2 shown]
	s_cmpk_lg_i32 s9, 0x84
	buffer_store_dword v68, off, s[0:3], 0 offset:56
	global_load_dwordx2 v[68:69], v[35:36], off
	s_cselect_b64 s[10:11], -1, 0
	s_waitcnt vmcnt(28)
	buffer_store_dword v71, off, s[0:3], 0 offset:68
	buffer_store_dword v70, off, s[0:3], 0 offset:64
	global_load_dwordx2 v[70:71], v[37:38], off
	s_cmpk_eq_i32 s9, 0x84
	s_waitcnt vmcnt(30)
	buffer_store_dword v72, off, s[0:3], 0 offset:72
	buffer_store_dword v73, off, s[0:3], 0 offset:76
	global_load_dwordx2 v[72:73], v[39:40], off
	s_waitcnt vmcnt(32)
	buffer_store_dword v74, off, s[0:3], 0 offset:80
	buffer_store_dword v75, off, s[0:3], 0 offset:84
	global_load_dwordx2 v[74:75], v[41:42], off
	;; [unrolled: 4-line block ×4, first 2 shown]
	s_waitcnt vmcnt(22)
	buffer_store_dword v56, off, s[0:3], 0 offset:104
	buffer_store_dword v57, off, s[0:3], 0 offset:108
	s_waitcnt vmcnt(23)
	buffer_store_dword v59, off, s[0:3], 0 offset:116
	buffer_store_dword v58, off, s[0:3], 0 offset:112
	;; [unrolled: 3-line block ×12, first 2 shown]
	buffer_store_dword v79, off, s[0:3], 0 offset:204
	v_mov_b32_e32 v53, 0
	v_mov_b32_e32 v54, 0xbff00000
	buffer_store_dword v78, off, s[0:3], 0 offset:200
	s_cbranch_scc1 .LBB25_3
; %bb.2:
	v_mov_b32_e32 v53, 0
	v_lshl_add_u32 v64, v0, 3, v53
	buffer_load_dword v53, v64, s[0:3], 0 offen
	buffer_load_dword v54, v64, s[0:3], 0 offen offset:4
	s_waitcnt vmcnt(0)
	v_div_scale_f64 v[56:57], s[4:5], v[53:54], v[53:54], 1.0
	v_rcp_f64_e32 v[58:59], v[56:57]
	v_fma_f64 v[60:61], -v[56:57], v[58:59], 1.0
	v_fma_f64 v[58:59], v[58:59], v[60:61], v[58:59]
	v_div_scale_f64 v[60:61], vcc, 1.0, v[53:54], 1.0
	v_fma_f64 v[62:63], -v[56:57], v[58:59], 1.0
	v_fma_f64 v[58:59], v[58:59], v[62:63], v[58:59]
	v_mul_f64 v[62:63], v[60:61], v[58:59]
	v_fma_f64 v[56:57], -v[56:57], v[62:63], v[60:61]
	v_div_fmas_f64 v[56:57], v[56:57], v[58:59], v[62:63]
	v_div_fixup_f64 v[53:54], v[56:57], v[53:54], 1.0
	buffer_store_dword v53, v64, s[0:3], 0 offen
	buffer_store_dword v54, v64, s[0:3], 0 offen offset:4
	v_xor_b32_e32 v54, 0x80000000, v54
.LBB25_3:
	s_cmpk_eq_i32 s8, 0x79
	v_add_u32_e32 v56, 0xd0, v55
	v_mov_b32_e32 v57, v55
	s_mov_b64 s[4:5], -1
	ds_write_b64 v55, v[53:54]
	s_cbranch_scc1 .LBB25_247
; %bb.4:
	buffer_load_dword v53, off, s[0:3], 0 offset:192
	buffer_load_dword v54, off, s[0:3], 0 offset:196
	s_movk_i32 s12, 0x48
	s_movk_i32 s13, 0x50
	;; [unrolled: 1-line block ×15, first 2 shown]
	v_cmp_eq_u32_e64 s[4:5], 25, v0
	s_waitcnt vmcnt(0)
	ds_write_b64 v56, v[53:54]
	s_waitcnt lgkmcnt(0)
	; wave barrier
	s_and_saveexec_b64 s[6:7], s[4:5]
	s_cbranch_execz .LBB25_10
; %bb.5:
	s_and_b64 vcc, exec, s[10:11]
	s_cbranch_vccz .LBB25_7
; %bb.6:
	buffer_load_dword v53, v57, s[0:3], 0 offen
	buffer_load_dword v54, v57, s[0:3], 0 offen offset:4
	ds_read_b64 v[58:59], v56
	s_waitcnt vmcnt(0) lgkmcnt(0)
	v_mul_f64 v[53:54], v[53:54], v[58:59]
	s_cbranch_execz .LBB25_8
	s_branch .LBB25_9
.LBB25_7:
                                        ; implicit-def: $vgpr53_vgpr54
.LBB25_8:
	ds_read_b64 v[53:54], v56
.LBB25_9:
	v_mov_b32_e32 v58, 0
	ds_read_b64 v[58:59], v58 offset:192
	s_waitcnt lgkmcnt(0)
	v_mul_f64 v[53:54], v[53:54], v[58:59]
	buffer_store_dword v54, off, s[0:3], 0 offset:196
	buffer_store_dword v53, off, s[0:3], 0 offset:192
.LBB25_10:
	s_or_b64 exec, exec, s[6:7]
	buffer_load_dword v53, off, s[0:3], 0 offset:184
	buffer_load_dword v54, off, s[0:3], 0 offset:188
	s_or_b32 s14, 0, 8
	s_mov_b32 s15, 16
	s_mov_b32 s16, 24
	;; [unrolled: 1-line block ×9, first 2 shown]
	v_cmp_lt_u32_e64 s[6:7], 23, v0
	s_waitcnt vmcnt(0)
	ds_write_b64 v56, v[53:54]
	s_waitcnt lgkmcnt(0)
	; wave barrier
	s_and_saveexec_b64 s[8:9], s[6:7]
	s_cbranch_execz .LBB25_16
; %bb.11:
	s_andn2_b64 vcc, exec, s[10:11]
	s_cbranch_vccnz .LBB25_13
; %bb.12:
	buffer_load_dword v53, v57, s[0:3], 0 offen
	buffer_load_dword v54, v57, s[0:3], 0 offen offset:4
	ds_read_b64 v[58:59], v56
	s_waitcnt vmcnt(0) lgkmcnt(0)
	v_mul_f64 v[53:54], v[53:54], v[58:59]
	s_cbranch_execz .LBB25_14
	s_branch .LBB25_15
.LBB25_13:
                                        ; implicit-def: $vgpr53_vgpr54
.LBB25_14:
	ds_read_b64 v[53:54], v56
.LBB25_15:
	buffer_load_dword v62, off, s[0:3], 0 offset:192
	buffer_load_dword v63, off, s[0:3], 0 offset:196
	v_mov_b32_e32 v58, 0
	ds_read2_b64 v[58:61], v58 offset0:23 offset1:50
	s_waitcnt vmcnt(0) lgkmcnt(0)
	v_fma_f64 v[60:61], v[62:63], v[60:61], v[53:54]
	v_cndmask_b32_e64 v54, v54, v61, s[4:5]
	v_cndmask_b32_e64 v53, v53, v60, s[4:5]
	v_mul_f64 v[53:54], v[53:54], v[58:59]
	buffer_store_dword v54, off, s[0:3], 0 offset:188
	buffer_store_dword v53, off, s[0:3], 0 offset:184
.LBB25_16:
	s_or_b64 exec, exec, s[8:9]
	buffer_load_dword v53, off, s[0:3], 0 offset:176
	buffer_load_dword v54, off, s[0:3], 0 offset:180
	v_cmp_lt_u32_e64 s[4:5], 22, v0
	s_waitcnt vmcnt(0)
	ds_write_b64 v56, v[53:54]
	s_waitcnt lgkmcnt(0)
	; wave barrier
	s_and_saveexec_b64 s[8:9], s[4:5]
	s_cbranch_execz .LBB25_26
; %bb.17:
	s_andn2_b64 vcc, exec, s[10:11]
	s_cbranch_vccnz .LBB25_19
; %bb.18:
	buffer_load_dword v53, v57, s[0:3], 0 offen
	buffer_load_dword v54, v57, s[0:3], 0 offen offset:4
	ds_read_b64 v[58:59], v56
	s_waitcnt vmcnt(0) lgkmcnt(0)
	v_mul_f64 v[53:54], v[53:54], v[58:59]
	s_cbranch_execz .LBB25_20
	s_branch .LBB25_21
.LBB25_19:
                                        ; implicit-def: $vgpr53_vgpr54
.LBB25_20:
	ds_read_b64 v[53:54], v56
.LBB25_21:
	s_and_saveexec_b64 s[12:13], s[6:7]
	s_cbranch_execz .LBB25_25
; %bb.22:
	v_subrev_u32_e32 v58, 23, v0
	s_movk_i32 s38, 0x188
	s_mov_b64 s[6:7], 0
.LBB25_23:                              ; =>This Inner Loop Header: Depth=1
	v_mov_b32_e32 v61, s37
	buffer_load_dword v59, v61, s[0:3], 0 offen
	buffer_load_dword v60, v61, s[0:3], 0 offen offset:4
	v_mov_b32_e32 v61, s38
	ds_read_b64 v[61:62], v61
	v_add_u32_e32 v58, -1, v58
	s_add_i32 s38, s38, 8
	s_add_i32 s37, s37, 8
	v_cmp_eq_u32_e32 vcc, 0, v58
	s_or_b64 s[6:7], vcc, s[6:7]
	s_waitcnt vmcnt(0) lgkmcnt(0)
	v_fma_f64 v[53:54], v[59:60], v[61:62], v[53:54]
	s_andn2_b64 exec, exec, s[6:7]
	s_cbranch_execnz .LBB25_23
; %bb.24:
	s_or_b64 exec, exec, s[6:7]
.LBB25_25:
	s_or_b64 exec, exec, s[12:13]
	v_mov_b32_e32 v58, 0
	ds_read_b64 v[58:59], v58 offset:176
	s_waitcnt lgkmcnt(0)
	v_mul_f64 v[53:54], v[53:54], v[58:59]
	buffer_store_dword v54, off, s[0:3], 0 offset:180
	buffer_store_dword v53, off, s[0:3], 0 offset:176
.LBB25_26:
	s_or_b64 exec, exec, s[8:9]
	buffer_load_dword v53, off, s[0:3], 0 offset:168
	buffer_load_dword v54, off, s[0:3], 0 offset:172
	v_cmp_lt_u32_e64 s[6:7], 21, v0
	s_waitcnt vmcnt(0)
	ds_write_b64 v56, v[53:54]
	s_waitcnt lgkmcnt(0)
	; wave barrier
	s_and_saveexec_b64 s[8:9], s[6:7]
	s_cbranch_execz .LBB25_36
; %bb.27:
	s_andn2_b64 vcc, exec, s[10:11]
	s_cbranch_vccnz .LBB25_29
; %bb.28:
	buffer_load_dword v53, v57, s[0:3], 0 offen
	buffer_load_dword v54, v57, s[0:3], 0 offen offset:4
	ds_read_b64 v[58:59], v56
	s_waitcnt vmcnt(0) lgkmcnt(0)
	v_mul_f64 v[53:54], v[53:54], v[58:59]
	s_cbranch_execz .LBB25_30
	s_branch .LBB25_31
.LBB25_29:
                                        ; implicit-def: $vgpr53_vgpr54
.LBB25_30:
	ds_read_b64 v[53:54], v56
.LBB25_31:
	s_and_saveexec_b64 s[12:13], s[4:5]
	s_cbranch_execz .LBB25_35
; %bb.32:
	v_subrev_u32_e32 v58, 22, v0
	s_movk_i32 s37, 0x180
	s_mov_b64 s[4:5], 0
.LBB25_33:                              ; =>This Inner Loop Header: Depth=1
	v_mov_b32_e32 v61, s36
	buffer_load_dword v59, v61, s[0:3], 0 offen
	buffer_load_dword v60, v61, s[0:3], 0 offen offset:4
	v_mov_b32_e32 v61, s37
	ds_read_b64 v[61:62], v61
	v_add_u32_e32 v58, -1, v58
	s_add_i32 s37, s37, 8
	s_add_i32 s36, s36, 8
	v_cmp_eq_u32_e32 vcc, 0, v58
	s_or_b64 s[4:5], vcc, s[4:5]
	s_waitcnt vmcnt(0) lgkmcnt(0)
	v_fma_f64 v[53:54], v[59:60], v[61:62], v[53:54]
	s_andn2_b64 exec, exec, s[4:5]
	s_cbranch_execnz .LBB25_33
; %bb.34:
	s_or_b64 exec, exec, s[4:5]
.LBB25_35:
	s_or_b64 exec, exec, s[12:13]
	v_mov_b32_e32 v58, 0
	ds_read_b64 v[58:59], v58 offset:168
	s_waitcnt lgkmcnt(0)
	v_mul_f64 v[53:54], v[53:54], v[58:59]
	buffer_store_dword v54, off, s[0:3], 0 offset:172
	buffer_store_dword v53, off, s[0:3], 0 offset:168
.LBB25_36:
	;; [unrolled: 58-line block ×7, first 2 shown]
	s_or_b64 exec, exec, s[8:9]
	buffer_load_dword v53, off, s[0:3], 0 offset:120
	buffer_load_dword v54, off, s[0:3], 0 offset:124
	v_cmp_lt_u32_e64 s[6:7], 15, v0
	s_waitcnt vmcnt(0)
	ds_write_b64 v56, v[53:54]
	s_waitcnt lgkmcnt(0)
	; wave barrier
	s_and_saveexec_b64 s[8:9], s[6:7]
	s_cbranch_execz .LBB25_96
; %bb.87:
	s_andn2_b64 vcc, exec, s[10:11]
	s_cbranch_vccnz .LBB25_89
; %bb.88:
	buffer_load_dword v53, v57, s[0:3], 0 offen
	buffer_load_dword v54, v57, s[0:3], 0 offen offset:4
	ds_read_b64 v[58:59], v56
	s_waitcnt vmcnt(0) lgkmcnt(0)
	v_mul_f64 v[53:54], v[53:54], v[58:59]
	s_cbranch_execz .LBB25_90
	s_branch .LBB25_91
.LBB25_89:
                                        ; implicit-def: $vgpr53_vgpr54
.LBB25_90:
	ds_read_b64 v[53:54], v56
.LBB25_91:
	s_and_saveexec_b64 s[12:13], s[4:5]
	s_cbranch_execz .LBB25_95
; %bb.92:
	v_add_u32_e32 v58, -16, v0
	s_movk_i32 s30, 0x150
	s_mov_b64 s[4:5], 0
.LBB25_93:                              ; =>This Inner Loop Header: Depth=1
	v_mov_b32_e32 v61, s29
	buffer_load_dword v59, v61, s[0:3], 0 offen
	buffer_load_dword v60, v61, s[0:3], 0 offen offset:4
	v_mov_b32_e32 v61, s30
	ds_read_b64 v[61:62], v61
	v_add_u32_e32 v58, -1, v58
	s_add_i32 s30, s30, 8
	s_add_i32 s29, s29, 8
	v_cmp_eq_u32_e32 vcc, 0, v58
	s_or_b64 s[4:5], vcc, s[4:5]
	s_waitcnt vmcnt(0) lgkmcnt(0)
	v_fma_f64 v[53:54], v[59:60], v[61:62], v[53:54]
	s_andn2_b64 exec, exec, s[4:5]
	s_cbranch_execnz .LBB25_93
; %bb.94:
	s_or_b64 exec, exec, s[4:5]
.LBB25_95:
	s_or_b64 exec, exec, s[12:13]
	v_mov_b32_e32 v58, 0
	ds_read_b64 v[58:59], v58 offset:120
	s_waitcnt lgkmcnt(0)
	v_mul_f64 v[53:54], v[53:54], v[58:59]
	buffer_store_dword v54, off, s[0:3], 0 offset:124
	buffer_store_dword v53, off, s[0:3], 0 offset:120
.LBB25_96:
	s_or_b64 exec, exec, s[8:9]
	buffer_load_dword v53, off, s[0:3], 0 offset:112
	buffer_load_dword v54, off, s[0:3], 0 offset:116
	v_cmp_lt_u32_e64 s[4:5], 14, v0
	s_waitcnt vmcnt(0)
	ds_write_b64 v56, v[53:54]
	s_waitcnt lgkmcnt(0)
	; wave barrier
	s_and_saveexec_b64 s[8:9], s[4:5]
	s_cbranch_execz .LBB25_106
; %bb.97:
	s_andn2_b64 vcc, exec, s[10:11]
	s_cbranch_vccnz .LBB25_99
; %bb.98:
	buffer_load_dword v53, v57, s[0:3], 0 offen
	buffer_load_dword v54, v57, s[0:3], 0 offen offset:4
	ds_read_b64 v[58:59], v56
	s_waitcnt vmcnt(0) lgkmcnt(0)
	v_mul_f64 v[53:54], v[53:54], v[58:59]
	s_cbranch_execz .LBB25_100
	s_branch .LBB25_101
.LBB25_99:
                                        ; implicit-def: $vgpr53_vgpr54
.LBB25_100:
	ds_read_b64 v[53:54], v56
.LBB25_101:
	s_and_saveexec_b64 s[12:13], s[6:7]
	s_cbranch_execz .LBB25_105
; %bb.102:
	v_add_u32_e32 v58, -15, v0
	s_movk_i32 s29, 0x148
	s_mov_b64 s[6:7], 0
.LBB25_103:                             ; =>This Inner Loop Header: Depth=1
	v_mov_b32_e32 v61, s28
	buffer_load_dword v59, v61, s[0:3], 0 offen
	buffer_load_dword v60, v61, s[0:3], 0 offen offset:4
	v_mov_b32_e32 v61, s29
	ds_read_b64 v[61:62], v61
	v_add_u32_e32 v58, -1, v58
	s_add_i32 s29, s29, 8
	s_add_i32 s28, s28, 8
	v_cmp_eq_u32_e32 vcc, 0, v58
	s_or_b64 s[6:7], vcc, s[6:7]
	s_waitcnt vmcnt(0) lgkmcnt(0)
	v_fma_f64 v[53:54], v[59:60], v[61:62], v[53:54]
	s_andn2_b64 exec, exec, s[6:7]
	s_cbranch_execnz .LBB25_103
; %bb.104:
	s_or_b64 exec, exec, s[6:7]
.LBB25_105:
	s_or_b64 exec, exec, s[12:13]
	v_mov_b32_e32 v58, 0
	ds_read_b64 v[58:59], v58 offset:112
	s_waitcnt lgkmcnt(0)
	v_mul_f64 v[53:54], v[53:54], v[58:59]
	buffer_store_dword v54, off, s[0:3], 0 offset:116
	buffer_store_dword v53, off, s[0:3], 0 offset:112
.LBB25_106:
	s_or_b64 exec, exec, s[8:9]
	buffer_load_dword v53, off, s[0:3], 0 offset:104
	buffer_load_dword v54, off, s[0:3], 0 offset:108
	v_cmp_lt_u32_e64 s[6:7], 13, v0
	s_waitcnt vmcnt(0)
	ds_write_b64 v56, v[53:54]
	s_waitcnt lgkmcnt(0)
	; wave barrier
	s_and_saveexec_b64 s[8:9], s[6:7]
	s_cbranch_execz .LBB25_116
; %bb.107:
	s_andn2_b64 vcc, exec, s[10:11]
	s_cbranch_vccnz .LBB25_109
; %bb.108:
	buffer_load_dword v53, v57, s[0:3], 0 offen
	buffer_load_dword v54, v57, s[0:3], 0 offen offset:4
	ds_read_b64 v[58:59], v56
	s_waitcnt vmcnt(0) lgkmcnt(0)
	v_mul_f64 v[53:54], v[53:54], v[58:59]
	s_cbranch_execz .LBB25_110
	s_branch .LBB25_111
.LBB25_109:
                                        ; implicit-def: $vgpr53_vgpr54
.LBB25_110:
	ds_read_b64 v[53:54], v56
.LBB25_111:
	s_and_saveexec_b64 s[12:13], s[4:5]
	s_cbranch_execz .LBB25_115
; %bb.112:
	v_add_u32_e32 v58, -14, v0
	s_movk_i32 s28, 0x140
	s_mov_b64 s[4:5], 0
.LBB25_113:                             ; =>This Inner Loop Header: Depth=1
	v_mov_b32_e32 v61, s27
	buffer_load_dword v59, v61, s[0:3], 0 offen
	buffer_load_dword v60, v61, s[0:3], 0 offen offset:4
	v_mov_b32_e32 v61, s28
	ds_read_b64 v[61:62], v61
	v_add_u32_e32 v58, -1, v58
	s_add_i32 s28, s28, 8
	s_add_i32 s27, s27, 8
	v_cmp_eq_u32_e32 vcc, 0, v58
	s_or_b64 s[4:5], vcc, s[4:5]
	s_waitcnt vmcnt(0) lgkmcnt(0)
	v_fma_f64 v[53:54], v[59:60], v[61:62], v[53:54]
	s_andn2_b64 exec, exec, s[4:5]
	s_cbranch_execnz .LBB25_113
; %bb.114:
	s_or_b64 exec, exec, s[4:5]
.LBB25_115:
	s_or_b64 exec, exec, s[12:13]
	v_mov_b32_e32 v58, 0
	ds_read_b64 v[58:59], v58 offset:104
	s_waitcnt lgkmcnt(0)
	v_mul_f64 v[53:54], v[53:54], v[58:59]
	buffer_store_dword v54, off, s[0:3], 0 offset:108
	buffer_store_dword v53, off, s[0:3], 0 offset:104
.LBB25_116:
	;; [unrolled: 58-line block ×14, first 2 shown]
	s_or_b64 exec, exec, s[8:9]
	buffer_load_dword v53, off, s[0:3], 0
	buffer_load_dword v54, off, s[0:3], 0 offset:4
	v_cmp_ne_u32_e32 vcc, 0, v0
	s_waitcnt vmcnt(0)
	ds_write_b64 v56, v[53:54]
	s_waitcnt lgkmcnt(0)
	; wave barrier
	s_and_saveexec_b64 s[4:5], vcc
	s_cbranch_execz .LBB25_246
; %bb.237:
	s_andn2_b64 vcc, exec, s[10:11]
	s_cbranch_vccnz .LBB25_239
; %bb.238:
	buffer_load_dword v53, v57, s[0:3], 0 offen
	buffer_load_dword v54, v57, s[0:3], 0 offen offset:4
	ds_read_b64 v[58:59], v56
	s_waitcnt vmcnt(0) lgkmcnt(0)
	v_mul_f64 v[53:54], v[53:54], v[58:59]
	s_cbranch_execz .LBB25_240
	s_branch .LBB25_241
.LBB25_239:
                                        ; implicit-def: $vgpr53_vgpr54
.LBB25_240:
	ds_read_b64 v[53:54], v56
.LBB25_241:
	s_and_saveexec_b64 s[8:9], s[6:7]
	s_cbranch_execz .LBB25_245
; %bb.242:
	v_add_u32_e32 v58, -1, v0
	s_movk_i32 s12, 0xd8
	s_mov_b64 s[6:7], 0
.LBB25_243:                             ; =>This Inner Loop Header: Depth=1
	v_mov_b32_e32 v61, s14
	buffer_load_dword v59, v61, s[0:3], 0 offen
	buffer_load_dword v60, v61, s[0:3], 0 offen offset:4
	v_mov_b32_e32 v61, s12
	ds_read_b64 v[61:62], v61
	v_add_u32_e32 v58, -1, v58
	s_add_i32 s12, s12, 8
	s_add_i32 s14, s14, 8
	v_cmp_eq_u32_e32 vcc, 0, v58
	s_or_b64 s[6:7], vcc, s[6:7]
	s_waitcnt vmcnt(0) lgkmcnt(0)
	v_fma_f64 v[53:54], v[59:60], v[61:62], v[53:54]
	s_andn2_b64 exec, exec, s[6:7]
	s_cbranch_execnz .LBB25_243
; %bb.244:
	s_or_b64 exec, exec, s[6:7]
.LBB25_245:
	s_or_b64 exec, exec, s[8:9]
	v_mov_b32_e32 v58, 0
	ds_read_b64 v[58:59], v58
	s_waitcnt lgkmcnt(0)
	v_mul_f64 v[53:54], v[53:54], v[58:59]
	buffer_store_dword v54, off, s[0:3], 0 offset:4
	buffer_store_dword v53, off, s[0:3], 0
.LBB25_246:
	s_or_b64 exec, exec, s[4:5]
	s_mov_b64 s[4:5], 0
.LBB25_247:
	s_and_b64 vcc, exec, s[4:5]
	s_cbranch_vccz .LBB25_489
; %bb.248:
	buffer_load_dword v53, off, s[0:3], 0 offset:8
	buffer_load_dword v54, off, s[0:3], 0 offset:12
	v_cmp_eq_u32_e64 s[6:7], 0, v0
	s_waitcnt vmcnt(0)
	ds_write_b64 v56, v[53:54]
	s_waitcnt lgkmcnt(0)
	; wave barrier
	s_and_saveexec_b64 s[4:5], s[6:7]
	s_cbranch_execz .LBB25_254
; %bb.249:
	s_and_b64 vcc, exec, s[10:11]
	s_cbranch_vccz .LBB25_251
; %bb.250:
	buffer_load_dword v53, v57, s[0:3], 0 offen
	buffer_load_dword v54, v57, s[0:3], 0 offen offset:4
	ds_read_b64 v[58:59], v56
	s_waitcnt vmcnt(0) lgkmcnt(0)
	v_mul_f64 v[53:54], v[53:54], v[58:59]
	s_cbranch_execz .LBB25_252
	s_branch .LBB25_253
.LBB25_251:
                                        ; implicit-def: $vgpr53_vgpr54
.LBB25_252:
	ds_read_b64 v[53:54], v56
.LBB25_253:
	v_mov_b32_e32 v58, 0
	ds_read_b64 v[58:59], v58 offset:8
	s_waitcnt lgkmcnt(0)
	v_mul_f64 v[53:54], v[53:54], v[58:59]
	buffer_store_dword v54, off, s[0:3], 0 offset:12
	buffer_store_dword v53, off, s[0:3], 0 offset:8
.LBB25_254:
	s_or_b64 exec, exec, s[4:5]
	buffer_load_dword v53, off, s[0:3], 0 offset:16
	buffer_load_dword v54, off, s[0:3], 0 offset:20
	v_cndmask_b32_e64 v58, 0, 1, s[10:11]
	v_cmp_gt_u32_e32 vcc, 2, v0
	v_cmp_ne_u32_e64 s[4:5], 1, v58
	s_waitcnt vmcnt(0)
	ds_write_b64 v56, v[53:54]
	s_waitcnt lgkmcnt(0)
	; wave barrier
	s_and_saveexec_b64 s[8:9], vcc
	s_cbranch_execz .LBB25_260
; %bb.255:
	s_and_b64 vcc, exec, s[4:5]
	s_cbranch_vccnz .LBB25_257
; %bb.256:
	buffer_load_dword v53, v57, s[0:3], 0 offen
	buffer_load_dword v54, v57, s[0:3], 0 offen offset:4
	ds_read_b64 v[58:59], v56
	s_waitcnt vmcnt(0) lgkmcnt(0)
	v_mul_f64 v[53:54], v[53:54], v[58:59]
	s_cbranch_execz .LBB25_258
	s_branch .LBB25_259
.LBB25_257:
                                        ; implicit-def: $vgpr53_vgpr54
.LBB25_258:
	ds_read_b64 v[53:54], v56
.LBB25_259:
	buffer_load_dword v62, off, s[0:3], 0 offset:8
	buffer_load_dword v63, off, s[0:3], 0 offset:12
	v_mov_b32_e32 v58, 0
	ds_read2_b64 v[58:61], v58 offset0:2 offset1:27
	s_waitcnt vmcnt(0) lgkmcnt(0)
	v_fma_f64 v[60:61], v[62:63], v[60:61], v[53:54]
	v_cndmask_b32_e64 v54, v54, v61, s[6:7]
	v_cndmask_b32_e64 v53, v53, v60, s[6:7]
	v_mul_f64 v[53:54], v[53:54], v[58:59]
	buffer_store_dword v54, off, s[0:3], 0 offset:20
	buffer_store_dword v53, off, s[0:3], 0 offset:16
.LBB25_260:
	s_or_b64 exec, exec, s[8:9]
	buffer_load_dword v53, off, s[0:3], 0 offset:24
	buffer_load_dword v54, off, s[0:3], 0 offset:28
	v_cmp_gt_u32_e32 vcc, 3, v0
	s_waitcnt vmcnt(0)
	ds_write_b64 v56, v[53:54]
	s_waitcnt lgkmcnt(0)
	; wave barrier
	s_and_saveexec_b64 s[8:9], vcc
	s_cbranch_execz .LBB25_268
; %bb.261:
	s_and_b64 vcc, exec, s[4:5]
	s_cbranch_vccnz .LBB25_263
; %bb.262:
	buffer_load_dword v53, v57, s[0:3], 0 offen
	buffer_load_dword v54, v57, s[0:3], 0 offen offset:4
	ds_read_b64 v[58:59], v56
	s_waitcnt vmcnt(0) lgkmcnt(0)
	v_mul_f64 v[53:54], v[53:54], v[58:59]
	s_cbranch_execz .LBB25_264
	s_branch .LBB25_265
.LBB25_263:
                                        ; implicit-def: $vgpr53_vgpr54
.LBB25_264:
	ds_read_b64 v[53:54], v56
.LBB25_265:
	v_cmp_ne_u32_e32 vcc, 2, v0
	s_and_saveexec_b64 s[10:11], vcc
	s_cbranch_execz .LBB25_267
; %bb.266:
	buffer_load_dword v58, v57, s[0:3], 0 offen offset:8
	buffer_load_dword v59, v57, s[0:3], 0 offen offset:12
	buffer_load_dword v60, off, s[0:3], 0 offset:16
	buffer_load_dword v61, off, s[0:3], 0 offset:20
	ds_read_b64 v[62:63], v56 offset:8
	v_mov_b32_e32 v64, 0
	ds_read_b64 v[64:65], v64 offset:224
	s_waitcnt vmcnt(2) lgkmcnt(1)
	v_fma_f64 v[53:54], v[58:59], v[62:63], v[53:54]
	s_waitcnt vmcnt(0) lgkmcnt(0)
	v_fma_f64 v[58:59], v[60:61], v[64:65], v[53:54]
	v_cndmask_b32_e64 v54, v54, v59, s[6:7]
	v_cndmask_b32_e64 v53, v53, v58, s[6:7]
.LBB25_267:
	s_or_b64 exec, exec, s[10:11]
	v_mov_b32_e32 v58, 0
	ds_read_b64 v[58:59], v58 offset:24
	s_waitcnt lgkmcnt(0)
	v_mul_f64 v[53:54], v[53:54], v[58:59]
	buffer_store_dword v54, off, s[0:3], 0 offset:28
	buffer_store_dword v53, off, s[0:3], 0 offset:24
.LBB25_268:
	s_or_b64 exec, exec, s[8:9]
	buffer_load_dword v53, off, s[0:3], 0 offset:32
	buffer_load_dword v54, off, s[0:3], 0 offset:36
	v_cmp_gt_u32_e32 vcc, 4, v0
	s_waitcnt vmcnt(0)
	ds_write_b64 v56, v[53:54]
	s_waitcnt lgkmcnt(0)
	; wave barrier
	s_and_saveexec_b64 s[6:7], vcc
	s_cbranch_execz .LBB25_278
; %bb.269:
	s_and_b64 vcc, exec, s[4:5]
	s_cbranch_vccnz .LBB25_271
; %bb.270:
	buffer_load_dword v53, v57, s[0:3], 0 offen
	buffer_load_dword v54, v57, s[0:3], 0 offen offset:4
	ds_read_b64 v[58:59], v56
	s_waitcnt vmcnt(0) lgkmcnt(0)
	v_mul_f64 v[53:54], v[53:54], v[58:59]
	s_cbranch_execz .LBB25_272
	s_branch .LBB25_273
.LBB25_271:
                                        ; implicit-def: $vgpr53_vgpr54
.LBB25_272:
	ds_read_b64 v[53:54], v56
.LBB25_273:
	v_cmp_ne_u32_e32 vcc, 3, v0
	s_and_saveexec_b64 s[8:9], vcc
	s_cbranch_execz .LBB25_277
; %bb.274:
	s_mov_b32 s10, 0
	v_add_u32_e32 v58, 0xd8, v55
	v_add3_u32 v59, v55, s10, 8
	s_mov_b64 s[10:11], 0
	v_mov_b32_e32 v60, v0
.LBB25_275:                             ; =>This Inner Loop Header: Depth=1
	buffer_load_dword v61, v59, s[0:3], 0 offen
	buffer_load_dword v62, v59, s[0:3], 0 offen offset:4
	ds_read_b64 v[63:64], v58
	v_add_u32_e32 v60, 1, v60
	v_cmp_lt_u32_e32 vcc, 2, v60
	v_add_u32_e32 v58, 8, v58
	s_or_b64 s[10:11], vcc, s[10:11]
	v_add_u32_e32 v59, 8, v59
	s_waitcnt vmcnt(0) lgkmcnt(0)
	v_fma_f64 v[53:54], v[61:62], v[63:64], v[53:54]
	s_andn2_b64 exec, exec, s[10:11]
	s_cbranch_execnz .LBB25_275
; %bb.276:
	s_or_b64 exec, exec, s[10:11]
.LBB25_277:
	s_or_b64 exec, exec, s[8:9]
	v_mov_b32_e32 v58, 0
	ds_read_b64 v[58:59], v58 offset:32
	s_waitcnt lgkmcnt(0)
	v_mul_f64 v[53:54], v[53:54], v[58:59]
	buffer_store_dword v54, off, s[0:3], 0 offset:36
	buffer_store_dword v53, off, s[0:3], 0 offset:32
.LBB25_278:
	s_or_b64 exec, exec, s[6:7]
	buffer_load_dword v53, off, s[0:3], 0 offset:40
	buffer_load_dword v54, off, s[0:3], 0 offset:44
	v_cmp_gt_u32_e32 vcc, 5, v0
	s_waitcnt vmcnt(0)
	ds_write_b64 v56, v[53:54]
	s_waitcnt lgkmcnt(0)
	; wave barrier
	s_and_saveexec_b64 s[6:7], vcc
	s_cbranch_execz .LBB25_288
; %bb.279:
	s_and_b64 vcc, exec, s[4:5]
	s_cbranch_vccnz .LBB25_281
; %bb.280:
	buffer_load_dword v53, v57, s[0:3], 0 offen
	buffer_load_dword v54, v57, s[0:3], 0 offen offset:4
	ds_read_b64 v[58:59], v56
	s_waitcnt vmcnt(0) lgkmcnt(0)
	v_mul_f64 v[53:54], v[53:54], v[58:59]
	s_cbranch_execz .LBB25_282
	s_branch .LBB25_283
.LBB25_281:
                                        ; implicit-def: $vgpr53_vgpr54
.LBB25_282:
	ds_read_b64 v[53:54], v56
.LBB25_283:
	v_cmp_ne_u32_e32 vcc, 4, v0
	s_and_saveexec_b64 s[8:9], vcc
	s_cbranch_execz .LBB25_287
; %bb.284:
	s_mov_b32 s10, 0
	v_add_u32_e32 v58, 0xd8, v55
	v_add3_u32 v59, v55, s10, 8
	s_mov_b64 s[10:11], 0
	v_mov_b32_e32 v60, v0
.LBB25_285:                             ; =>This Inner Loop Header: Depth=1
	buffer_load_dword v61, v59, s[0:3], 0 offen
	buffer_load_dword v62, v59, s[0:3], 0 offen offset:4
	ds_read_b64 v[63:64], v58
	v_add_u32_e32 v60, 1, v60
	v_cmp_lt_u32_e32 vcc, 3, v60
	v_add_u32_e32 v58, 8, v58
	s_or_b64 s[10:11], vcc, s[10:11]
	v_add_u32_e32 v59, 8, v59
	s_waitcnt vmcnt(0) lgkmcnt(0)
	v_fma_f64 v[53:54], v[61:62], v[63:64], v[53:54]
	s_andn2_b64 exec, exec, s[10:11]
	s_cbranch_execnz .LBB25_285
; %bb.286:
	s_or_b64 exec, exec, s[10:11]
.LBB25_287:
	s_or_b64 exec, exec, s[8:9]
	v_mov_b32_e32 v58, 0
	ds_read_b64 v[58:59], v58 offset:40
	s_waitcnt lgkmcnt(0)
	v_mul_f64 v[53:54], v[53:54], v[58:59]
	buffer_store_dword v54, off, s[0:3], 0 offset:44
	buffer_store_dword v53, off, s[0:3], 0 offset:40
.LBB25_288:
	;; [unrolled: 59-line block ×20, first 2 shown]
	s_or_b64 exec, exec, s[6:7]
	buffer_load_dword v53, off, s[0:3], 0 offset:192
	buffer_load_dword v54, off, s[0:3], 0 offset:196
	v_cmp_gt_u32_e64 s[6:7], 24, v0
	s_waitcnt vmcnt(0)
	ds_write_b64 v56, v[53:54]
	s_waitcnt lgkmcnt(0)
	; wave barrier
	s_and_saveexec_b64 s[8:9], s[6:7]
	s_cbranch_execz .LBB25_478
; %bb.469:
	s_and_b64 vcc, exec, s[4:5]
	s_cbranch_vccnz .LBB25_471
; %bb.470:
	buffer_load_dword v53, v57, s[0:3], 0 offen
	buffer_load_dword v54, v57, s[0:3], 0 offen offset:4
	ds_read_b64 v[58:59], v56
	s_waitcnt vmcnt(0) lgkmcnt(0)
	v_mul_f64 v[53:54], v[53:54], v[58:59]
	s_cbranch_execz .LBB25_472
	s_branch .LBB25_473
.LBB25_471:
                                        ; implicit-def: $vgpr53_vgpr54
.LBB25_472:
	ds_read_b64 v[53:54], v56
.LBB25_473:
	v_cmp_ne_u32_e32 vcc, 23, v0
	s_and_saveexec_b64 s[10:11], vcc
	s_cbranch_execz .LBB25_477
; %bb.474:
	s_mov_b32 s12, 0
	v_add_u32_e32 v58, 0xd8, v55
	v_add3_u32 v59, v55, s12, 8
	s_mov_b64 s[12:13], 0
	v_mov_b32_e32 v60, v0
.LBB25_475:                             ; =>This Inner Loop Header: Depth=1
	buffer_load_dword v61, v59, s[0:3], 0 offen
	buffer_load_dword v62, v59, s[0:3], 0 offen offset:4
	ds_read_b64 v[63:64], v58
	v_add_u32_e32 v60, 1, v60
	v_cmp_lt_u32_e32 vcc, 22, v60
	v_add_u32_e32 v58, 8, v58
	s_or_b64 s[12:13], vcc, s[12:13]
	v_add_u32_e32 v59, 8, v59
	s_waitcnt vmcnt(0) lgkmcnt(0)
	v_fma_f64 v[53:54], v[61:62], v[63:64], v[53:54]
	s_andn2_b64 exec, exec, s[12:13]
	s_cbranch_execnz .LBB25_475
; %bb.476:
	s_or_b64 exec, exec, s[12:13]
.LBB25_477:
	s_or_b64 exec, exec, s[10:11]
	v_mov_b32_e32 v58, 0
	ds_read_b64 v[58:59], v58 offset:192
	s_waitcnt lgkmcnt(0)
	v_mul_f64 v[53:54], v[53:54], v[58:59]
	buffer_store_dword v54, off, s[0:3], 0 offset:196
	buffer_store_dword v53, off, s[0:3], 0 offset:192
.LBB25_478:
	s_or_b64 exec, exec, s[8:9]
	buffer_load_dword v53, off, s[0:3], 0 offset:200
	buffer_load_dword v54, off, s[0:3], 0 offset:204
	v_cmp_ne_u32_e32 vcc, 25, v0
	s_waitcnt vmcnt(0)
	ds_write_b64 v56, v[53:54]
	s_waitcnt lgkmcnt(0)
	; wave barrier
	s_and_saveexec_b64 s[8:9], vcc
	s_cbranch_execz .LBB25_488
; %bb.479:
	s_and_b64 vcc, exec, s[4:5]
	s_cbranch_vccnz .LBB25_481
; %bb.480:
	buffer_load_dword v53, v57, s[0:3], 0 offen
	buffer_load_dword v54, v57, s[0:3], 0 offen offset:4
	ds_read_b64 v[57:58], v56
	s_waitcnt vmcnt(0) lgkmcnt(0)
	v_mul_f64 v[53:54], v[53:54], v[57:58]
	s_cbranch_execz .LBB25_482
	s_branch .LBB25_483
.LBB25_481:
                                        ; implicit-def: $vgpr53_vgpr54
.LBB25_482:
	ds_read_b64 v[53:54], v56
.LBB25_483:
	s_and_saveexec_b64 s[4:5], s[6:7]
	s_cbranch_execz .LBB25_487
; %bb.484:
	s_mov_b32 s6, 0
	v_add_u32_e32 v56, 0xd8, v55
	v_add3_u32 v55, v55, s6, 8
	s_mov_b64 s[6:7], 0
.LBB25_485:                             ; =>This Inner Loop Header: Depth=1
	buffer_load_dword v57, v55, s[0:3], 0 offen
	buffer_load_dword v58, v55, s[0:3], 0 offen offset:4
	ds_read_b64 v[59:60], v56
	v_add_u32_e32 v0, 1, v0
	v_cmp_lt_u32_e32 vcc, 23, v0
	v_add_u32_e32 v56, 8, v56
	s_or_b64 s[6:7], vcc, s[6:7]
	v_add_u32_e32 v55, 8, v55
	s_waitcnt vmcnt(0) lgkmcnt(0)
	v_fma_f64 v[53:54], v[57:58], v[59:60], v[53:54]
	s_andn2_b64 exec, exec, s[6:7]
	s_cbranch_execnz .LBB25_485
; %bb.486:
	s_or_b64 exec, exec, s[6:7]
.LBB25_487:
	s_or_b64 exec, exec, s[4:5]
	v_mov_b32_e32 v0, 0
	ds_read_b64 v[55:56], v0 offset:200
	s_waitcnt lgkmcnt(0)
	v_mul_f64 v[53:54], v[53:54], v[55:56]
	buffer_store_dword v54, off, s[0:3], 0 offset:204
	buffer_store_dword v53, off, s[0:3], 0 offset:200
.LBB25_488:
	s_or_b64 exec, exec, s[8:9]
.LBB25_489:
	buffer_load_dword v53, off, s[0:3], 0
	buffer_load_dword v54, off, s[0:3], 0 offset:4
	buffer_load_dword v55, off, s[0:3], 0 offset:8
	;; [unrolled: 1-line block ×23, first 2 shown]
	s_waitcnt vmcnt(22)
	global_store_dwordx2 v[51:52], v[53:54], off
	buffer_load_dword v51, off, s[0:3], 0 offset:96
	s_nop 0
	buffer_load_dword v52, off, s[0:3], 0 offset:100
	buffer_load_dword v53, off, s[0:3], 0 offset:104
	;; [unrolled: 1-line block ×7, first 2 shown]
	s_waitcnt vmcnt(29)
	global_store_dwordx2 v[49:50], v[55:56], off
	s_waitcnt vmcnt(28)
	global_store_dwordx2 v[5:6], v[57:58], off
	buffer_load_dword v5, off, s[0:3], 0 offset:128
	s_nop 0
	buffer_load_dword v6, off, s[0:3], 0 offset:132
	buffer_load_dword v49, off, s[0:3], 0 offset:136
	;; [unrolled: 1-line block ×7, first 2 shown]
	s_waitcnt vmcnt(35)
	global_store_dwordx2 v[1:2], v[59:60], off
	s_waitcnt vmcnt(34)
	global_store_dwordx2 v[9:10], v[61:62], off
	buffer_load_dword v0, off, s[0:3], 0 offset:160
	buffer_load_dword v1, off, s[0:3], 0 offset:164
	s_nop 0
	buffer_load_dword v9, off, s[0:3], 0 offset:168
	buffer_load_dword v10, off, s[0:3], 0 offset:172
	buffer_load_dword v59, off, s[0:3], 0 offset:176
	buffer_load_dword v60, off, s[0:3], 0 offset:180
	buffer_load_dword v61, off, s[0:3], 0 offset:184
	buffer_load_dword v62, off, s[0:3], 0 offset:188
	s_waitcnt vmcnt(41)
	global_store_dwordx2 v[3:4], v[63:64], off
	buffer_load_dword v2, off, s[0:3], 0 offset:192
	s_nop 0
	buffer_load_dword v3, off, s[0:3], 0 offset:196
	buffer_load_dword v63, off, s[0:3], 0 offset:200
	;; [unrolled: 1-line block ×3, first 2 shown]
	s_waitcnt vmcnt(44)
	global_store_dwordx2 v[7:8], v[65:66], off
	s_waitcnt vmcnt(43)
	global_store_dwordx2 v[11:12], v[67:68], off
	;; [unrolled: 2-line block ×3, first 2 shown]
	global_store_dwordx2 v[15:16], v[71:72], off
	global_store_dwordx2 v[17:18], v[73:74], off
	global_store_dwordx2 v[19:20], v[75:76], off
	s_waitcnt vmcnt(37)
	global_store_dwordx2 v[21:22], v[51:52], off
	s_waitcnt vmcnt(36)
	global_store_dwordx2 v[23:24], v[53:54], off
	;; [unrolled: 2-line block ×14, first 2 shown]
.LBB25_490:
	s_endpgm
	.section	.rodata,"a",@progbits
	.p2align	6, 0x0
	.amdhsa_kernel _ZN9rocsolver6v33100L18trti2_kernel_smallILi26EdPdEEv13rocblas_fill_17rocblas_diagonal_T1_iil
		.amdhsa_group_segment_fixed_size 416
		.amdhsa_private_segment_fixed_size 224
		.amdhsa_kernarg_size 32
		.amdhsa_user_sgpr_count 6
		.amdhsa_user_sgpr_private_segment_buffer 1
		.amdhsa_user_sgpr_dispatch_ptr 0
		.amdhsa_user_sgpr_queue_ptr 0
		.amdhsa_user_sgpr_kernarg_segment_ptr 1
		.amdhsa_user_sgpr_dispatch_id 0
		.amdhsa_user_sgpr_flat_scratch_init 0
		.amdhsa_user_sgpr_private_segment_size 0
		.amdhsa_uses_dynamic_stack 0
		.amdhsa_system_sgpr_private_segment_wavefront_offset 1
		.amdhsa_system_sgpr_workgroup_id_x 1
		.amdhsa_system_sgpr_workgroup_id_y 0
		.amdhsa_system_sgpr_workgroup_id_z 0
		.amdhsa_system_sgpr_workgroup_info 0
		.amdhsa_system_vgpr_workitem_id 0
		.amdhsa_next_free_vgpr 81
		.amdhsa_next_free_sgpr 39
		.amdhsa_reserve_vcc 1
		.amdhsa_reserve_flat_scratch 0
		.amdhsa_float_round_mode_32 0
		.amdhsa_float_round_mode_16_64 0
		.amdhsa_float_denorm_mode_32 3
		.amdhsa_float_denorm_mode_16_64 3
		.amdhsa_dx10_clamp 1
		.amdhsa_ieee_mode 1
		.amdhsa_fp16_overflow 0
		.amdhsa_exception_fp_ieee_invalid_op 0
		.amdhsa_exception_fp_denorm_src 0
		.amdhsa_exception_fp_ieee_div_zero 0
		.amdhsa_exception_fp_ieee_overflow 0
		.amdhsa_exception_fp_ieee_underflow 0
		.amdhsa_exception_fp_ieee_inexact 0
		.amdhsa_exception_int_div_zero 0
	.end_amdhsa_kernel
	.section	.text._ZN9rocsolver6v33100L18trti2_kernel_smallILi26EdPdEEv13rocblas_fill_17rocblas_diagonal_T1_iil,"axG",@progbits,_ZN9rocsolver6v33100L18trti2_kernel_smallILi26EdPdEEv13rocblas_fill_17rocblas_diagonal_T1_iil,comdat
.Lfunc_end25:
	.size	_ZN9rocsolver6v33100L18trti2_kernel_smallILi26EdPdEEv13rocblas_fill_17rocblas_diagonal_T1_iil, .Lfunc_end25-_ZN9rocsolver6v33100L18trti2_kernel_smallILi26EdPdEEv13rocblas_fill_17rocblas_diagonal_T1_iil
                                        ; -- End function
	.set _ZN9rocsolver6v33100L18trti2_kernel_smallILi26EdPdEEv13rocblas_fill_17rocblas_diagonal_T1_iil.num_vgpr, 81
	.set _ZN9rocsolver6v33100L18trti2_kernel_smallILi26EdPdEEv13rocblas_fill_17rocblas_diagonal_T1_iil.num_agpr, 0
	.set _ZN9rocsolver6v33100L18trti2_kernel_smallILi26EdPdEEv13rocblas_fill_17rocblas_diagonal_T1_iil.numbered_sgpr, 39
	.set _ZN9rocsolver6v33100L18trti2_kernel_smallILi26EdPdEEv13rocblas_fill_17rocblas_diagonal_T1_iil.num_named_barrier, 0
	.set _ZN9rocsolver6v33100L18trti2_kernel_smallILi26EdPdEEv13rocblas_fill_17rocblas_diagonal_T1_iil.private_seg_size, 224
	.set _ZN9rocsolver6v33100L18trti2_kernel_smallILi26EdPdEEv13rocblas_fill_17rocblas_diagonal_T1_iil.uses_vcc, 1
	.set _ZN9rocsolver6v33100L18trti2_kernel_smallILi26EdPdEEv13rocblas_fill_17rocblas_diagonal_T1_iil.uses_flat_scratch, 0
	.set _ZN9rocsolver6v33100L18trti2_kernel_smallILi26EdPdEEv13rocblas_fill_17rocblas_diagonal_T1_iil.has_dyn_sized_stack, 0
	.set _ZN9rocsolver6v33100L18trti2_kernel_smallILi26EdPdEEv13rocblas_fill_17rocblas_diagonal_T1_iil.has_recursion, 0
	.set _ZN9rocsolver6v33100L18trti2_kernel_smallILi26EdPdEEv13rocblas_fill_17rocblas_diagonal_T1_iil.has_indirect_call, 0
	.section	.AMDGPU.csdata,"",@progbits
; Kernel info:
; codeLenInByte = 15044
; TotalNumSgprs: 43
; NumVgprs: 81
; ScratchSize: 224
; MemoryBound: 0
; FloatMode: 240
; IeeeMode: 1
; LDSByteSize: 416 bytes/workgroup (compile time only)
; SGPRBlocks: 5
; VGPRBlocks: 20
; NumSGPRsForWavesPerEU: 43
; NumVGPRsForWavesPerEU: 81
; Occupancy: 3
; WaveLimiterHint : 0
; COMPUTE_PGM_RSRC2:SCRATCH_EN: 1
; COMPUTE_PGM_RSRC2:USER_SGPR: 6
; COMPUTE_PGM_RSRC2:TRAP_HANDLER: 0
; COMPUTE_PGM_RSRC2:TGID_X_EN: 1
; COMPUTE_PGM_RSRC2:TGID_Y_EN: 0
; COMPUTE_PGM_RSRC2:TGID_Z_EN: 0
; COMPUTE_PGM_RSRC2:TIDIG_COMP_CNT: 0
	.section	.text._ZN9rocsolver6v33100L18trti2_kernel_smallILi27EdPdEEv13rocblas_fill_17rocblas_diagonal_T1_iil,"axG",@progbits,_ZN9rocsolver6v33100L18trti2_kernel_smallILi27EdPdEEv13rocblas_fill_17rocblas_diagonal_T1_iil,comdat
	.globl	_ZN9rocsolver6v33100L18trti2_kernel_smallILi27EdPdEEv13rocblas_fill_17rocblas_diagonal_T1_iil ; -- Begin function _ZN9rocsolver6v33100L18trti2_kernel_smallILi27EdPdEEv13rocblas_fill_17rocblas_diagonal_T1_iil
	.p2align	8
	.type	_ZN9rocsolver6v33100L18trti2_kernel_smallILi27EdPdEEv13rocblas_fill_17rocblas_diagonal_T1_iil,@function
_ZN9rocsolver6v33100L18trti2_kernel_smallILi27EdPdEEv13rocblas_fill_17rocblas_diagonal_T1_iil: ; @_ZN9rocsolver6v33100L18trti2_kernel_smallILi27EdPdEEv13rocblas_fill_17rocblas_diagonal_T1_iil
; %bb.0:
	s_add_u32 s0, s0, s7
	s_addc_u32 s1, s1, 0
	v_cmp_gt_u32_e32 vcc, 27, v0
	s_and_saveexec_b64 s[8:9], vcc
	s_cbranch_execz .LBB26_510
; %bb.1:
	s_load_dwordx8 s[8:15], s[4:5], 0x0
	s_ashr_i32 s7, s6, 31
	v_lshlrev_b32_e32 v57, 3, v0
	s_waitcnt lgkmcnt(0)
	s_ashr_i32 s5, s12, 31
	s_mov_b32 s4, s12
	s_mul_hi_u32 s12, s14, s6
	s_mul_i32 s7, s14, s7
	s_add_i32 s7, s12, s7
	s_mul_i32 s12, s15, s6
	s_add_i32 s7, s7, s12
	s_mul_i32 s6, s14, s6
	s_lshl_b64 s[6:7], s[6:7], 3
	s_add_u32 s6, s10, s6
	s_addc_u32 s7, s11, s7
	s_lshl_b64 s[4:5], s[4:5], 3
	s_add_u32 s4, s6, s4
	s_addc_u32 s5, s7, s5
	global_load_dwordx2 v[5:6], v57, s[4:5]
	s_add_i32 s10, s13, s13
	s_mov_b32 s6, s13
	s_ashr_i32 s7, s13, 31
	v_mov_b32_e32 v2, s5
	v_add_u32_e32 v1, s10, v0
	v_add_co_u32_e32 v15, vcc, s4, v57
	s_lshl_b64 s[6:7], s[6:7], 3
	v_addc_co_u32_e32 v16, vcc, 0, v2, vcc
	v_ashrrev_i32_e32 v2, 31, v1
	v_mov_b32_e32 v4, s7
	v_add_u32_e32 v3, s13, v1
	v_add_co_u32_e32 v19, vcc, s6, v15
	v_lshlrev_b64 v[1:2], 3, v[1:2]
	v_addc_co_u32_e32 v20, vcc, v16, v4, vcc
	v_ashrrev_i32_e32 v4, 31, v3
	v_mov_b32_e32 v8, s5
	v_add_u32_e32 v9, s13, v3
	v_lshlrev_b64 v[3:4], 3, v[3:4]
	v_add_co_u32_e32 v7, vcc, s4, v1
	v_ashrrev_i32_e32 v10, 31, v9
	v_addc_co_u32_e32 v8, vcc, v8, v2, vcc
	v_mov_b32_e32 v12, s5
	v_lshlrev_b64 v[1:2], 3, v[9:10]
	v_add_co_u32_e32 v11, vcc, s4, v3
	v_addc_co_u32_e32 v12, vcc, v12, v4, vcc
	v_mov_b32_e32 v18, s5
	v_add_co_u32_e32 v3, vcc, s4, v1
	v_addc_co_u32_e32 v4, vcc, v18, v2, vcc
	global_load_dwordx2 v[31:32], v[19:20], off
	global_load_dwordx2 v[33:34], v[7:8], off
	;; [unrolled: 1-line block ×4, first 2 shown]
	v_add_u32_e32 v13, s13, v9
	v_add_u32_e32 v9, s13, v13
	;; [unrolled: 1-line block ×22, first 2 shown]
	v_ashrrev_i32_e32 v2, 31, v1
	v_lshlrev_b64 v[1:2], 3, v[1:2]
	v_ashrrev_i32_e32 v14, 31, v13
	v_mov_b32_e32 v22, s5
	v_lshlrev_b64 v[13:14], 3, v[13:14]
	v_add_co_u32_e32 v1, vcc, s4, v1
	v_addc_co_u32_e32 v2, vcc, v22, v2, vcc
	global_load_dwordx2 v[68:69], v[1:2], off
	v_add_co_u32_e32 v27, vcc, s4, v13
	s_waitcnt vmcnt(5)
	buffer_store_dword v6, off, s[0:3], 0 offset:4
	buffer_store_dword v5, off, s[0:3], 0
	v_mov_b32_e32 v5, s5
	v_ashrrev_i32_e32 v10, 31, v9
	v_addc_co_u32_e32 v28, vcc, v5, v14, vcc
	v_lshlrev_b64 v[5:6], 3, v[9:10]
	v_mov_b32_e32 v9, s5
	v_add_co_u32_e32 v13, vcc, s4, v5
	v_ashrrev_i32_e32 v18, 31, v17
	v_addc_co_u32_e32 v14, vcc, v9, v6, vcc
	v_lshlrev_b64 v[5:6], 3, v[17:18]
	v_ashrrev_i32_e32 v22, 31, v21
	v_add_co_u32_e32 v5, vcc, s4, v5
	v_addc_co_u32_e32 v6, vcc, v9, v6, vcc
	v_lshlrev_b64 v[9:10], 3, v[21:22]
	v_mov_b32_e32 v17, s5
	v_add_co_u32_e32 v9, vcc, s4, v9
	v_ashrrev_i32_e32 v24, 31, v23
	v_addc_co_u32_e32 v10, vcc, v17, v10, vcc
	v_lshlrev_b64 v[17:18], 3, v[23:24]
	global_load_dwordx2 v[70:71], v[27:28], off
	global_load_dwordx2 v[72:73], v[13:14], off
	;; [unrolled: 1-line block ×4, first 2 shown]
	v_mov_b32_e32 v21, s5
	v_add_co_u32_e32 v17, vcc, s4, v17
	v_ashrrev_i32_e32 v26, 31, v25
	v_addc_co_u32_e32 v18, vcc, v21, v18, vcc
	v_lshlrev_b64 v[21:22], 3, v[25:26]
	v_mov_b32_e32 v23, s5
	v_add_co_u32_e32 v21, vcc, s4, v21
	v_ashrrev_i32_e32 v30, 31, v29
	v_addc_co_u32_e32 v22, vcc, v23, v22, vcc
	v_lshlrev_b64 v[23:24], 3, v[29:30]
	v_mov_b32_e32 v25, s5
	v_add_co_u32_e32 v23, vcc, s4, v23
	v_ashrrev_i32_e32 v40, 31, v39
	v_addc_co_u32_e32 v24, vcc, v25, v24, vcc
	v_lshlrev_b64 v[25:26], 3, v[39:40]
	v_mov_b32_e32 v29, s5
	v_add_co_u32_e32 v25, vcc, s4, v25
	v_ashrrev_i32_e32 v42, 31, v41
	v_addc_co_u32_e32 v26, vcc, v29, v26, vcc
	v_lshlrev_b64 v[29:30], 3, v[41:42]
	global_load_dwordx2 v[78:79], v[17:18], off
	global_load_dwordx2 v[41:42], v[23:24], off
	v_mov_b32_e32 v39, s5
	v_add_co_u32_e32 v29, vcc, s4, v29
	v_addc_co_u32_e32 v30, vcc, v39, v30, vcc
	global_load_dwordx2 v[39:40], v[21:22], off
	v_ashrrev_i32_e32 v44, 31, v43
	s_waitcnt vmcnt(13)
	buffer_store_dword v32, off, s[0:3], 0 offset:12
	buffer_store_dword v31, off, s[0:3], 0 offset:8
	global_load_dwordx2 v[31:32], v[25:26], off
	s_waitcnt vmcnt(15)
	buffer_store_dword v34, off, s[0:3], 0 offset:20
	buffer_store_dword v33, off, s[0:3], 0 offset:16
	global_load_dwordx2 v[80:81], v[29:30], off
	v_mov_b32_e32 v33, s5
	v_ashrrev_i32_e32 v46, 31, v45
	v_ashrrev_i32_e32 v48, 31, v47
	;; [unrolled: 1-line block ×11, first 2 shown]
	s_cmpk_lg_i32 s9, 0x84
	s_cselect_b64 s[10:11], -1, 0
	s_cmpk_eq_i32 s9, 0x84
	s_waitcnt vmcnt(17)
	buffer_store_dword v36, off, s[0:3], 0 offset:28
	buffer_store_dword v35, off, s[0:3], 0 offset:24
	s_waitcnt vmcnt(18)
	buffer_store_dword v38, off, s[0:3], 0 offset:36
	buffer_store_dword v37, off, s[0:3], 0 offset:32
	;; [unrolled: 3-line block ×8, first 2 shown]
	buffer_store_dword v41, off, s[0:3], 0 offset:88
	buffer_store_dword v42, off, s[0:3], 0 offset:92
	s_waitcnt vmcnt(21)
	buffer_store_dword v31, off, s[0:3], 0 offset:96
	buffer_store_dword v32, off, s[0:3], 0 offset:100
	v_lshlrev_b64 v[31:32], 3, v[43:44]
	v_mov_b32_e32 v35, s5
	v_add_co_u32_e32 v31, vcc, s4, v31
	v_addc_co_u32_e32 v32, vcc, v33, v32, vcc
	v_lshlrev_b64 v[33:34], 3, v[45:46]
	v_mov_b32_e32 v37, s5
	v_add_co_u32_e32 v33, vcc, s4, v33
	v_addc_co_u32_e32 v34, vcc, v35, v34, vcc
	v_lshlrev_b64 v[35:36], 3, v[47:48]
	v_mov_b32_e32 v39, s5
	v_add_co_u32_e32 v35, vcc, s4, v35
	v_addc_co_u32_e32 v36, vcc, v37, v36, vcc
	v_lshlrev_b64 v[37:38], 3, v[49:50]
	v_mov_b32_e32 v41, s5
	v_add_co_u32_e32 v37, vcc, s4, v37
	v_addc_co_u32_e32 v38, vcc, v39, v38, vcc
	v_lshlrev_b64 v[39:40], 3, v[51:52]
	v_mov_b32_e32 v43, s5
	v_add_co_u32_e32 v39, vcc, s4, v39
	v_addc_co_u32_e32 v40, vcc, v41, v40, vcc
	v_lshlrev_b64 v[41:42], 3, v[53:54]
	v_mov_b32_e32 v45, s5
	v_add_co_u32_e32 v41, vcc, s4, v41
	v_addc_co_u32_e32 v42, vcc, v43, v42, vcc
	v_lshlrev_b64 v[43:44], 3, v[55:56]
	v_mov_b32_e32 v47, s5
	v_add_co_u32_e32 v43, vcc, s4, v43
	v_addc_co_u32_e32 v44, vcc, v45, v44, vcc
	v_lshlrev_b64 v[45:46], 3, v[58:59]
	global_load_dwordx2 v[70:71], v[31:32], off
	v_add_co_u32_e32 v45, vcc, s4, v45
	v_addc_co_u32_e32 v46, vcc, v47, v46, vcc
	v_lshlrev_b64 v[47:48], 3, v[60:61]
	global_load_dwordx2 v[72:73], v[33:34], off
	global_load_dwordx2 v[74:75], v[35:36], off
	s_waitcnt vmcnt(23)
	buffer_store_dword v80, off, s[0:3], 0 offset:104
	buffer_store_dword v81, off, s[0:3], 0 offset:108
	v_mov_b32_e32 v49, s5
	v_add_co_u32_e32 v47, vcc, s4, v47
	global_load_dwordx2 v[55:56], v[37:38], off
	global_load_dwordx2 v[76:77], v[39:40], off
	;; [unrolled: 1-line block ×4, first 2 shown]
	v_addc_co_u32_e32 v48, vcc, v49, v48, vcc
	global_load_dwordx2 v[58:59], v[45:46], off
	global_load_dwordx2 v[60:61], v[47:48], off
	v_lshlrev_b64 v[49:50], 3, v[62:63]
	v_mov_b32_e32 v51, s5
	v_add_co_u32_e32 v49, vcc, s4, v49
	v_addc_co_u32_e32 v50, vcc, v51, v50, vcc
	v_lshlrev_b64 v[51:52], 3, v[64:65]
	v_mov_b32_e32 v53, s5
	v_add_co_u32_e32 v51, vcc, s4, v51
	v_addc_co_u32_e32 v52, vcc, v53, v52, vcc
	;; [unrolled: 4-line block ×3, first 2 shown]
	global_load_dwordx2 v[62:63], v[49:50], off
	global_load_dwordx2 v[64:65], v[51:52], off
	;; [unrolled: 1-line block ×3, first 2 shown]
	s_waitcnt vmcnt(13)
	buffer_store_dword v71, off, s[0:3], 0 offset:116
	buffer_store_dword v70, off, s[0:3], 0 offset:112
	s_waitcnt vmcnt(14)
	buffer_store_dword v72, off, s[0:3], 0 offset:120
	buffer_store_dword v73, off, s[0:3], 0 offset:124
	;; [unrolled: 3-line block ×12, first 2 shown]
	buffer_store_dword v69, off, s[0:3], 0 offset:212
	v_mov_b32_e32 v55, 0
	v_mov_b32_e32 v56, 0xbff00000
	buffer_store_dword v68, off, s[0:3], 0 offset:208
	s_cbranch_scc1 .LBB26_3
; %bb.2:
	v_mov_b32_e32 v55, 0
	v_lshl_add_u32 v66, v0, 3, v55
	buffer_load_dword v55, v66, s[0:3], 0 offen
	buffer_load_dword v56, v66, s[0:3], 0 offen offset:4
	s_waitcnt vmcnt(0)
	v_div_scale_f64 v[58:59], s[4:5], v[55:56], v[55:56], 1.0
	v_rcp_f64_e32 v[60:61], v[58:59]
	v_fma_f64 v[62:63], -v[58:59], v[60:61], 1.0
	v_fma_f64 v[60:61], v[60:61], v[62:63], v[60:61]
	v_div_scale_f64 v[62:63], vcc, 1.0, v[55:56], 1.0
	v_fma_f64 v[64:65], -v[58:59], v[60:61], 1.0
	v_fma_f64 v[60:61], v[60:61], v[64:65], v[60:61]
	v_mul_f64 v[64:65], v[62:63], v[60:61]
	v_fma_f64 v[58:59], -v[58:59], v[64:65], v[62:63]
	v_div_fmas_f64 v[58:59], v[58:59], v[60:61], v[64:65]
	v_div_fixup_f64 v[55:56], v[58:59], v[55:56], 1.0
	buffer_store_dword v55, v66, s[0:3], 0 offen
	buffer_store_dword v56, v66, s[0:3], 0 offen offset:4
	v_xor_b32_e32 v56, 0x80000000, v56
.LBB26_3:
	s_cmpk_eq_i32 s8, 0x79
	v_add_u32_e32 v58, 0xe0, v57
	v_mov_b32_e32 v59, v57
	s_mov_b64 s[4:5], -1
	ds_write_b64 v57, v[55:56]
	s_cbranch_scc1 .LBB26_257
; %bb.4:
	buffer_load_dword v55, off, s[0:3], 0 offset:200
	buffer_load_dword v56, off, s[0:3], 0 offset:204
	s_movk_i32 s12, 0x48
	s_movk_i32 s13, 0x50
	;; [unrolled: 1-line block ×16, first 2 shown]
	v_cmp_eq_u32_e64 s[4:5], 26, v0
	s_waitcnt vmcnt(0)
	ds_write_b64 v58, v[55:56]
	s_waitcnt lgkmcnt(0)
	; wave barrier
	s_and_saveexec_b64 s[6:7], s[4:5]
	s_cbranch_execz .LBB26_10
; %bb.5:
	s_and_b64 vcc, exec, s[10:11]
	s_cbranch_vccz .LBB26_7
; %bb.6:
	buffer_load_dword v55, v59, s[0:3], 0 offen
	buffer_load_dword v56, v59, s[0:3], 0 offen offset:4
	ds_read_b64 v[60:61], v58
	s_waitcnt vmcnt(0) lgkmcnt(0)
	v_mul_f64 v[55:56], v[55:56], v[60:61]
	s_cbranch_execz .LBB26_8
	s_branch .LBB26_9
.LBB26_7:
                                        ; implicit-def: $vgpr55_vgpr56
.LBB26_8:
	ds_read_b64 v[55:56], v58
.LBB26_9:
	v_mov_b32_e32 v60, 0
	ds_read_b64 v[60:61], v60 offset:200
	s_waitcnt lgkmcnt(0)
	v_mul_f64 v[55:56], v[55:56], v[60:61]
	buffer_store_dword v56, off, s[0:3], 0 offset:204
	buffer_store_dword v55, off, s[0:3], 0 offset:200
.LBB26_10:
	s_or_b64 exec, exec, s[6:7]
	buffer_load_dword v55, off, s[0:3], 0 offset:192
	buffer_load_dword v56, off, s[0:3], 0 offset:196
	s_or_b32 s14, 0, 8
	s_mov_b32 s15, 16
	s_mov_b32 s16, 24
	;; [unrolled: 1-line block ×9, first 2 shown]
	v_cmp_lt_u32_e64 s[6:7], 24, v0
	s_waitcnt vmcnt(0)
	ds_write_b64 v58, v[55:56]
	s_waitcnt lgkmcnt(0)
	; wave barrier
	s_and_saveexec_b64 s[8:9], s[6:7]
	s_cbranch_execz .LBB26_16
; %bb.11:
	s_andn2_b64 vcc, exec, s[10:11]
	s_cbranch_vccnz .LBB26_13
; %bb.12:
	buffer_load_dword v55, v59, s[0:3], 0 offen
	buffer_load_dword v56, v59, s[0:3], 0 offen offset:4
	ds_read_b64 v[60:61], v58
	s_waitcnt vmcnt(0) lgkmcnt(0)
	v_mul_f64 v[55:56], v[55:56], v[60:61]
	s_cbranch_execz .LBB26_14
	s_branch .LBB26_15
.LBB26_13:
                                        ; implicit-def: $vgpr55_vgpr56
.LBB26_14:
	ds_read_b64 v[55:56], v58
.LBB26_15:
	buffer_load_dword v64, off, s[0:3], 0 offset:200
	buffer_load_dword v65, off, s[0:3], 0 offset:204
	v_mov_b32_e32 v60, 0
	ds_read2_b64 v[60:63], v60 offset0:24 offset1:53
	s_waitcnt vmcnt(0) lgkmcnt(0)
	v_fma_f64 v[62:63], v[64:65], v[62:63], v[55:56]
	v_cndmask_b32_e64 v56, v56, v63, s[4:5]
	v_cndmask_b32_e64 v55, v55, v62, s[4:5]
	v_mul_f64 v[55:56], v[55:56], v[60:61]
	buffer_store_dword v56, off, s[0:3], 0 offset:196
	buffer_store_dword v55, off, s[0:3], 0 offset:192
.LBB26_16:
	s_or_b64 exec, exec, s[8:9]
	buffer_load_dword v55, off, s[0:3], 0 offset:184
	buffer_load_dword v56, off, s[0:3], 0 offset:188
	v_cmp_lt_u32_e64 s[4:5], 23, v0
	s_waitcnt vmcnt(0)
	ds_write_b64 v58, v[55:56]
	s_waitcnt lgkmcnt(0)
	; wave barrier
	s_and_saveexec_b64 s[8:9], s[4:5]
	s_cbranch_execz .LBB26_26
; %bb.17:
	s_andn2_b64 vcc, exec, s[10:11]
	s_cbranch_vccnz .LBB26_19
; %bb.18:
	buffer_load_dword v55, v59, s[0:3], 0 offen
	buffer_load_dword v56, v59, s[0:3], 0 offen offset:4
	ds_read_b64 v[60:61], v58
	s_waitcnt vmcnt(0) lgkmcnt(0)
	v_mul_f64 v[55:56], v[55:56], v[60:61]
	s_cbranch_execz .LBB26_20
	s_branch .LBB26_21
.LBB26_19:
                                        ; implicit-def: $vgpr55_vgpr56
.LBB26_20:
	ds_read_b64 v[55:56], v58
.LBB26_21:
	s_and_saveexec_b64 s[12:13], s[6:7]
	s_cbranch_execz .LBB26_25
; %bb.22:
	v_subrev_u32_e32 v60, 24, v0
	s_movk_i32 s39, 0x1a0
	s_mov_b64 s[6:7], 0
.LBB26_23:                              ; =>This Inner Loop Header: Depth=1
	v_mov_b32_e32 v63, s38
	buffer_load_dword v61, v63, s[0:3], 0 offen
	buffer_load_dword v62, v63, s[0:3], 0 offen offset:4
	v_mov_b32_e32 v63, s39
	ds_read_b64 v[63:64], v63
	v_add_u32_e32 v60, -1, v60
	s_add_i32 s39, s39, 8
	s_add_i32 s38, s38, 8
	v_cmp_eq_u32_e32 vcc, 0, v60
	s_or_b64 s[6:7], vcc, s[6:7]
	s_waitcnt vmcnt(0) lgkmcnt(0)
	v_fma_f64 v[55:56], v[61:62], v[63:64], v[55:56]
	s_andn2_b64 exec, exec, s[6:7]
	s_cbranch_execnz .LBB26_23
; %bb.24:
	s_or_b64 exec, exec, s[6:7]
.LBB26_25:
	s_or_b64 exec, exec, s[12:13]
	v_mov_b32_e32 v60, 0
	ds_read_b64 v[60:61], v60 offset:184
	s_waitcnt lgkmcnt(0)
	v_mul_f64 v[55:56], v[55:56], v[60:61]
	buffer_store_dword v56, off, s[0:3], 0 offset:188
	buffer_store_dword v55, off, s[0:3], 0 offset:184
.LBB26_26:
	s_or_b64 exec, exec, s[8:9]
	buffer_load_dword v55, off, s[0:3], 0 offset:176
	buffer_load_dword v56, off, s[0:3], 0 offset:180
	v_cmp_lt_u32_e64 s[6:7], 22, v0
	s_waitcnt vmcnt(0)
	ds_write_b64 v58, v[55:56]
	s_waitcnt lgkmcnt(0)
	; wave barrier
	s_and_saveexec_b64 s[8:9], s[6:7]
	s_cbranch_execz .LBB26_36
; %bb.27:
	s_andn2_b64 vcc, exec, s[10:11]
	s_cbranch_vccnz .LBB26_29
; %bb.28:
	buffer_load_dword v55, v59, s[0:3], 0 offen
	buffer_load_dword v56, v59, s[0:3], 0 offen offset:4
	ds_read_b64 v[60:61], v58
	s_waitcnt vmcnt(0) lgkmcnt(0)
	v_mul_f64 v[55:56], v[55:56], v[60:61]
	s_cbranch_execz .LBB26_30
	s_branch .LBB26_31
.LBB26_29:
                                        ; implicit-def: $vgpr55_vgpr56
.LBB26_30:
	ds_read_b64 v[55:56], v58
.LBB26_31:
	s_and_saveexec_b64 s[12:13], s[4:5]
	s_cbranch_execz .LBB26_35
; %bb.32:
	v_subrev_u32_e32 v60, 23, v0
	s_movk_i32 s38, 0x198
	s_mov_b64 s[4:5], 0
.LBB26_33:                              ; =>This Inner Loop Header: Depth=1
	v_mov_b32_e32 v63, s37
	buffer_load_dword v61, v63, s[0:3], 0 offen
	buffer_load_dword v62, v63, s[0:3], 0 offen offset:4
	v_mov_b32_e32 v63, s38
	ds_read_b64 v[63:64], v63
	v_add_u32_e32 v60, -1, v60
	s_add_i32 s38, s38, 8
	s_add_i32 s37, s37, 8
	v_cmp_eq_u32_e32 vcc, 0, v60
	s_or_b64 s[4:5], vcc, s[4:5]
	s_waitcnt vmcnt(0) lgkmcnt(0)
	v_fma_f64 v[55:56], v[61:62], v[63:64], v[55:56]
	s_andn2_b64 exec, exec, s[4:5]
	s_cbranch_execnz .LBB26_33
; %bb.34:
	s_or_b64 exec, exec, s[4:5]
.LBB26_35:
	s_or_b64 exec, exec, s[12:13]
	v_mov_b32_e32 v60, 0
	ds_read_b64 v[60:61], v60 offset:176
	s_waitcnt lgkmcnt(0)
	v_mul_f64 v[55:56], v[55:56], v[60:61]
	buffer_store_dword v56, off, s[0:3], 0 offset:180
	buffer_store_dword v55, off, s[0:3], 0 offset:176
.LBB26_36:
	;; [unrolled: 58-line block ×8, first 2 shown]
	s_or_b64 exec, exec, s[8:9]
	buffer_load_dword v55, off, s[0:3], 0 offset:120
	buffer_load_dword v56, off, s[0:3], 0 offset:124
	v_cmp_lt_u32_e64 s[4:5], 15, v0
	s_waitcnt vmcnt(0)
	ds_write_b64 v58, v[55:56]
	s_waitcnt lgkmcnt(0)
	; wave barrier
	s_and_saveexec_b64 s[8:9], s[4:5]
	s_cbranch_execz .LBB26_106
; %bb.97:
	s_andn2_b64 vcc, exec, s[10:11]
	s_cbranch_vccnz .LBB26_99
; %bb.98:
	buffer_load_dword v55, v59, s[0:3], 0 offen
	buffer_load_dword v56, v59, s[0:3], 0 offen offset:4
	ds_read_b64 v[60:61], v58
	s_waitcnt vmcnt(0) lgkmcnt(0)
	v_mul_f64 v[55:56], v[55:56], v[60:61]
	s_cbranch_execz .LBB26_100
	s_branch .LBB26_101
.LBB26_99:
                                        ; implicit-def: $vgpr55_vgpr56
.LBB26_100:
	ds_read_b64 v[55:56], v58
.LBB26_101:
	s_and_saveexec_b64 s[12:13], s[6:7]
	s_cbranch_execz .LBB26_105
; %bb.102:
	v_add_u32_e32 v60, -16, v0
	s_movk_i32 s30, 0x160
	s_mov_b64 s[6:7], 0
.LBB26_103:                             ; =>This Inner Loop Header: Depth=1
	v_mov_b32_e32 v63, s29
	buffer_load_dword v61, v63, s[0:3], 0 offen
	buffer_load_dword v62, v63, s[0:3], 0 offen offset:4
	v_mov_b32_e32 v63, s30
	ds_read_b64 v[63:64], v63
	v_add_u32_e32 v60, -1, v60
	s_add_i32 s30, s30, 8
	s_add_i32 s29, s29, 8
	v_cmp_eq_u32_e32 vcc, 0, v60
	s_or_b64 s[6:7], vcc, s[6:7]
	s_waitcnt vmcnt(0) lgkmcnt(0)
	v_fma_f64 v[55:56], v[61:62], v[63:64], v[55:56]
	s_andn2_b64 exec, exec, s[6:7]
	s_cbranch_execnz .LBB26_103
; %bb.104:
	s_or_b64 exec, exec, s[6:7]
.LBB26_105:
	s_or_b64 exec, exec, s[12:13]
	v_mov_b32_e32 v60, 0
	ds_read_b64 v[60:61], v60 offset:120
	s_waitcnt lgkmcnt(0)
	v_mul_f64 v[55:56], v[55:56], v[60:61]
	buffer_store_dword v56, off, s[0:3], 0 offset:124
	buffer_store_dword v55, off, s[0:3], 0 offset:120
.LBB26_106:
	s_or_b64 exec, exec, s[8:9]
	buffer_load_dword v55, off, s[0:3], 0 offset:112
	buffer_load_dword v56, off, s[0:3], 0 offset:116
	v_cmp_lt_u32_e64 s[6:7], 14, v0
	s_waitcnt vmcnt(0)
	ds_write_b64 v58, v[55:56]
	s_waitcnt lgkmcnt(0)
	; wave barrier
	s_and_saveexec_b64 s[8:9], s[6:7]
	s_cbranch_execz .LBB26_116
; %bb.107:
	s_andn2_b64 vcc, exec, s[10:11]
	s_cbranch_vccnz .LBB26_109
; %bb.108:
	buffer_load_dword v55, v59, s[0:3], 0 offen
	buffer_load_dword v56, v59, s[0:3], 0 offen offset:4
	ds_read_b64 v[60:61], v58
	s_waitcnt vmcnt(0) lgkmcnt(0)
	v_mul_f64 v[55:56], v[55:56], v[60:61]
	s_cbranch_execz .LBB26_110
	s_branch .LBB26_111
.LBB26_109:
                                        ; implicit-def: $vgpr55_vgpr56
.LBB26_110:
	ds_read_b64 v[55:56], v58
.LBB26_111:
	s_and_saveexec_b64 s[12:13], s[4:5]
	s_cbranch_execz .LBB26_115
; %bb.112:
	v_add_u32_e32 v60, -15, v0
	s_movk_i32 s29, 0x158
	s_mov_b64 s[4:5], 0
.LBB26_113:                             ; =>This Inner Loop Header: Depth=1
	v_mov_b32_e32 v63, s28
	buffer_load_dword v61, v63, s[0:3], 0 offen
	buffer_load_dword v62, v63, s[0:3], 0 offen offset:4
	v_mov_b32_e32 v63, s29
	ds_read_b64 v[63:64], v63
	v_add_u32_e32 v60, -1, v60
	s_add_i32 s29, s29, 8
	s_add_i32 s28, s28, 8
	v_cmp_eq_u32_e32 vcc, 0, v60
	s_or_b64 s[4:5], vcc, s[4:5]
	s_waitcnt vmcnt(0) lgkmcnt(0)
	v_fma_f64 v[55:56], v[61:62], v[63:64], v[55:56]
	s_andn2_b64 exec, exec, s[4:5]
	s_cbranch_execnz .LBB26_113
; %bb.114:
	s_or_b64 exec, exec, s[4:5]
.LBB26_115:
	s_or_b64 exec, exec, s[12:13]
	v_mov_b32_e32 v60, 0
	ds_read_b64 v[60:61], v60 offset:112
	s_waitcnt lgkmcnt(0)
	v_mul_f64 v[55:56], v[55:56], v[60:61]
	buffer_store_dword v56, off, s[0:3], 0 offset:116
	buffer_store_dword v55, off, s[0:3], 0 offset:112
.LBB26_116:
	;; [unrolled: 58-line block ×15, first 2 shown]
	s_or_b64 exec, exec, s[8:9]
	buffer_load_dword v55, off, s[0:3], 0
	buffer_load_dword v56, off, s[0:3], 0 offset:4
	v_cmp_ne_u32_e32 vcc, 0, v0
	s_waitcnt vmcnt(0)
	ds_write_b64 v58, v[55:56]
	s_waitcnt lgkmcnt(0)
	; wave barrier
	s_and_saveexec_b64 s[6:7], vcc
	s_cbranch_execz .LBB26_256
; %bb.247:
	s_andn2_b64 vcc, exec, s[10:11]
	s_cbranch_vccnz .LBB26_249
; %bb.248:
	buffer_load_dword v55, v59, s[0:3], 0 offen
	buffer_load_dword v56, v59, s[0:3], 0 offen offset:4
	ds_read_b64 v[60:61], v58
	s_waitcnt vmcnt(0) lgkmcnt(0)
	v_mul_f64 v[55:56], v[55:56], v[60:61]
	s_cbranch_execz .LBB26_250
	s_branch .LBB26_251
.LBB26_249:
                                        ; implicit-def: $vgpr55_vgpr56
.LBB26_250:
	ds_read_b64 v[55:56], v58
.LBB26_251:
	s_and_saveexec_b64 s[8:9], s[4:5]
	s_cbranch_execz .LBB26_255
; %bb.252:
	v_add_u32_e32 v60, -1, v0
	s_movk_i32 s12, 0xe8
	s_mov_b64 s[4:5], 0
.LBB26_253:                             ; =>This Inner Loop Header: Depth=1
	v_mov_b32_e32 v63, s14
	buffer_load_dword v61, v63, s[0:3], 0 offen
	buffer_load_dword v62, v63, s[0:3], 0 offen offset:4
	v_mov_b32_e32 v63, s12
	ds_read_b64 v[63:64], v63
	v_add_u32_e32 v60, -1, v60
	s_add_i32 s12, s12, 8
	s_add_i32 s14, s14, 8
	v_cmp_eq_u32_e32 vcc, 0, v60
	s_or_b64 s[4:5], vcc, s[4:5]
	s_waitcnt vmcnt(0) lgkmcnt(0)
	v_fma_f64 v[55:56], v[61:62], v[63:64], v[55:56]
	s_andn2_b64 exec, exec, s[4:5]
	s_cbranch_execnz .LBB26_253
; %bb.254:
	s_or_b64 exec, exec, s[4:5]
.LBB26_255:
	s_or_b64 exec, exec, s[8:9]
	v_mov_b32_e32 v60, 0
	ds_read_b64 v[60:61], v60
	s_waitcnt lgkmcnt(0)
	v_mul_f64 v[55:56], v[55:56], v[60:61]
	buffer_store_dword v56, off, s[0:3], 0 offset:4
	buffer_store_dword v55, off, s[0:3], 0
.LBB26_256:
	s_or_b64 exec, exec, s[6:7]
	s_mov_b64 s[4:5], 0
.LBB26_257:
	s_and_b64 vcc, exec, s[4:5]
	s_cbranch_vccz .LBB26_509
; %bb.258:
	buffer_load_dword v55, off, s[0:3], 0 offset:8
	buffer_load_dword v56, off, s[0:3], 0 offset:12
	v_cmp_eq_u32_e64 s[6:7], 0, v0
	s_waitcnt vmcnt(0)
	ds_write_b64 v58, v[55:56]
	s_waitcnt lgkmcnt(0)
	; wave barrier
	s_and_saveexec_b64 s[4:5], s[6:7]
	s_cbranch_execz .LBB26_264
; %bb.259:
	s_and_b64 vcc, exec, s[10:11]
	s_cbranch_vccz .LBB26_261
; %bb.260:
	buffer_load_dword v55, v59, s[0:3], 0 offen
	buffer_load_dword v56, v59, s[0:3], 0 offen offset:4
	ds_read_b64 v[60:61], v58
	s_waitcnt vmcnt(0) lgkmcnt(0)
	v_mul_f64 v[55:56], v[55:56], v[60:61]
	s_cbranch_execz .LBB26_262
	s_branch .LBB26_263
.LBB26_261:
                                        ; implicit-def: $vgpr55_vgpr56
.LBB26_262:
	ds_read_b64 v[55:56], v58
.LBB26_263:
	v_mov_b32_e32 v60, 0
	ds_read_b64 v[60:61], v60 offset:8
	s_waitcnt lgkmcnt(0)
	v_mul_f64 v[55:56], v[55:56], v[60:61]
	buffer_store_dword v56, off, s[0:3], 0 offset:12
	buffer_store_dword v55, off, s[0:3], 0 offset:8
.LBB26_264:
	s_or_b64 exec, exec, s[4:5]
	buffer_load_dword v55, off, s[0:3], 0 offset:16
	buffer_load_dword v56, off, s[0:3], 0 offset:20
	v_cndmask_b32_e64 v60, 0, 1, s[10:11]
	v_cmp_gt_u32_e32 vcc, 2, v0
	v_cmp_ne_u32_e64 s[4:5], 1, v60
	s_waitcnt vmcnt(0)
	ds_write_b64 v58, v[55:56]
	s_waitcnt lgkmcnt(0)
	; wave barrier
	s_and_saveexec_b64 s[8:9], vcc
	s_cbranch_execz .LBB26_270
; %bb.265:
	s_and_b64 vcc, exec, s[4:5]
	s_cbranch_vccnz .LBB26_267
; %bb.266:
	buffer_load_dword v55, v59, s[0:3], 0 offen
	buffer_load_dword v56, v59, s[0:3], 0 offen offset:4
	ds_read_b64 v[60:61], v58
	s_waitcnt vmcnt(0) lgkmcnt(0)
	v_mul_f64 v[55:56], v[55:56], v[60:61]
	s_cbranch_execz .LBB26_268
	s_branch .LBB26_269
.LBB26_267:
                                        ; implicit-def: $vgpr55_vgpr56
.LBB26_268:
	ds_read_b64 v[55:56], v58
.LBB26_269:
	buffer_load_dword v64, off, s[0:3], 0 offset:8
	buffer_load_dword v65, off, s[0:3], 0 offset:12
	v_mov_b32_e32 v60, 0
	ds_read2_b64 v[60:63], v60 offset0:2 offset1:29
	s_waitcnt vmcnt(0) lgkmcnt(0)
	v_fma_f64 v[62:63], v[64:65], v[62:63], v[55:56]
	v_cndmask_b32_e64 v56, v56, v63, s[6:7]
	v_cndmask_b32_e64 v55, v55, v62, s[6:7]
	v_mul_f64 v[55:56], v[55:56], v[60:61]
	buffer_store_dword v56, off, s[0:3], 0 offset:20
	buffer_store_dword v55, off, s[0:3], 0 offset:16
.LBB26_270:
	s_or_b64 exec, exec, s[8:9]
	buffer_load_dword v55, off, s[0:3], 0 offset:24
	buffer_load_dword v56, off, s[0:3], 0 offset:28
	v_cmp_gt_u32_e32 vcc, 3, v0
	s_waitcnt vmcnt(0)
	ds_write_b64 v58, v[55:56]
	s_waitcnt lgkmcnt(0)
	; wave barrier
	s_and_saveexec_b64 s[8:9], vcc
	s_cbranch_execz .LBB26_278
; %bb.271:
	s_and_b64 vcc, exec, s[4:5]
	s_cbranch_vccnz .LBB26_273
; %bb.272:
	buffer_load_dword v55, v59, s[0:3], 0 offen
	buffer_load_dword v56, v59, s[0:3], 0 offen offset:4
	ds_read_b64 v[60:61], v58
	s_waitcnt vmcnt(0) lgkmcnt(0)
	v_mul_f64 v[55:56], v[55:56], v[60:61]
	s_cbranch_execz .LBB26_274
	s_branch .LBB26_275
.LBB26_273:
                                        ; implicit-def: $vgpr55_vgpr56
.LBB26_274:
	ds_read_b64 v[55:56], v58
.LBB26_275:
	v_cmp_ne_u32_e32 vcc, 2, v0
	s_and_saveexec_b64 s[10:11], vcc
	s_cbranch_execz .LBB26_277
; %bb.276:
	buffer_load_dword v60, v59, s[0:3], 0 offen offset:8
	buffer_load_dword v61, v59, s[0:3], 0 offen offset:12
	buffer_load_dword v62, off, s[0:3], 0 offset:16
	buffer_load_dword v63, off, s[0:3], 0 offset:20
	ds_read_b64 v[64:65], v58 offset:8
	v_mov_b32_e32 v66, 0
	ds_read_b64 v[66:67], v66 offset:240
	s_waitcnt vmcnt(2) lgkmcnt(1)
	v_fma_f64 v[55:56], v[60:61], v[64:65], v[55:56]
	s_waitcnt vmcnt(0) lgkmcnt(0)
	v_fma_f64 v[60:61], v[62:63], v[66:67], v[55:56]
	v_cndmask_b32_e64 v56, v56, v61, s[6:7]
	v_cndmask_b32_e64 v55, v55, v60, s[6:7]
.LBB26_277:
	s_or_b64 exec, exec, s[10:11]
	v_mov_b32_e32 v60, 0
	ds_read_b64 v[60:61], v60 offset:24
	s_waitcnt lgkmcnt(0)
	v_mul_f64 v[55:56], v[55:56], v[60:61]
	buffer_store_dword v56, off, s[0:3], 0 offset:28
	buffer_store_dword v55, off, s[0:3], 0 offset:24
.LBB26_278:
	s_or_b64 exec, exec, s[8:9]
	buffer_load_dword v55, off, s[0:3], 0 offset:32
	buffer_load_dword v56, off, s[0:3], 0 offset:36
	v_cmp_gt_u32_e32 vcc, 4, v0
	s_waitcnt vmcnt(0)
	ds_write_b64 v58, v[55:56]
	s_waitcnt lgkmcnt(0)
	; wave barrier
	s_and_saveexec_b64 s[6:7], vcc
	s_cbranch_execz .LBB26_288
; %bb.279:
	s_and_b64 vcc, exec, s[4:5]
	s_cbranch_vccnz .LBB26_281
; %bb.280:
	buffer_load_dword v55, v59, s[0:3], 0 offen
	buffer_load_dword v56, v59, s[0:3], 0 offen offset:4
	ds_read_b64 v[60:61], v58
	s_waitcnt vmcnt(0) lgkmcnt(0)
	v_mul_f64 v[55:56], v[55:56], v[60:61]
	s_cbranch_execz .LBB26_282
	s_branch .LBB26_283
.LBB26_281:
                                        ; implicit-def: $vgpr55_vgpr56
.LBB26_282:
	ds_read_b64 v[55:56], v58
.LBB26_283:
	v_cmp_ne_u32_e32 vcc, 3, v0
	s_and_saveexec_b64 s[8:9], vcc
	s_cbranch_execz .LBB26_287
; %bb.284:
	s_mov_b32 s10, 0
	v_add_u32_e32 v60, 0xe8, v57
	v_add3_u32 v61, v57, s10, 8
	s_mov_b64 s[10:11], 0
	v_mov_b32_e32 v62, v0
.LBB26_285:                             ; =>This Inner Loop Header: Depth=1
	buffer_load_dword v63, v61, s[0:3], 0 offen
	buffer_load_dword v64, v61, s[0:3], 0 offen offset:4
	ds_read_b64 v[65:66], v60
	v_add_u32_e32 v62, 1, v62
	v_cmp_lt_u32_e32 vcc, 2, v62
	v_add_u32_e32 v60, 8, v60
	s_or_b64 s[10:11], vcc, s[10:11]
	v_add_u32_e32 v61, 8, v61
	s_waitcnt vmcnt(0) lgkmcnt(0)
	v_fma_f64 v[55:56], v[63:64], v[65:66], v[55:56]
	s_andn2_b64 exec, exec, s[10:11]
	s_cbranch_execnz .LBB26_285
; %bb.286:
	s_or_b64 exec, exec, s[10:11]
.LBB26_287:
	s_or_b64 exec, exec, s[8:9]
	v_mov_b32_e32 v60, 0
	ds_read_b64 v[60:61], v60 offset:32
	s_waitcnt lgkmcnt(0)
	v_mul_f64 v[55:56], v[55:56], v[60:61]
	buffer_store_dword v56, off, s[0:3], 0 offset:36
	buffer_store_dword v55, off, s[0:3], 0 offset:32
.LBB26_288:
	s_or_b64 exec, exec, s[6:7]
	buffer_load_dword v55, off, s[0:3], 0 offset:40
	buffer_load_dword v56, off, s[0:3], 0 offset:44
	v_cmp_gt_u32_e32 vcc, 5, v0
	s_waitcnt vmcnt(0)
	ds_write_b64 v58, v[55:56]
	s_waitcnt lgkmcnt(0)
	; wave barrier
	s_and_saveexec_b64 s[6:7], vcc
	s_cbranch_execz .LBB26_298
; %bb.289:
	s_and_b64 vcc, exec, s[4:5]
	s_cbranch_vccnz .LBB26_291
; %bb.290:
	buffer_load_dword v55, v59, s[0:3], 0 offen
	buffer_load_dword v56, v59, s[0:3], 0 offen offset:4
	ds_read_b64 v[60:61], v58
	s_waitcnt vmcnt(0) lgkmcnt(0)
	v_mul_f64 v[55:56], v[55:56], v[60:61]
	s_cbranch_execz .LBB26_292
	s_branch .LBB26_293
.LBB26_291:
                                        ; implicit-def: $vgpr55_vgpr56
.LBB26_292:
	ds_read_b64 v[55:56], v58
.LBB26_293:
	v_cmp_ne_u32_e32 vcc, 4, v0
	s_and_saveexec_b64 s[8:9], vcc
	s_cbranch_execz .LBB26_297
; %bb.294:
	s_mov_b32 s10, 0
	v_add_u32_e32 v60, 0xe8, v57
	v_add3_u32 v61, v57, s10, 8
	s_mov_b64 s[10:11], 0
	v_mov_b32_e32 v62, v0
.LBB26_295:                             ; =>This Inner Loop Header: Depth=1
	buffer_load_dword v63, v61, s[0:3], 0 offen
	buffer_load_dword v64, v61, s[0:3], 0 offen offset:4
	ds_read_b64 v[65:66], v60
	v_add_u32_e32 v62, 1, v62
	v_cmp_lt_u32_e32 vcc, 3, v62
	v_add_u32_e32 v60, 8, v60
	s_or_b64 s[10:11], vcc, s[10:11]
	v_add_u32_e32 v61, 8, v61
	s_waitcnt vmcnt(0) lgkmcnt(0)
	v_fma_f64 v[55:56], v[63:64], v[65:66], v[55:56]
	s_andn2_b64 exec, exec, s[10:11]
	s_cbranch_execnz .LBB26_295
; %bb.296:
	s_or_b64 exec, exec, s[10:11]
.LBB26_297:
	s_or_b64 exec, exec, s[8:9]
	v_mov_b32_e32 v60, 0
	ds_read_b64 v[60:61], v60 offset:40
	s_waitcnt lgkmcnt(0)
	v_mul_f64 v[55:56], v[55:56], v[60:61]
	buffer_store_dword v56, off, s[0:3], 0 offset:44
	buffer_store_dword v55, off, s[0:3], 0 offset:40
.LBB26_298:
	;; [unrolled: 59-line block ×21, first 2 shown]
	s_or_b64 exec, exec, s[6:7]
	buffer_load_dword v55, off, s[0:3], 0 offset:200
	buffer_load_dword v56, off, s[0:3], 0 offset:204
	v_cmp_gt_u32_e64 s[6:7], 25, v0
	s_waitcnt vmcnt(0)
	ds_write_b64 v58, v[55:56]
	s_waitcnt lgkmcnt(0)
	; wave barrier
	s_and_saveexec_b64 s[8:9], s[6:7]
	s_cbranch_execz .LBB26_498
; %bb.489:
	s_and_b64 vcc, exec, s[4:5]
	s_cbranch_vccnz .LBB26_491
; %bb.490:
	buffer_load_dword v55, v59, s[0:3], 0 offen
	buffer_load_dword v56, v59, s[0:3], 0 offen offset:4
	ds_read_b64 v[60:61], v58
	s_waitcnt vmcnt(0) lgkmcnt(0)
	v_mul_f64 v[55:56], v[55:56], v[60:61]
	s_cbranch_execz .LBB26_492
	s_branch .LBB26_493
.LBB26_491:
                                        ; implicit-def: $vgpr55_vgpr56
.LBB26_492:
	ds_read_b64 v[55:56], v58
.LBB26_493:
	v_cmp_ne_u32_e32 vcc, 24, v0
	s_and_saveexec_b64 s[10:11], vcc
	s_cbranch_execz .LBB26_497
; %bb.494:
	s_mov_b32 s12, 0
	v_add_u32_e32 v60, 0xe8, v57
	v_add3_u32 v61, v57, s12, 8
	s_mov_b64 s[12:13], 0
	v_mov_b32_e32 v62, v0
.LBB26_495:                             ; =>This Inner Loop Header: Depth=1
	buffer_load_dword v63, v61, s[0:3], 0 offen
	buffer_load_dword v64, v61, s[0:3], 0 offen offset:4
	ds_read_b64 v[65:66], v60
	v_add_u32_e32 v62, 1, v62
	v_cmp_lt_u32_e32 vcc, 23, v62
	v_add_u32_e32 v60, 8, v60
	s_or_b64 s[12:13], vcc, s[12:13]
	v_add_u32_e32 v61, 8, v61
	s_waitcnt vmcnt(0) lgkmcnt(0)
	v_fma_f64 v[55:56], v[63:64], v[65:66], v[55:56]
	s_andn2_b64 exec, exec, s[12:13]
	s_cbranch_execnz .LBB26_495
; %bb.496:
	s_or_b64 exec, exec, s[12:13]
.LBB26_497:
	s_or_b64 exec, exec, s[10:11]
	v_mov_b32_e32 v60, 0
	ds_read_b64 v[60:61], v60 offset:200
	s_waitcnt lgkmcnt(0)
	v_mul_f64 v[55:56], v[55:56], v[60:61]
	buffer_store_dword v56, off, s[0:3], 0 offset:204
	buffer_store_dword v55, off, s[0:3], 0 offset:200
.LBB26_498:
	s_or_b64 exec, exec, s[8:9]
	buffer_load_dword v55, off, s[0:3], 0 offset:208
	buffer_load_dword v56, off, s[0:3], 0 offset:212
	v_cmp_ne_u32_e32 vcc, 26, v0
	s_waitcnt vmcnt(0)
	ds_write_b64 v58, v[55:56]
	s_waitcnt lgkmcnt(0)
	; wave barrier
	s_and_saveexec_b64 s[8:9], vcc
	s_cbranch_execz .LBB26_508
; %bb.499:
	s_and_b64 vcc, exec, s[4:5]
	s_cbranch_vccnz .LBB26_501
; %bb.500:
	buffer_load_dword v55, v59, s[0:3], 0 offen
	buffer_load_dword v56, v59, s[0:3], 0 offen offset:4
	ds_read_b64 v[59:60], v58
	s_waitcnt vmcnt(0) lgkmcnt(0)
	v_mul_f64 v[55:56], v[55:56], v[59:60]
	s_cbranch_execz .LBB26_502
	s_branch .LBB26_503
.LBB26_501:
                                        ; implicit-def: $vgpr55_vgpr56
.LBB26_502:
	ds_read_b64 v[55:56], v58
.LBB26_503:
	s_and_saveexec_b64 s[4:5], s[6:7]
	s_cbranch_execz .LBB26_507
; %bb.504:
	s_mov_b32 s6, 0
	v_add_u32_e32 v58, 0xe8, v57
	v_add3_u32 v57, v57, s6, 8
	s_mov_b64 s[6:7], 0
.LBB26_505:                             ; =>This Inner Loop Header: Depth=1
	buffer_load_dword v59, v57, s[0:3], 0 offen
	buffer_load_dword v60, v57, s[0:3], 0 offen offset:4
	ds_read_b64 v[61:62], v58
	v_add_u32_e32 v0, 1, v0
	v_cmp_lt_u32_e32 vcc, 24, v0
	v_add_u32_e32 v58, 8, v58
	s_or_b64 s[6:7], vcc, s[6:7]
	v_add_u32_e32 v57, 8, v57
	s_waitcnt vmcnt(0) lgkmcnt(0)
	v_fma_f64 v[55:56], v[59:60], v[61:62], v[55:56]
	s_andn2_b64 exec, exec, s[6:7]
	s_cbranch_execnz .LBB26_505
; %bb.506:
	s_or_b64 exec, exec, s[6:7]
.LBB26_507:
	s_or_b64 exec, exec, s[4:5]
	v_mov_b32_e32 v0, 0
	ds_read_b64 v[57:58], v0 offset:208
	s_waitcnt lgkmcnt(0)
	v_mul_f64 v[55:56], v[55:56], v[57:58]
	buffer_store_dword v56, off, s[0:3], 0 offset:212
	buffer_store_dword v55, off, s[0:3], 0 offset:208
.LBB26_508:
	s_or_b64 exec, exec, s[8:9]
.LBB26_509:
	buffer_load_dword v55, off, s[0:3], 0
	buffer_load_dword v56, off, s[0:3], 0 offset:4
	buffer_load_dword v57, off, s[0:3], 0 offset:8
	;; [unrolled: 1-line block ×23, first 2 shown]
	s_waitcnt vmcnt(22)
	global_store_dwordx2 v[15:16], v[55:56], off
	s_waitcnt vmcnt(21)
	global_store_dwordx2 v[19:20], v[57:58], off
	buffer_load_dword v15, off, s[0:3], 0 offset:96
	buffer_load_dword v16, off, s[0:3], 0 offset:100
	s_nop 0
	buffer_load_dword v19, off, s[0:3], 0 offset:104
	buffer_load_dword v20, off, s[0:3], 0 offset:108
	buffer_load_dword v55, off, s[0:3], 0 offset:112
	buffer_load_dword v56, off, s[0:3], 0 offset:116
	buffer_load_dword v57, off, s[0:3], 0 offset:120
	buffer_load_dword v58, off, s[0:3], 0 offset:124
	s_waitcnt vmcnt(28)
	global_store_dwordx2 v[7:8], v[59:60], off
	s_waitcnt vmcnt(27)
	global_store_dwordx2 v[11:12], v[61:62], off
	buffer_load_dword v7, off, s[0:3], 0 offset:128
	buffer_load_dword v8, off, s[0:3], 0 offset:132
	s_nop 0
	buffer_load_dword v11, off, s[0:3], 0 offset:136
	buffer_load_dword v12, off, s[0:3], 0 offset:140
	buffer_load_dword v59, off, s[0:3], 0 offset:144
	buffer_load_dword v60, off, s[0:3], 0 offset:148
	buffer_load_dword v61, off, s[0:3], 0 offset:152
	buffer_load_dword v62, off, s[0:3], 0 offset:156
	;; [unrolled: 13-line block ×3, first 2 shown]
	s_waitcnt vmcnt(40)
	global_store_dwordx2 v[13:14], v[67:68], off
	buffer_load_dword v13, off, s[0:3], 0 offset:192
	s_nop 0
	buffer_load_dword v14, off, s[0:3], 0 offset:196
	buffer_load_dword v67, off, s[0:3], 0 offset:200
	;; [unrolled: 1-line block ×5, first 2 shown]
	s_waitcnt vmcnt(45)
	global_store_dwordx2 v[5:6], v[69:70], off
	s_waitcnt vmcnt(38)
	global_store_dwordx2 v[9:10], v[71:72], off
	global_store_dwordx2 v[17:18], v[73:74], off
	;; [unrolled: 1-line block ×4, first 2 shown]
	s_waitcnt vmcnt(38)
	global_store_dwordx2 v[25:26], v[15:16], off
	s_waitcnt vmcnt(37)
	global_store_dwordx2 v[29:30], v[19:20], off
	;; [unrolled: 2-line block ×15, first 2 shown]
.LBB26_510:
	s_endpgm
	.section	.rodata,"a",@progbits
	.p2align	6, 0x0
	.amdhsa_kernel _ZN9rocsolver6v33100L18trti2_kernel_smallILi27EdPdEEv13rocblas_fill_17rocblas_diagonal_T1_iil
		.amdhsa_group_segment_fixed_size 440
		.amdhsa_private_segment_fixed_size 224
		.amdhsa_kernarg_size 32
		.amdhsa_user_sgpr_count 6
		.amdhsa_user_sgpr_private_segment_buffer 1
		.amdhsa_user_sgpr_dispatch_ptr 0
		.amdhsa_user_sgpr_queue_ptr 0
		.amdhsa_user_sgpr_kernarg_segment_ptr 1
		.amdhsa_user_sgpr_dispatch_id 0
		.amdhsa_user_sgpr_flat_scratch_init 0
		.amdhsa_user_sgpr_private_segment_size 0
		.amdhsa_uses_dynamic_stack 0
		.amdhsa_system_sgpr_private_segment_wavefront_offset 1
		.amdhsa_system_sgpr_workgroup_id_x 1
		.amdhsa_system_sgpr_workgroup_id_y 0
		.amdhsa_system_sgpr_workgroup_id_z 0
		.amdhsa_system_sgpr_workgroup_info 0
		.amdhsa_system_vgpr_workitem_id 0
		.amdhsa_next_free_vgpr 82
		.amdhsa_next_free_sgpr 40
		.amdhsa_reserve_vcc 1
		.amdhsa_reserve_flat_scratch 0
		.amdhsa_float_round_mode_32 0
		.amdhsa_float_round_mode_16_64 0
		.amdhsa_float_denorm_mode_32 3
		.amdhsa_float_denorm_mode_16_64 3
		.amdhsa_dx10_clamp 1
		.amdhsa_ieee_mode 1
		.amdhsa_fp16_overflow 0
		.amdhsa_exception_fp_ieee_invalid_op 0
		.amdhsa_exception_fp_denorm_src 0
		.amdhsa_exception_fp_ieee_div_zero 0
		.amdhsa_exception_fp_ieee_overflow 0
		.amdhsa_exception_fp_ieee_underflow 0
		.amdhsa_exception_fp_ieee_inexact 0
		.amdhsa_exception_int_div_zero 0
	.end_amdhsa_kernel
	.section	.text._ZN9rocsolver6v33100L18trti2_kernel_smallILi27EdPdEEv13rocblas_fill_17rocblas_diagonal_T1_iil,"axG",@progbits,_ZN9rocsolver6v33100L18trti2_kernel_smallILi27EdPdEEv13rocblas_fill_17rocblas_diagonal_T1_iil,comdat
.Lfunc_end26:
	.size	_ZN9rocsolver6v33100L18trti2_kernel_smallILi27EdPdEEv13rocblas_fill_17rocblas_diagonal_T1_iil, .Lfunc_end26-_ZN9rocsolver6v33100L18trti2_kernel_smallILi27EdPdEEv13rocblas_fill_17rocblas_diagonal_T1_iil
                                        ; -- End function
	.set _ZN9rocsolver6v33100L18trti2_kernel_smallILi27EdPdEEv13rocblas_fill_17rocblas_diagonal_T1_iil.num_vgpr, 82
	.set _ZN9rocsolver6v33100L18trti2_kernel_smallILi27EdPdEEv13rocblas_fill_17rocblas_diagonal_T1_iil.num_agpr, 0
	.set _ZN9rocsolver6v33100L18trti2_kernel_smallILi27EdPdEEv13rocblas_fill_17rocblas_diagonal_T1_iil.numbered_sgpr, 40
	.set _ZN9rocsolver6v33100L18trti2_kernel_smallILi27EdPdEEv13rocblas_fill_17rocblas_diagonal_T1_iil.num_named_barrier, 0
	.set _ZN9rocsolver6v33100L18trti2_kernel_smallILi27EdPdEEv13rocblas_fill_17rocblas_diagonal_T1_iil.private_seg_size, 224
	.set _ZN9rocsolver6v33100L18trti2_kernel_smallILi27EdPdEEv13rocblas_fill_17rocblas_diagonal_T1_iil.uses_vcc, 1
	.set _ZN9rocsolver6v33100L18trti2_kernel_smallILi27EdPdEEv13rocblas_fill_17rocblas_diagonal_T1_iil.uses_flat_scratch, 0
	.set _ZN9rocsolver6v33100L18trti2_kernel_smallILi27EdPdEEv13rocblas_fill_17rocblas_diagonal_T1_iil.has_dyn_sized_stack, 0
	.set _ZN9rocsolver6v33100L18trti2_kernel_smallILi27EdPdEEv13rocblas_fill_17rocblas_diagonal_T1_iil.has_recursion, 0
	.set _ZN9rocsolver6v33100L18trti2_kernel_smallILi27EdPdEEv13rocblas_fill_17rocblas_diagonal_T1_iil.has_indirect_call, 0
	.section	.AMDGPU.csdata,"",@progbits
; Kernel info:
; codeLenInByte = 15636
; TotalNumSgprs: 44
; NumVgprs: 82
; ScratchSize: 224
; MemoryBound: 0
; FloatMode: 240
; IeeeMode: 1
; LDSByteSize: 440 bytes/workgroup (compile time only)
; SGPRBlocks: 5
; VGPRBlocks: 20
; NumSGPRsForWavesPerEU: 44
; NumVGPRsForWavesPerEU: 82
; Occupancy: 3
; WaveLimiterHint : 0
; COMPUTE_PGM_RSRC2:SCRATCH_EN: 1
; COMPUTE_PGM_RSRC2:USER_SGPR: 6
; COMPUTE_PGM_RSRC2:TRAP_HANDLER: 0
; COMPUTE_PGM_RSRC2:TGID_X_EN: 1
; COMPUTE_PGM_RSRC2:TGID_Y_EN: 0
; COMPUTE_PGM_RSRC2:TGID_Z_EN: 0
; COMPUTE_PGM_RSRC2:TIDIG_COMP_CNT: 0
	.section	.text._ZN9rocsolver6v33100L18trti2_kernel_smallILi28EdPdEEv13rocblas_fill_17rocblas_diagonal_T1_iil,"axG",@progbits,_ZN9rocsolver6v33100L18trti2_kernel_smallILi28EdPdEEv13rocblas_fill_17rocblas_diagonal_T1_iil,comdat
	.globl	_ZN9rocsolver6v33100L18trti2_kernel_smallILi28EdPdEEv13rocblas_fill_17rocblas_diagonal_T1_iil ; -- Begin function _ZN9rocsolver6v33100L18trti2_kernel_smallILi28EdPdEEv13rocblas_fill_17rocblas_diagonal_T1_iil
	.p2align	8
	.type	_ZN9rocsolver6v33100L18trti2_kernel_smallILi28EdPdEEv13rocblas_fill_17rocblas_diagonal_T1_iil,@function
_ZN9rocsolver6v33100L18trti2_kernel_smallILi28EdPdEEv13rocblas_fill_17rocblas_diagonal_T1_iil: ; @_ZN9rocsolver6v33100L18trti2_kernel_smallILi28EdPdEEv13rocblas_fill_17rocblas_diagonal_T1_iil
; %bb.0:
	s_add_u32 s0, s0, s7
	s_addc_u32 s1, s1, 0
	v_cmp_gt_u32_e32 vcc, 28, v0
	s_and_saveexec_b64 s[8:9], vcc
	s_cbranch_execz .LBB27_530
; %bb.1:
	s_load_dwordx8 s[8:15], s[4:5], 0x0
	s_ashr_i32 s7, s6, 31
	v_lshlrev_b32_e32 v59, 3, v0
	s_waitcnt lgkmcnt(0)
	s_ashr_i32 s5, s12, 31
	s_mov_b32 s4, s12
	s_mul_hi_u32 s12, s14, s6
	s_mul_i32 s7, s14, s7
	s_add_i32 s7, s12, s7
	s_mul_i32 s12, s15, s6
	s_add_i32 s7, s7, s12
	s_mul_i32 s6, s14, s6
	s_lshl_b64 s[6:7], s[6:7], 3
	s_add_u32 s6, s10, s6
	s_addc_u32 s7, s11, s7
	s_lshl_b64 s[4:5], s[4:5], 3
	s_add_u32 s4, s6, s4
	s_addc_u32 s5, s7, s5
	v_mov_b32_e32 v2, s5
	v_add_co_u32_e32 v1, vcc, s4, v59
	s_ashr_i32 s7, s13, 31
	s_mov_b32 s6, s13
	v_addc_co_u32_e32 v2, vcc, 0, v2, vcc
	s_lshl_b64 s[6:7], s[6:7], 3
	v_add_co_u32_e32 v3, vcc, s6, v1
	s_add_i32 s6, s13, s13
	v_add_u32_e32 v7, s6, v0
	v_ashrrev_i32_e32 v8, 31, v7
	v_mov_b32_e32 v4, s7
	v_lshlrev_b64 v[5:6], 3, v[7:8]
	v_addc_co_u32_e32 v4, vcc, v2, v4, vcc
	v_add_u32_e32 v9, s13, v7
	v_mov_b32_e32 v8, s5
	v_add_co_u32_e32 v5, vcc, s4, v5
	v_ashrrev_i32_e32 v10, 31, v9
	v_addc_co_u32_e32 v6, vcc, v8, v6, vcc
	v_lshlrev_b64 v[7:8], 3, v[9:10]
	v_mov_b32_e32 v10, s5
	v_add_co_u32_e32 v7, vcc, s4, v7
	global_load_dwordx2 v[13:14], v59, s[4:5]
	v_addc_co_u32_e32 v8, vcc, v10, v8, vcc
	global_load_dwordx2 v[15:16], v[3:4], off
	global_load_dwordx2 v[17:18], v[5:6], off
	global_load_dwordx2 v[19:20], v[7:8], off
	v_add_u32_e32 v11, s13, v9
	v_ashrrev_i32_e32 v12, 31, v11
	v_lshlrev_b64 v[9:10], 3, v[11:12]
	v_mov_b32_e32 v12, s5
	v_add_co_u32_e32 v9, vcc, s4, v9
	v_addc_co_u32_e32 v10, vcc, v12, v10, vcc
	global_load_dwordx2 v[21:22], v[9:10], off
	v_add_u32_e32 v23, s13, v11
	v_add_u32_e32 v25, s13, v23
	;; [unrolled: 1-line block ×23, first 2 shown]
	v_ashrrev_i32_e32 v12, 31, v11
	v_lshlrev_b64 v[11:12], 3, v[11:12]
	v_mov_b32_e32 v26, s5
	v_add_co_u32_e32 v11, vcc, s4, v11
	v_ashrrev_i32_e32 v24, 31, v23
	v_addc_co_u32_e32 v12, vcc, v26, v12, vcc
	global_load_dwordx2 v[70:71], v[11:12], off
	v_ashrrev_i32_e32 v26, 31, v25
	v_ashrrev_i32_e32 v30, 31, v29
	;; [unrolled: 1-line block ×12, first 2 shown]
	s_waitcnt vmcnt(5)
	buffer_store_dword v14, off, s[0:3], 0 offset:4
	buffer_store_dword v13, off, s[0:3], 0
	s_waitcnt vmcnt(6)
	buffer_store_dword v16, off, s[0:3], 0 offset:12
	buffer_store_dword v15, off, s[0:3], 0 offset:8
	s_waitcnt vmcnt(7)
	buffer_store_dword v18, off, s[0:3], 0 offset:20
	buffer_store_dword v17, off, s[0:3], 0 offset:16
	;; [unrolled: 3-line block ×3, first 2 shown]
	s_waitcnt vmcnt(9)
	buffer_store_dword v22, off, s[0:3], 0 offset:36
	v_lshlrev_b64 v[13:14], 3, v[23:24]
	v_mov_b32_e32 v15, s5
	v_add_co_u32_e32 v27, vcc, s4, v13
	v_addc_co_u32_e32 v28, vcc, v15, v14, vcc
	v_lshlrev_b64 v[13:14], 3, v[25:26]
	v_mov_b32_e32 v17, s5
	v_add_co_u32_e32 v19, vcc, s4, v13
	v_addc_co_u32_e32 v20, vcc, v15, v14, vcc
	v_lshlrev_b64 v[13:14], 3, v[29:30]
	buffer_store_dword v21, off, s[0:3], 0 offset:32
	v_add_co_u32_e32 v23, vcc, s4, v13
	v_addc_co_u32_e32 v24, vcc, v15, v14, vcc
	v_lshlrev_b64 v[13:14], 3, v[31:32]
	v_mov_b32_e32 v21, s5
	v_add_co_u32_e32 v13, vcc, s4, v13
	v_addc_co_u32_e32 v14, vcc, v15, v14, vcc
	v_lshlrev_b64 v[15:16], 3, v[33:34]
	v_mov_b32_e32 v25, s5
	v_add_co_u32_e32 v15, vcc, s4, v15
	v_addc_co_u32_e32 v16, vcc, v17, v16, vcc
	v_lshlrev_b64 v[17:18], 3, v[35:36]
	v_mov_b32_e32 v29, s5
	v_add_co_u32_e32 v17, vcc, s4, v17
	v_addc_co_u32_e32 v18, vcc, v21, v18, vcc
	v_lshlrev_b64 v[21:22], 3, v[37:38]
	global_load_dwordx2 v[72:73], v[27:28], off
	v_add_co_u32_e32 v21, vcc, s4, v21
	v_addc_co_u32_e32 v22, vcc, v25, v22, vcc
	v_lshlrev_b64 v[25:26], 3, v[39:40]
	global_load_dwordx2 v[74:75], v[19:20], off
	global_load_dwordx2 v[76:77], v[23:24], off
	;; [unrolled: 1-line block ×3, first 2 shown]
	v_add_co_u32_e32 v25, vcc, s4, v25
	v_addc_co_u32_e32 v26, vcc, v29, v26, vcc
	v_lshlrev_b64 v[29:30], 3, v[41:42]
	global_load_dwordx2 v[35:36], v[15:16], off
	global_load_dwordx2 v[37:38], v[17:18], off
	global_load_dwordx2 v[39:40], v[21:22], off
	global_load_dwordx2 v[80:81], v[25:26], off
	v_mov_b32_e32 v31, s5
	v_add_co_u32_e32 v29, vcc, s4, v29
	v_addc_co_u32_e32 v30, vcc, v31, v30, vcc
	v_lshlrev_b64 v[31:32], 3, v[43:44]
	v_mov_b32_e32 v33, s5
	v_add_co_u32_e32 v31, vcc, s4, v31
	v_addc_co_u32_e32 v32, vcc, v33, v32, vcc
	v_lshlrev_b64 v[33:34], 3, v[45:46]
	v_mov_b32_e32 v41, s5
	v_add_co_u32_e32 v33, vcc, s4, v33
	v_addc_co_u32_e32 v34, vcc, v41, v34, vcc
	global_load_dwordx2 v[41:42], v[29:30], off
	global_load_dwordx2 v[43:44], v[31:32], off
	;; [unrolled: 1-line block ×3, first 2 shown]
	v_ashrrev_i32_e32 v52, 31, v51
	v_ashrrev_i32_e32 v54, 31, v53
	;; [unrolled: 1-line block ×9, first 2 shown]
	s_cmpk_lg_i32 s9, 0x84
	s_cselect_b64 s[10:11], -1, 0
	s_cmpk_eq_i32 s9, 0x84
	s_waitcnt vmcnt(10)
	buffer_store_dword v73, off, s[0:3], 0 offset:44
	buffer_store_dword v72, off, s[0:3], 0 offset:40
	s_waitcnt vmcnt(11)
	buffer_store_dword v75, off, s[0:3], 0 offset:52
	buffer_store_dword v74, off, s[0:3], 0 offset:48
	;; [unrolled: 3-line block ×8, first 2 shown]
	v_lshlrev_b64 v[35:36], 3, v[47:48]
	v_mov_b32_e32 v37, s5
	v_add_co_u32_e32 v35, vcc, s4, v35
	v_addc_co_u32_e32 v36, vcc, v37, v36, vcc
	v_lshlrev_b64 v[37:38], 3, v[49:50]
	v_mov_b32_e32 v39, s5
	v_add_co_u32_e32 v37, vcc, s4, v37
	v_addc_co_u32_e32 v38, vcc, v39, v38, vcc
	v_lshlrev_b64 v[39:40], 3, v[51:52]
	global_load_dwordx2 v[72:73], v[35:36], off
	s_waitcnt vmcnt(19)
	buffer_store_dword v41, off, s[0:3], 0 offset:104
	buffer_store_dword v42, off, s[0:3], 0 offset:108
	s_waitcnt vmcnt(20)
	buffer_store_dword v44, off, s[0:3], 0 offset:116
	buffer_store_dword v43, off, s[0:3], 0 offset:112
	;; [unrolled: 3-line block ×3, first 2 shown]
	v_mov_b32_e32 v41, s5
	v_add_co_u32_e32 v39, vcc, s4, v39
	v_addc_co_u32_e32 v40, vcc, v41, v40, vcc
	v_lshlrev_b64 v[41:42], 3, v[53:54]
	v_mov_b32_e32 v43, s5
	v_add_co_u32_e32 v41, vcc, s4, v41
	v_addc_co_u32_e32 v42, vcc, v43, v42, vcc
	v_lshlrev_b64 v[43:44], 3, v[55:56]
	;; [unrolled: 4-line block ×5, first 2 shown]
	v_mov_b32_e32 v51, s5
	v_add_co_u32_e32 v49, vcc, s4, v49
	global_load_dwordx2 v[74:75], v[37:38], off
	global_load_dwordx2 v[76:77], v[39:40], off
	;; [unrolled: 1-line block ×4, first 2 shown]
	v_addc_co_u32_e32 v50, vcc, v51, v50, vcc
	global_load_dwordx2 v[57:58], v[45:46], off
	global_load_dwordx2 v[60:61], v[47:48], off
	;; [unrolled: 1-line block ×3, first 2 shown]
	v_lshlrev_b64 v[51:52], 3, v[64:65]
	v_mov_b32_e32 v53, s5
	v_add_co_u32_e32 v51, vcc, s4, v51
	v_addc_co_u32_e32 v52, vcc, v53, v52, vcc
	v_lshlrev_b64 v[53:54], 3, v[66:67]
	v_mov_b32_e32 v55, s5
	v_add_co_u32_e32 v53, vcc, s4, v53
	v_addc_co_u32_e32 v54, vcc, v55, v54, vcc
	v_lshlrev_b64 v[55:56], 3, v[68:69]
	v_mov_b32_e32 v64, s5
	v_add_co_u32_e32 v55, vcc, s4, v55
	v_addc_co_u32_e32 v56, vcc, v64, v56, vcc
	global_load_dwordx2 v[64:65], v[51:52], off
	global_load_dwordx2 v[66:67], v[53:54], off
	global_load_dwordx2 v[68:69], v[55:56], off
	s_waitcnt vmcnt(16)
	buffer_store_dword v72, off, s[0:3], 0 offset:128
	buffer_store_dword v73, off, s[0:3], 0 offset:132
	s_waitcnt vmcnt(11)
	buffer_store_dword v74, off, s[0:3], 0 offset:136
	buffer_store_dword v75, off, s[0:3], 0 offset:140
	;; [unrolled: 3-line block ×11, first 2 shown]
	buffer_store_dword v70, off, s[0:3], 0 offset:216
	v_mov_b32_e32 v57, 0
	v_mov_b32_e32 v58, 0xbff00000
	buffer_store_dword v71, off, s[0:3], 0 offset:220
	s_cbranch_scc1 .LBB27_3
; %bb.2:
	v_mov_b32_e32 v57, 0
	v_lshl_add_u32 v68, v0, 3, v57
	buffer_load_dword v57, v68, s[0:3], 0 offen
	buffer_load_dword v58, v68, s[0:3], 0 offen offset:4
	s_waitcnt vmcnt(0)
	v_div_scale_f64 v[60:61], s[4:5], v[57:58], v[57:58], 1.0
	v_rcp_f64_e32 v[62:63], v[60:61]
	v_fma_f64 v[64:65], -v[60:61], v[62:63], 1.0
	v_fma_f64 v[62:63], v[62:63], v[64:65], v[62:63]
	v_div_scale_f64 v[64:65], vcc, 1.0, v[57:58], 1.0
	v_fma_f64 v[66:67], -v[60:61], v[62:63], 1.0
	v_fma_f64 v[62:63], v[62:63], v[66:67], v[62:63]
	v_mul_f64 v[66:67], v[64:65], v[62:63]
	v_fma_f64 v[60:61], -v[60:61], v[66:67], v[64:65]
	v_div_fmas_f64 v[60:61], v[60:61], v[62:63], v[66:67]
	v_div_fixup_f64 v[57:58], v[60:61], v[57:58], 1.0
	buffer_store_dword v57, v68, s[0:3], 0 offen
	buffer_store_dword v58, v68, s[0:3], 0 offen offset:4
	v_xor_b32_e32 v58, 0x80000000, v58
.LBB27_3:
	s_cmpk_eq_i32 s8, 0x79
	v_add_u32_e32 v60, 0xe0, v59
	v_mov_b32_e32 v61, v59
	s_mov_b64 s[4:5], -1
	ds_write_b64 v59, v[57:58]
	s_cbranch_scc1 .LBB27_267
; %bb.4:
	buffer_load_dword v57, off, s[0:3], 0 offset:208
	buffer_load_dword v58, off, s[0:3], 0 offset:212
	s_movk_i32 s12, 0x48
	s_movk_i32 s13, 0x50
	;; [unrolled: 1-line block ×17, first 2 shown]
	v_cmp_eq_u32_e64 s[4:5], 27, v0
	s_waitcnt vmcnt(0)
	ds_write_b64 v60, v[57:58]
	s_waitcnt lgkmcnt(0)
	; wave barrier
	s_and_saveexec_b64 s[6:7], s[4:5]
	s_cbranch_execz .LBB27_10
; %bb.5:
	s_and_b64 vcc, exec, s[10:11]
	s_cbranch_vccz .LBB27_7
; %bb.6:
	buffer_load_dword v57, v61, s[0:3], 0 offen
	buffer_load_dword v58, v61, s[0:3], 0 offen offset:4
	ds_read_b64 v[62:63], v60
	s_waitcnt vmcnt(0) lgkmcnt(0)
	v_mul_f64 v[57:58], v[57:58], v[62:63]
	s_cbranch_execz .LBB27_8
	s_branch .LBB27_9
.LBB27_7:
                                        ; implicit-def: $vgpr57_vgpr58
.LBB27_8:
	ds_read_b64 v[57:58], v60
.LBB27_9:
	v_mov_b32_e32 v62, 0
	ds_read_b64 v[62:63], v62 offset:208
	s_waitcnt lgkmcnt(0)
	v_mul_f64 v[57:58], v[57:58], v[62:63]
	buffer_store_dword v58, off, s[0:3], 0 offset:212
	buffer_store_dword v57, off, s[0:3], 0 offset:208
.LBB27_10:
	s_or_b64 exec, exec, s[6:7]
	buffer_load_dword v57, off, s[0:3], 0 offset:200
	buffer_load_dword v58, off, s[0:3], 0 offset:204
	s_or_b32 s14, 0, 8
	s_mov_b32 s15, 16
	s_mov_b32 s16, 24
	;; [unrolled: 1-line block ×9, first 2 shown]
	v_cmp_lt_u32_e64 s[6:7], 25, v0
	s_waitcnt vmcnt(0)
	ds_write_b64 v60, v[57:58]
	s_waitcnt lgkmcnt(0)
	; wave barrier
	s_and_saveexec_b64 s[8:9], s[6:7]
	s_cbranch_execz .LBB27_16
; %bb.11:
	s_andn2_b64 vcc, exec, s[10:11]
	s_cbranch_vccnz .LBB27_13
; %bb.12:
	buffer_load_dword v57, v61, s[0:3], 0 offen
	buffer_load_dword v58, v61, s[0:3], 0 offen offset:4
	ds_read_b64 v[62:63], v60
	s_waitcnt vmcnt(0) lgkmcnt(0)
	v_mul_f64 v[57:58], v[57:58], v[62:63]
	s_cbranch_execz .LBB27_14
	s_branch .LBB27_15
.LBB27_13:
                                        ; implicit-def: $vgpr57_vgpr58
.LBB27_14:
	ds_read_b64 v[57:58], v60
.LBB27_15:
	buffer_load_dword v66, off, s[0:3], 0 offset:208
	buffer_load_dword v67, off, s[0:3], 0 offset:212
	v_mov_b32_e32 v62, 0
	ds_read2_b64 v[62:65], v62 offset0:25 offset1:54
	s_waitcnt vmcnt(0) lgkmcnt(0)
	v_fma_f64 v[64:65], v[66:67], v[64:65], v[57:58]
	v_cndmask_b32_e64 v58, v58, v65, s[4:5]
	v_cndmask_b32_e64 v57, v57, v64, s[4:5]
	v_mul_f64 v[57:58], v[57:58], v[62:63]
	buffer_store_dword v58, off, s[0:3], 0 offset:204
	buffer_store_dword v57, off, s[0:3], 0 offset:200
.LBB27_16:
	s_or_b64 exec, exec, s[8:9]
	buffer_load_dword v57, off, s[0:3], 0 offset:192
	buffer_load_dword v58, off, s[0:3], 0 offset:196
	v_cmp_lt_u32_e64 s[4:5], 24, v0
	s_waitcnt vmcnt(0)
	ds_write_b64 v60, v[57:58]
	s_waitcnt lgkmcnt(0)
	; wave barrier
	s_and_saveexec_b64 s[8:9], s[4:5]
	s_cbranch_execz .LBB27_26
; %bb.17:
	s_andn2_b64 vcc, exec, s[10:11]
	s_cbranch_vccnz .LBB27_19
; %bb.18:
	buffer_load_dword v57, v61, s[0:3], 0 offen
	buffer_load_dword v58, v61, s[0:3], 0 offen offset:4
	ds_read_b64 v[62:63], v60
	s_waitcnt vmcnt(0) lgkmcnt(0)
	v_mul_f64 v[57:58], v[57:58], v[62:63]
	s_cbranch_execz .LBB27_20
	s_branch .LBB27_21
.LBB27_19:
                                        ; implicit-def: $vgpr57_vgpr58
.LBB27_20:
	ds_read_b64 v[57:58], v60
.LBB27_21:
	s_and_saveexec_b64 s[12:13], s[6:7]
	s_cbranch_execz .LBB27_25
; %bb.22:
	v_subrev_u32_e32 v62, 25, v0
	s_movk_i32 s40, 0x1a8
	s_mov_b64 s[6:7], 0
.LBB27_23:                              ; =>This Inner Loop Header: Depth=1
	v_mov_b32_e32 v65, s39
	buffer_load_dword v63, v65, s[0:3], 0 offen
	buffer_load_dword v64, v65, s[0:3], 0 offen offset:4
	v_mov_b32_e32 v65, s40
	ds_read_b64 v[65:66], v65
	v_add_u32_e32 v62, -1, v62
	s_add_i32 s40, s40, 8
	s_add_i32 s39, s39, 8
	v_cmp_eq_u32_e32 vcc, 0, v62
	s_or_b64 s[6:7], vcc, s[6:7]
	s_waitcnt vmcnt(0) lgkmcnt(0)
	v_fma_f64 v[57:58], v[63:64], v[65:66], v[57:58]
	s_andn2_b64 exec, exec, s[6:7]
	s_cbranch_execnz .LBB27_23
; %bb.24:
	s_or_b64 exec, exec, s[6:7]
.LBB27_25:
	s_or_b64 exec, exec, s[12:13]
	v_mov_b32_e32 v62, 0
	ds_read_b64 v[62:63], v62 offset:192
	s_waitcnt lgkmcnt(0)
	v_mul_f64 v[57:58], v[57:58], v[62:63]
	buffer_store_dword v58, off, s[0:3], 0 offset:196
	buffer_store_dword v57, off, s[0:3], 0 offset:192
.LBB27_26:
	s_or_b64 exec, exec, s[8:9]
	buffer_load_dword v57, off, s[0:3], 0 offset:184
	buffer_load_dword v58, off, s[0:3], 0 offset:188
	v_cmp_lt_u32_e64 s[6:7], 23, v0
	s_waitcnt vmcnt(0)
	ds_write_b64 v60, v[57:58]
	s_waitcnt lgkmcnt(0)
	; wave barrier
	s_and_saveexec_b64 s[8:9], s[6:7]
	s_cbranch_execz .LBB27_36
; %bb.27:
	s_andn2_b64 vcc, exec, s[10:11]
	s_cbranch_vccnz .LBB27_29
; %bb.28:
	buffer_load_dword v57, v61, s[0:3], 0 offen
	buffer_load_dword v58, v61, s[0:3], 0 offen offset:4
	ds_read_b64 v[62:63], v60
	s_waitcnt vmcnt(0) lgkmcnt(0)
	v_mul_f64 v[57:58], v[57:58], v[62:63]
	s_cbranch_execz .LBB27_30
	s_branch .LBB27_31
.LBB27_29:
                                        ; implicit-def: $vgpr57_vgpr58
.LBB27_30:
	ds_read_b64 v[57:58], v60
.LBB27_31:
	s_and_saveexec_b64 s[12:13], s[4:5]
	s_cbranch_execz .LBB27_35
; %bb.32:
	v_subrev_u32_e32 v62, 24, v0
	s_movk_i32 s39, 0x1a0
	s_mov_b64 s[4:5], 0
.LBB27_33:                              ; =>This Inner Loop Header: Depth=1
	v_mov_b32_e32 v65, s38
	buffer_load_dword v63, v65, s[0:3], 0 offen
	buffer_load_dword v64, v65, s[0:3], 0 offen offset:4
	v_mov_b32_e32 v65, s39
	ds_read_b64 v[65:66], v65
	v_add_u32_e32 v62, -1, v62
	s_add_i32 s39, s39, 8
	s_add_i32 s38, s38, 8
	v_cmp_eq_u32_e32 vcc, 0, v62
	s_or_b64 s[4:5], vcc, s[4:5]
	s_waitcnt vmcnt(0) lgkmcnt(0)
	v_fma_f64 v[57:58], v[63:64], v[65:66], v[57:58]
	s_andn2_b64 exec, exec, s[4:5]
	s_cbranch_execnz .LBB27_33
; %bb.34:
	s_or_b64 exec, exec, s[4:5]
.LBB27_35:
	s_or_b64 exec, exec, s[12:13]
	v_mov_b32_e32 v62, 0
	ds_read_b64 v[62:63], v62 offset:184
	s_waitcnt lgkmcnt(0)
	v_mul_f64 v[57:58], v[57:58], v[62:63]
	buffer_store_dword v58, off, s[0:3], 0 offset:188
	buffer_store_dword v57, off, s[0:3], 0 offset:184
.LBB27_36:
	;; [unrolled: 58-line block ×8, first 2 shown]
	s_or_b64 exec, exec, s[8:9]
	buffer_load_dword v57, off, s[0:3], 0 offset:128
	buffer_load_dword v58, off, s[0:3], 0 offset:132
	v_cmp_lt_u32_e64 s[4:5], 16, v0
	s_waitcnt vmcnt(0)
	ds_write_b64 v60, v[57:58]
	s_waitcnt lgkmcnt(0)
	; wave barrier
	s_and_saveexec_b64 s[8:9], s[4:5]
	s_cbranch_execz .LBB27_106
; %bb.97:
	s_andn2_b64 vcc, exec, s[10:11]
	s_cbranch_vccnz .LBB27_99
; %bb.98:
	buffer_load_dword v57, v61, s[0:3], 0 offen
	buffer_load_dword v58, v61, s[0:3], 0 offen offset:4
	ds_read_b64 v[62:63], v60
	s_waitcnt vmcnt(0) lgkmcnt(0)
	v_mul_f64 v[57:58], v[57:58], v[62:63]
	s_cbranch_execz .LBB27_100
	s_branch .LBB27_101
.LBB27_99:
                                        ; implicit-def: $vgpr57_vgpr58
.LBB27_100:
	ds_read_b64 v[57:58], v60
.LBB27_101:
	s_and_saveexec_b64 s[12:13], s[6:7]
	s_cbranch_execz .LBB27_105
; %bb.102:
	v_subrev_u32_e32 v62, 17, v0
	s_movk_i32 s31, 0x168
	s_mov_b64 s[6:7], 0
.LBB27_103:                             ; =>This Inner Loop Header: Depth=1
	v_mov_b32_e32 v65, s30
	buffer_load_dword v63, v65, s[0:3], 0 offen
	buffer_load_dword v64, v65, s[0:3], 0 offen offset:4
	v_mov_b32_e32 v65, s31
	ds_read_b64 v[65:66], v65
	v_add_u32_e32 v62, -1, v62
	s_add_i32 s31, s31, 8
	s_add_i32 s30, s30, 8
	v_cmp_eq_u32_e32 vcc, 0, v62
	s_or_b64 s[6:7], vcc, s[6:7]
	s_waitcnt vmcnt(0) lgkmcnt(0)
	v_fma_f64 v[57:58], v[63:64], v[65:66], v[57:58]
	s_andn2_b64 exec, exec, s[6:7]
	s_cbranch_execnz .LBB27_103
; %bb.104:
	s_or_b64 exec, exec, s[6:7]
.LBB27_105:
	s_or_b64 exec, exec, s[12:13]
	v_mov_b32_e32 v62, 0
	ds_read_b64 v[62:63], v62 offset:128
	s_waitcnt lgkmcnt(0)
	v_mul_f64 v[57:58], v[57:58], v[62:63]
	buffer_store_dword v58, off, s[0:3], 0 offset:132
	buffer_store_dword v57, off, s[0:3], 0 offset:128
.LBB27_106:
	s_or_b64 exec, exec, s[8:9]
	buffer_load_dword v57, off, s[0:3], 0 offset:120
	buffer_load_dword v58, off, s[0:3], 0 offset:124
	v_cmp_lt_u32_e64 s[6:7], 15, v0
	s_waitcnt vmcnt(0)
	ds_write_b64 v60, v[57:58]
	s_waitcnt lgkmcnt(0)
	; wave barrier
	s_and_saveexec_b64 s[8:9], s[6:7]
	s_cbranch_execz .LBB27_116
; %bb.107:
	s_andn2_b64 vcc, exec, s[10:11]
	s_cbranch_vccnz .LBB27_109
; %bb.108:
	buffer_load_dword v57, v61, s[0:3], 0 offen
	buffer_load_dword v58, v61, s[0:3], 0 offen offset:4
	ds_read_b64 v[62:63], v60
	s_waitcnt vmcnt(0) lgkmcnt(0)
	v_mul_f64 v[57:58], v[57:58], v[62:63]
	s_cbranch_execz .LBB27_110
	s_branch .LBB27_111
.LBB27_109:
                                        ; implicit-def: $vgpr57_vgpr58
.LBB27_110:
	ds_read_b64 v[57:58], v60
.LBB27_111:
	s_and_saveexec_b64 s[12:13], s[4:5]
	s_cbranch_execz .LBB27_115
; %bb.112:
	v_add_u32_e32 v62, -16, v0
	s_movk_i32 s30, 0x160
	s_mov_b64 s[4:5], 0
.LBB27_113:                             ; =>This Inner Loop Header: Depth=1
	v_mov_b32_e32 v65, s29
	buffer_load_dword v63, v65, s[0:3], 0 offen
	buffer_load_dword v64, v65, s[0:3], 0 offen offset:4
	v_mov_b32_e32 v65, s30
	ds_read_b64 v[65:66], v65
	v_add_u32_e32 v62, -1, v62
	s_add_i32 s30, s30, 8
	s_add_i32 s29, s29, 8
	v_cmp_eq_u32_e32 vcc, 0, v62
	s_or_b64 s[4:5], vcc, s[4:5]
	s_waitcnt vmcnt(0) lgkmcnt(0)
	v_fma_f64 v[57:58], v[63:64], v[65:66], v[57:58]
	s_andn2_b64 exec, exec, s[4:5]
	s_cbranch_execnz .LBB27_113
; %bb.114:
	s_or_b64 exec, exec, s[4:5]
.LBB27_115:
	s_or_b64 exec, exec, s[12:13]
	v_mov_b32_e32 v62, 0
	ds_read_b64 v[62:63], v62 offset:120
	s_waitcnt lgkmcnt(0)
	v_mul_f64 v[57:58], v[57:58], v[62:63]
	buffer_store_dword v58, off, s[0:3], 0 offset:124
	buffer_store_dword v57, off, s[0:3], 0 offset:120
.LBB27_116:
	s_or_b64 exec, exec, s[8:9]
	buffer_load_dword v57, off, s[0:3], 0 offset:112
	buffer_load_dword v58, off, s[0:3], 0 offset:116
	v_cmp_lt_u32_e64 s[4:5], 14, v0
	s_waitcnt vmcnt(0)
	ds_write_b64 v60, v[57:58]
	s_waitcnt lgkmcnt(0)
	; wave barrier
	s_and_saveexec_b64 s[8:9], s[4:5]
	s_cbranch_execz .LBB27_126
; %bb.117:
	s_andn2_b64 vcc, exec, s[10:11]
	s_cbranch_vccnz .LBB27_119
; %bb.118:
	buffer_load_dword v57, v61, s[0:3], 0 offen
	buffer_load_dword v58, v61, s[0:3], 0 offen offset:4
	ds_read_b64 v[62:63], v60
	s_waitcnt vmcnt(0) lgkmcnt(0)
	v_mul_f64 v[57:58], v[57:58], v[62:63]
	s_cbranch_execz .LBB27_120
	s_branch .LBB27_121
.LBB27_119:
                                        ; implicit-def: $vgpr57_vgpr58
.LBB27_120:
	ds_read_b64 v[57:58], v60
.LBB27_121:
	s_and_saveexec_b64 s[12:13], s[6:7]
	s_cbranch_execz .LBB27_125
; %bb.122:
	v_add_u32_e32 v62, -15, v0
	s_movk_i32 s29, 0x158
	s_mov_b64 s[6:7], 0
.LBB27_123:                             ; =>This Inner Loop Header: Depth=1
	v_mov_b32_e32 v65, s28
	buffer_load_dword v63, v65, s[0:3], 0 offen
	buffer_load_dword v64, v65, s[0:3], 0 offen offset:4
	v_mov_b32_e32 v65, s29
	ds_read_b64 v[65:66], v65
	v_add_u32_e32 v62, -1, v62
	s_add_i32 s29, s29, 8
	s_add_i32 s28, s28, 8
	v_cmp_eq_u32_e32 vcc, 0, v62
	s_or_b64 s[6:7], vcc, s[6:7]
	s_waitcnt vmcnt(0) lgkmcnt(0)
	v_fma_f64 v[57:58], v[63:64], v[65:66], v[57:58]
	s_andn2_b64 exec, exec, s[6:7]
	s_cbranch_execnz .LBB27_123
; %bb.124:
	s_or_b64 exec, exec, s[6:7]
.LBB27_125:
	s_or_b64 exec, exec, s[12:13]
	v_mov_b32_e32 v62, 0
	ds_read_b64 v[62:63], v62 offset:112
	s_waitcnt lgkmcnt(0)
	v_mul_f64 v[57:58], v[57:58], v[62:63]
	buffer_store_dword v58, off, s[0:3], 0 offset:116
	buffer_store_dword v57, off, s[0:3], 0 offset:112
.LBB27_126:
	;; [unrolled: 58-line block ×15, first 2 shown]
	s_or_b64 exec, exec, s[8:9]
	buffer_load_dword v57, off, s[0:3], 0
	buffer_load_dword v58, off, s[0:3], 0 offset:4
	v_cmp_ne_u32_e32 vcc, 0, v0
	s_waitcnt vmcnt(0)
	ds_write_b64 v60, v[57:58]
	s_waitcnt lgkmcnt(0)
	; wave barrier
	s_and_saveexec_b64 s[4:5], vcc
	s_cbranch_execz .LBB27_266
; %bb.257:
	s_andn2_b64 vcc, exec, s[10:11]
	s_cbranch_vccnz .LBB27_259
; %bb.258:
	buffer_load_dword v57, v61, s[0:3], 0 offen
	buffer_load_dword v58, v61, s[0:3], 0 offen offset:4
	ds_read_b64 v[62:63], v60
	s_waitcnt vmcnt(0) lgkmcnt(0)
	v_mul_f64 v[57:58], v[57:58], v[62:63]
	s_cbranch_execz .LBB27_260
	s_branch .LBB27_261
.LBB27_259:
                                        ; implicit-def: $vgpr57_vgpr58
.LBB27_260:
	ds_read_b64 v[57:58], v60
.LBB27_261:
	s_and_saveexec_b64 s[8:9], s[6:7]
	s_cbranch_execz .LBB27_265
; %bb.262:
	v_add_u32_e32 v62, -1, v0
	s_movk_i32 s12, 0xe8
	s_mov_b64 s[6:7], 0
.LBB27_263:                             ; =>This Inner Loop Header: Depth=1
	v_mov_b32_e32 v65, s14
	buffer_load_dword v63, v65, s[0:3], 0 offen
	buffer_load_dword v64, v65, s[0:3], 0 offen offset:4
	v_mov_b32_e32 v65, s12
	ds_read_b64 v[65:66], v65
	v_add_u32_e32 v62, -1, v62
	s_add_i32 s12, s12, 8
	s_add_i32 s14, s14, 8
	v_cmp_eq_u32_e32 vcc, 0, v62
	s_or_b64 s[6:7], vcc, s[6:7]
	s_waitcnt vmcnt(0) lgkmcnt(0)
	v_fma_f64 v[57:58], v[63:64], v[65:66], v[57:58]
	s_andn2_b64 exec, exec, s[6:7]
	s_cbranch_execnz .LBB27_263
; %bb.264:
	s_or_b64 exec, exec, s[6:7]
.LBB27_265:
	s_or_b64 exec, exec, s[8:9]
	v_mov_b32_e32 v62, 0
	ds_read_b64 v[62:63], v62
	s_waitcnt lgkmcnt(0)
	v_mul_f64 v[57:58], v[57:58], v[62:63]
	buffer_store_dword v58, off, s[0:3], 0 offset:4
	buffer_store_dword v57, off, s[0:3], 0
.LBB27_266:
	s_or_b64 exec, exec, s[4:5]
	s_mov_b64 s[4:5], 0
.LBB27_267:
	s_and_b64 vcc, exec, s[4:5]
	s_cbranch_vccz .LBB27_529
; %bb.268:
	buffer_load_dword v57, off, s[0:3], 0 offset:8
	buffer_load_dword v58, off, s[0:3], 0 offset:12
	v_cmp_eq_u32_e64 s[6:7], 0, v0
	s_waitcnt vmcnt(0)
	ds_write_b64 v60, v[57:58]
	s_waitcnt lgkmcnt(0)
	; wave barrier
	s_and_saveexec_b64 s[4:5], s[6:7]
	s_cbranch_execz .LBB27_274
; %bb.269:
	s_and_b64 vcc, exec, s[10:11]
	s_cbranch_vccz .LBB27_271
; %bb.270:
	buffer_load_dword v57, v61, s[0:3], 0 offen
	buffer_load_dword v58, v61, s[0:3], 0 offen offset:4
	ds_read_b64 v[62:63], v60
	s_waitcnt vmcnt(0) lgkmcnt(0)
	v_mul_f64 v[57:58], v[57:58], v[62:63]
	s_cbranch_execz .LBB27_272
	s_branch .LBB27_273
.LBB27_271:
                                        ; implicit-def: $vgpr57_vgpr58
.LBB27_272:
	ds_read_b64 v[57:58], v60
.LBB27_273:
	v_mov_b32_e32 v62, 0
	ds_read_b64 v[62:63], v62 offset:8
	s_waitcnt lgkmcnt(0)
	v_mul_f64 v[57:58], v[57:58], v[62:63]
	buffer_store_dword v58, off, s[0:3], 0 offset:12
	buffer_store_dword v57, off, s[0:3], 0 offset:8
.LBB27_274:
	s_or_b64 exec, exec, s[4:5]
	buffer_load_dword v57, off, s[0:3], 0 offset:16
	buffer_load_dword v58, off, s[0:3], 0 offset:20
	v_cndmask_b32_e64 v62, 0, 1, s[10:11]
	v_cmp_gt_u32_e32 vcc, 2, v0
	v_cmp_ne_u32_e64 s[4:5], 1, v62
	s_waitcnt vmcnt(0)
	ds_write_b64 v60, v[57:58]
	s_waitcnt lgkmcnt(0)
	; wave barrier
	s_and_saveexec_b64 s[8:9], vcc
	s_cbranch_execz .LBB27_280
; %bb.275:
	s_and_b64 vcc, exec, s[4:5]
	s_cbranch_vccnz .LBB27_277
; %bb.276:
	buffer_load_dword v57, v61, s[0:3], 0 offen
	buffer_load_dword v58, v61, s[0:3], 0 offen offset:4
	ds_read_b64 v[62:63], v60
	s_waitcnt vmcnt(0) lgkmcnt(0)
	v_mul_f64 v[57:58], v[57:58], v[62:63]
	s_cbranch_execz .LBB27_278
	s_branch .LBB27_279
.LBB27_277:
                                        ; implicit-def: $vgpr57_vgpr58
.LBB27_278:
	ds_read_b64 v[57:58], v60
.LBB27_279:
	buffer_load_dword v66, off, s[0:3], 0 offset:8
	buffer_load_dword v67, off, s[0:3], 0 offset:12
	v_mov_b32_e32 v62, 0
	ds_read2_b64 v[62:65], v62 offset0:2 offset1:29
	s_waitcnt vmcnt(0) lgkmcnt(0)
	v_fma_f64 v[64:65], v[66:67], v[64:65], v[57:58]
	v_cndmask_b32_e64 v58, v58, v65, s[6:7]
	v_cndmask_b32_e64 v57, v57, v64, s[6:7]
	v_mul_f64 v[57:58], v[57:58], v[62:63]
	buffer_store_dword v58, off, s[0:3], 0 offset:20
	buffer_store_dword v57, off, s[0:3], 0 offset:16
.LBB27_280:
	s_or_b64 exec, exec, s[8:9]
	buffer_load_dword v57, off, s[0:3], 0 offset:24
	buffer_load_dword v58, off, s[0:3], 0 offset:28
	v_cmp_gt_u32_e32 vcc, 3, v0
	s_waitcnt vmcnt(0)
	ds_write_b64 v60, v[57:58]
	s_waitcnt lgkmcnt(0)
	; wave barrier
	s_and_saveexec_b64 s[8:9], vcc
	s_cbranch_execz .LBB27_288
; %bb.281:
	s_and_b64 vcc, exec, s[4:5]
	s_cbranch_vccnz .LBB27_283
; %bb.282:
	buffer_load_dword v57, v61, s[0:3], 0 offen
	buffer_load_dword v58, v61, s[0:3], 0 offen offset:4
	ds_read_b64 v[62:63], v60
	s_waitcnt vmcnt(0) lgkmcnt(0)
	v_mul_f64 v[57:58], v[57:58], v[62:63]
	s_cbranch_execz .LBB27_284
	s_branch .LBB27_285
.LBB27_283:
                                        ; implicit-def: $vgpr57_vgpr58
.LBB27_284:
	ds_read_b64 v[57:58], v60
.LBB27_285:
	v_cmp_ne_u32_e32 vcc, 2, v0
	s_and_saveexec_b64 s[10:11], vcc
	s_cbranch_execz .LBB27_287
; %bb.286:
	buffer_load_dword v62, v61, s[0:3], 0 offen offset:8
	buffer_load_dword v63, v61, s[0:3], 0 offen offset:12
	buffer_load_dword v64, off, s[0:3], 0 offset:16
	buffer_load_dword v65, off, s[0:3], 0 offset:20
	ds_read_b64 v[66:67], v60 offset:8
	v_mov_b32_e32 v68, 0
	ds_read_b64 v[68:69], v68 offset:240
	s_waitcnt vmcnt(2) lgkmcnt(1)
	v_fma_f64 v[57:58], v[62:63], v[66:67], v[57:58]
	s_waitcnt vmcnt(0) lgkmcnt(0)
	v_fma_f64 v[62:63], v[64:65], v[68:69], v[57:58]
	v_cndmask_b32_e64 v58, v58, v63, s[6:7]
	v_cndmask_b32_e64 v57, v57, v62, s[6:7]
.LBB27_287:
	s_or_b64 exec, exec, s[10:11]
	v_mov_b32_e32 v62, 0
	ds_read_b64 v[62:63], v62 offset:24
	s_waitcnt lgkmcnt(0)
	v_mul_f64 v[57:58], v[57:58], v[62:63]
	buffer_store_dword v58, off, s[0:3], 0 offset:28
	buffer_store_dword v57, off, s[0:3], 0 offset:24
.LBB27_288:
	s_or_b64 exec, exec, s[8:9]
	buffer_load_dword v57, off, s[0:3], 0 offset:32
	buffer_load_dword v58, off, s[0:3], 0 offset:36
	v_cmp_gt_u32_e32 vcc, 4, v0
	s_waitcnt vmcnt(0)
	ds_write_b64 v60, v[57:58]
	s_waitcnt lgkmcnt(0)
	; wave barrier
	s_and_saveexec_b64 s[6:7], vcc
	s_cbranch_execz .LBB27_298
; %bb.289:
	s_and_b64 vcc, exec, s[4:5]
	s_cbranch_vccnz .LBB27_291
; %bb.290:
	buffer_load_dword v57, v61, s[0:3], 0 offen
	buffer_load_dword v58, v61, s[0:3], 0 offen offset:4
	ds_read_b64 v[62:63], v60
	s_waitcnt vmcnt(0) lgkmcnt(0)
	v_mul_f64 v[57:58], v[57:58], v[62:63]
	s_cbranch_execz .LBB27_292
	s_branch .LBB27_293
.LBB27_291:
                                        ; implicit-def: $vgpr57_vgpr58
.LBB27_292:
	ds_read_b64 v[57:58], v60
.LBB27_293:
	v_cmp_ne_u32_e32 vcc, 3, v0
	s_and_saveexec_b64 s[8:9], vcc
	s_cbranch_execz .LBB27_297
; %bb.294:
	s_mov_b32 s10, 0
	v_add_u32_e32 v62, 0xe8, v59
	v_add3_u32 v63, v59, s10, 8
	s_mov_b64 s[10:11], 0
	v_mov_b32_e32 v64, v0
.LBB27_295:                             ; =>This Inner Loop Header: Depth=1
	buffer_load_dword v65, v63, s[0:3], 0 offen
	buffer_load_dword v66, v63, s[0:3], 0 offen offset:4
	ds_read_b64 v[67:68], v62
	v_add_u32_e32 v64, 1, v64
	v_cmp_lt_u32_e32 vcc, 2, v64
	v_add_u32_e32 v62, 8, v62
	s_or_b64 s[10:11], vcc, s[10:11]
	v_add_u32_e32 v63, 8, v63
	s_waitcnt vmcnt(0) lgkmcnt(0)
	v_fma_f64 v[57:58], v[65:66], v[67:68], v[57:58]
	s_andn2_b64 exec, exec, s[10:11]
	s_cbranch_execnz .LBB27_295
; %bb.296:
	s_or_b64 exec, exec, s[10:11]
.LBB27_297:
	s_or_b64 exec, exec, s[8:9]
	v_mov_b32_e32 v62, 0
	ds_read_b64 v[62:63], v62 offset:32
	s_waitcnt lgkmcnt(0)
	v_mul_f64 v[57:58], v[57:58], v[62:63]
	buffer_store_dword v58, off, s[0:3], 0 offset:36
	buffer_store_dword v57, off, s[0:3], 0 offset:32
.LBB27_298:
	s_or_b64 exec, exec, s[6:7]
	buffer_load_dword v57, off, s[0:3], 0 offset:40
	buffer_load_dword v58, off, s[0:3], 0 offset:44
	v_cmp_gt_u32_e32 vcc, 5, v0
	s_waitcnt vmcnt(0)
	ds_write_b64 v60, v[57:58]
	s_waitcnt lgkmcnt(0)
	; wave barrier
	s_and_saveexec_b64 s[6:7], vcc
	s_cbranch_execz .LBB27_308
; %bb.299:
	s_and_b64 vcc, exec, s[4:5]
	s_cbranch_vccnz .LBB27_301
; %bb.300:
	buffer_load_dword v57, v61, s[0:3], 0 offen
	buffer_load_dword v58, v61, s[0:3], 0 offen offset:4
	ds_read_b64 v[62:63], v60
	s_waitcnt vmcnt(0) lgkmcnt(0)
	v_mul_f64 v[57:58], v[57:58], v[62:63]
	s_cbranch_execz .LBB27_302
	s_branch .LBB27_303
.LBB27_301:
                                        ; implicit-def: $vgpr57_vgpr58
.LBB27_302:
	ds_read_b64 v[57:58], v60
.LBB27_303:
	v_cmp_ne_u32_e32 vcc, 4, v0
	s_and_saveexec_b64 s[8:9], vcc
	s_cbranch_execz .LBB27_307
; %bb.304:
	s_mov_b32 s10, 0
	v_add_u32_e32 v62, 0xe8, v59
	v_add3_u32 v63, v59, s10, 8
	s_mov_b64 s[10:11], 0
	v_mov_b32_e32 v64, v0
.LBB27_305:                             ; =>This Inner Loop Header: Depth=1
	buffer_load_dword v65, v63, s[0:3], 0 offen
	buffer_load_dword v66, v63, s[0:3], 0 offen offset:4
	ds_read_b64 v[67:68], v62
	v_add_u32_e32 v64, 1, v64
	v_cmp_lt_u32_e32 vcc, 3, v64
	v_add_u32_e32 v62, 8, v62
	s_or_b64 s[10:11], vcc, s[10:11]
	v_add_u32_e32 v63, 8, v63
	s_waitcnt vmcnt(0) lgkmcnt(0)
	v_fma_f64 v[57:58], v[65:66], v[67:68], v[57:58]
	s_andn2_b64 exec, exec, s[10:11]
	s_cbranch_execnz .LBB27_305
; %bb.306:
	s_or_b64 exec, exec, s[10:11]
.LBB27_307:
	s_or_b64 exec, exec, s[8:9]
	v_mov_b32_e32 v62, 0
	ds_read_b64 v[62:63], v62 offset:40
	s_waitcnt lgkmcnt(0)
	v_mul_f64 v[57:58], v[57:58], v[62:63]
	buffer_store_dword v58, off, s[0:3], 0 offset:44
	buffer_store_dword v57, off, s[0:3], 0 offset:40
.LBB27_308:
	;; [unrolled: 59-line block ×22, first 2 shown]
	s_or_b64 exec, exec, s[6:7]
	buffer_load_dword v57, off, s[0:3], 0 offset:208
	buffer_load_dword v58, off, s[0:3], 0 offset:212
	v_cmp_gt_u32_e64 s[6:7], 26, v0
	s_waitcnt vmcnt(0)
	ds_write_b64 v60, v[57:58]
	s_waitcnt lgkmcnt(0)
	; wave barrier
	s_and_saveexec_b64 s[8:9], s[6:7]
	s_cbranch_execz .LBB27_518
; %bb.509:
	s_and_b64 vcc, exec, s[4:5]
	s_cbranch_vccnz .LBB27_511
; %bb.510:
	buffer_load_dword v57, v61, s[0:3], 0 offen
	buffer_load_dword v58, v61, s[0:3], 0 offen offset:4
	ds_read_b64 v[62:63], v60
	s_waitcnt vmcnt(0) lgkmcnt(0)
	v_mul_f64 v[57:58], v[57:58], v[62:63]
	s_cbranch_execz .LBB27_512
	s_branch .LBB27_513
.LBB27_511:
                                        ; implicit-def: $vgpr57_vgpr58
.LBB27_512:
	ds_read_b64 v[57:58], v60
.LBB27_513:
	v_cmp_ne_u32_e32 vcc, 25, v0
	s_and_saveexec_b64 s[10:11], vcc
	s_cbranch_execz .LBB27_517
; %bb.514:
	s_mov_b32 s12, 0
	v_add_u32_e32 v62, 0xe8, v59
	v_add3_u32 v63, v59, s12, 8
	s_mov_b64 s[12:13], 0
	v_mov_b32_e32 v64, v0
.LBB27_515:                             ; =>This Inner Loop Header: Depth=1
	buffer_load_dword v65, v63, s[0:3], 0 offen
	buffer_load_dword v66, v63, s[0:3], 0 offen offset:4
	ds_read_b64 v[67:68], v62
	v_add_u32_e32 v64, 1, v64
	v_cmp_lt_u32_e32 vcc, 24, v64
	v_add_u32_e32 v62, 8, v62
	s_or_b64 s[12:13], vcc, s[12:13]
	v_add_u32_e32 v63, 8, v63
	s_waitcnt vmcnt(0) lgkmcnt(0)
	v_fma_f64 v[57:58], v[65:66], v[67:68], v[57:58]
	s_andn2_b64 exec, exec, s[12:13]
	s_cbranch_execnz .LBB27_515
; %bb.516:
	s_or_b64 exec, exec, s[12:13]
.LBB27_517:
	s_or_b64 exec, exec, s[10:11]
	v_mov_b32_e32 v62, 0
	ds_read_b64 v[62:63], v62 offset:208
	s_waitcnt lgkmcnt(0)
	v_mul_f64 v[57:58], v[57:58], v[62:63]
	buffer_store_dword v58, off, s[0:3], 0 offset:212
	buffer_store_dword v57, off, s[0:3], 0 offset:208
.LBB27_518:
	s_or_b64 exec, exec, s[8:9]
	buffer_load_dword v57, off, s[0:3], 0 offset:216
	buffer_load_dword v58, off, s[0:3], 0 offset:220
	v_cmp_ne_u32_e32 vcc, 27, v0
	s_waitcnt vmcnt(0)
	ds_write_b64 v60, v[57:58]
	s_waitcnt lgkmcnt(0)
	; wave barrier
	s_and_saveexec_b64 s[8:9], vcc
	s_cbranch_execz .LBB27_528
; %bb.519:
	s_and_b64 vcc, exec, s[4:5]
	s_cbranch_vccnz .LBB27_521
; %bb.520:
	buffer_load_dword v57, v61, s[0:3], 0 offen
	buffer_load_dword v58, v61, s[0:3], 0 offen offset:4
	ds_read_b64 v[61:62], v60
	s_waitcnt vmcnt(0) lgkmcnt(0)
	v_mul_f64 v[57:58], v[57:58], v[61:62]
	s_cbranch_execz .LBB27_522
	s_branch .LBB27_523
.LBB27_521:
                                        ; implicit-def: $vgpr57_vgpr58
.LBB27_522:
	ds_read_b64 v[57:58], v60
.LBB27_523:
	s_and_saveexec_b64 s[4:5], s[6:7]
	s_cbranch_execz .LBB27_527
; %bb.524:
	s_mov_b32 s6, 0
	v_add_u32_e32 v60, 0xe8, v59
	v_add3_u32 v59, v59, s6, 8
	s_mov_b64 s[6:7], 0
.LBB27_525:                             ; =>This Inner Loop Header: Depth=1
	buffer_load_dword v61, v59, s[0:3], 0 offen
	buffer_load_dword v62, v59, s[0:3], 0 offen offset:4
	ds_read_b64 v[63:64], v60
	v_add_u32_e32 v0, 1, v0
	v_cmp_lt_u32_e32 vcc, 25, v0
	v_add_u32_e32 v60, 8, v60
	s_or_b64 s[6:7], vcc, s[6:7]
	v_add_u32_e32 v59, 8, v59
	s_waitcnt vmcnt(0) lgkmcnt(0)
	v_fma_f64 v[57:58], v[61:62], v[63:64], v[57:58]
	s_andn2_b64 exec, exec, s[6:7]
	s_cbranch_execnz .LBB27_525
; %bb.526:
	s_or_b64 exec, exec, s[6:7]
.LBB27_527:
	s_or_b64 exec, exec, s[4:5]
	v_mov_b32_e32 v0, 0
	ds_read_b64 v[59:60], v0 offset:216
	s_waitcnt lgkmcnt(0)
	v_mul_f64 v[57:58], v[57:58], v[59:60]
	buffer_store_dword v58, off, s[0:3], 0 offset:220
	buffer_store_dword v57, off, s[0:3], 0 offset:216
.LBB27_528:
	s_or_b64 exec, exec, s[8:9]
.LBB27_529:
	buffer_load_dword v57, off, s[0:3], 0
	buffer_load_dword v58, off, s[0:3], 0 offset:4
	buffer_load_dword v59, off, s[0:3], 0 offset:8
	;; [unrolled: 1-line block ×23, first 2 shown]
	s_waitcnt vmcnt(22)
	global_store_dwordx2 v[1:2], v[57:58], off
	s_waitcnt vmcnt(21)
	global_store_dwordx2 v[3:4], v[59:60], off
	buffer_load_dword v0, off, s[0:3], 0 offset:96
	buffer_load_dword v1, off, s[0:3], 0 offset:100
	;; [unrolled: 1-line block ×3, first 2 shown]
	s_nop 0
	buffer_load_dword v3, off, s[0:3], 0 offset:108
	buffer_load_dword v57, off, s[0:3], 0 offset:112
	;; [unrolled: 1-line block ×5, first 2 shown]
	s_waitcnt vmcnt(28)
	global_store_dwordx2 v[5:6], v[61:62], off
	s_waitcnt vmcnt(27)
	global_store_dwordx2 v[7:8], v[63:64], off
	buffer_load_dword v4, off, s[0:3], 0 offset:128
	buffer_load_dword v5, off, s[0:3], 0 offset:132
	buffer_load_dword v6, off, s[0:3], 0 offset:136
	s_nop 0
	buffer_load_dword v7, off, s[0:3], 0 offset:140
	buffer_load_dword v61, off, s[0:3], 0 offset:144
	;; [unrolled: 1-line block ×5, first 2 shown]
	s_waitcnt vmcnt(34)
	global_store_dwordx2 v[9:10], v[65:66], off
	s_waitcnt vmcnt(33)
	global_store_dwordx2 v[27:28], v[67:68], off
	buffer_load_dword v8, off, s[0:3], 0 offset:160
	buffer_load_dword v9, off, s[0:3], 0 offset:164
	s_nop 0
	buffer_load_dword v27, off, s[0:3], 0 offset:168
	buffer_load_dword v28, off, s[0:3], 0 offset:172
	;; [unrolled: 1-line block ×6, first 2 shown]
	s_waitcnt vmcnt(40)
	global_store_dwordx2 v[19:20], v[69:70], off
	s_waitcnt vmcnt(39)
	global_store_dwordx2 v[23:24], v[71:72], off
	buffer_load_dword v19, off, s[0:3], 0 offset:192
	buffer_load_dword v20, off, s[0:3], 0 offset:196
	s_nop 0
	buffer_load_dword v23, off, s[0:3], 0 offset:200
	buffer_load_dword v24, off, s[0:3], 0 offset:204
	;; [unrolled: 1-line block ×6, first 2 shown]
	s_waitcnt vmcnt(40)
	global_store_dwordx2 v[13:14], v[73:74], off
	global_store_dwordx2 v[15:16], v[75:76], off
	global_store_dwordx2 v[17:18], v[77:78], off
	global_store_dwordx2 v[21:22], v[79:80], off
	s_waitcnt vmcnt(40)
	global_store_dwordx2 v[25:26], v[0:1], off
	s_waitcnt vmcnt(39)
	global_store_dwordx2 v[29:30], v[2:3], off
	;; [unrolled: 2-line block ×16, first 2 shown]
.LBB27_530:
	s_endpgm
	.section	.rodata,"a",@progbits
	.p2align	6, 0x0
	.amdhsa_kernel _ZN9rocsolver6v33100L18trti2_kernel_smallILi28EdPdEEv13rocblas_fill_17rocblas_diagonal_T1_iil
		.amdhsa_group_segment_fixed_size 448
		.amdhsa_private_segment_fixed_size 240
		.amdhsa_kernarg_size 32
		.amdhsa_user_sgpr_count 6
		.amdhsa_user_sgpr_private_segment_buffer 1
		.amdhsa_user_sgpr_dispatch_ptr 0
		.amdhsa_user_sgpr_queue_ptr 0
		.amdhsa_user_sgpr_kernarg_segment_ptr 1
		.amdhsa_user_sgpr_dispatch_id 0
		.amdhsa_user_sgpr_flat_scratch_init 0
		.amdhsa_user_sgpr_private_segment_size 0
		.amdhsa_uses_dynamic_stack 0
		.amdhsa_system_sgpr_private_segment_wavefront_offset 1
		.amdhsa_system_sgpr_workgroup_id_x 1
		.amdhsa_system_sgpr_workgroup_id_y 0
		.amdhsa_system_sgpr_workgroup_id_z 0
		.amdhsa_system_sgpr_workgroup_info 0
		.amdhsa_system_vgpr_workitem_id 0
		.amdhsa_next_free_vgpr 82
		.amdhsa_next_free_sgpr 41
		.amdhsa_reserve_vcc 1
		.amdhsa_reserve_flat_scratch 0
		.amdhsa_float_round_mode_32 0
		.amdhsa_float_round_mode_16_64 0
		.amdhsa_float_denorm_mode_32 3
		.amdhsa_float_denorm_mode_16_64 3
		.amdhsa_dx10_clamp 1
		.amdhsa_ieee_mode 1
		.amdhsa_fp16_overflow 0
		.amdhsa_exception_fp_ieee_invalid_op 0
		.amdhsa_exception_fp_denorm_src 0
		.amdhsa_exception_fp_ieee_div_zero 0
		.amdhsa_exception_fp_ieee_overflow 0
		.amdhsa_exception_fp_ieee_underflow 0
		.amdhsa_exception_fp_ieee_inexact 0
		.amdhsa_exception_int_div_zero 0
	.end_amdhsa_kernel
	.section	.text._ZN9rocsolver6v33100L18trti2_kernel_smallILi28EdPdEEv13rocblas_fill_17rocblas_diagonal_T1_iil,"axG",@progbits,_ZN9rocsolver6v33100L18trti2_kernel_smallILi28EdPdEEv13rocblas_fill_17rocblas_diagonal_T1_iil,comdat
.Lfunc_end27:
	.size	_ZN9rocsolver6v33100L18trti2_kernel_smallILi28EdPdEEv13rocblas_fill_17rocblas_diagonal_T1_iil, .Lfunc_end27-_ZN9rocsolver6v33100L18trti2_kernel_smallILi28EdPdEEv13rocblas_fill_17rocblas_diagonal_T1_iil
                                        ; -- End function
	.set _ZN9rocsolver6v33100L18trti2_kernel_smallILi28EdPdEEv13rocblas_fill_17rocblas_diagonal_T1_iil.num_vgpr, 82
	.set _ZN9rocsolver6v33100L18trti2_kernel_smallILi28EdPdEEv13rocblas_fill_17rocblas_diagonal_T1_iil.num_agpr, 0
	.set _ZN9rocsolver6v33100L18trti2_kernel_smallILi28EdPdEEv13rocblas_fill_17rocblas_diagonal_T1_iil.numbered_sgpr, 41
	.set _ZN9rocsolver6v33100L18trti2_kernel_smallILi28EdPdEEv13rocblas_fill_17rocblas_diagonal_T1_iil.num_named_barrier, 0
	.set _ZN9rocsolver6v33100L18trti2_kernel_smallILi28EdPdEEv13rocblas_fill_17rocblas_diagonal_T1_iil.private_seg_size, 240
	.set _ZN9rocsolver6v33100L18trti2_kernel_smallILi28EdPdEEv13rocblas_fill_17rocblas_diagonal_T1_iil.uses_vcc, 1
	.set _ZN9rocsolver6v33100L18trti2_kernel_smallILi28EdPdEEv13rocblas_fill_17rocblas_diagonal_T1_iil.uses_flat_scratch, 0
	.set _ZN9rocsolver6v33100L18trti2_kernel_smallILi28EdPdEEv13rocblas_fill_17rocblas_diagonal_T1_iil.has_dyn_sized_stack, 0
	.set _ZN9rocsolver6v33100L18trti2_kernel_smallILi28EdPdEEv13rocblas_fill_17rocblas_diagonal_T1_iil.has_recursion, 0
	.set _ZN9rocsolver6v33100L18trti2_kernel_smallILi28EdPdEEv13rocblas_fill_17rocblas_diagonal_T1_iil.has_indirect_call, 0
	.section	.AMDGPU.csdata,"",@progbits
; Kernel info:
; codeLenInByte = 16232
; TotalNumSgprs: 45
; NumVgprs: 82
; ScratchSize: 240
; MemoryBound: 0
; FloatMode: 240
; IeeeMode: 1
; LDSByteSize: 448 bytes/workgroup (compile time only)
; SGPRBlocks: 5
; VGPRBlocks: 20
; NumSGPRsForWavesPerEU: 45
; NumVGPRsForWavesPerEU: 82
; Occupancy: 3
; WaveLimiterHint : 0
; COMPUTE_PGM_RSRC2:SCRATCH_EN: 1
; COMPUTE_PGM_RSRC2:USER_SGPR: 6
; COMPUTE_PGM_RSRC2:TRAP_HANDLER: 0
; COMPUTE_PGM_RSRC2:TGID_X_EN: 1
; COMPUTE_PGM_RSRC2:TGID_Y_EN: 0
; COMPUTE_PGM_RSRC2:TGID_Z_EN: 0
; COMPUTE_PGM_RSRC2:TIDIG_COMP_CNT: 0
	.section	.text._ZN9rocsolver6v33100L18trti2_kernel_smallILi29EdPdEEv13rocblas_fill_17rocblas_diagonal_T1_iil,"axG",@progbits,_ZN9rocsolver6v33100L18trti2_kernel_smallILi29EdPdEEv13rocblas_fill_17rocblas_diagonal_T1_iil,comdat
	.globl	_ZN9rocsolver6v33100L18trti2_kernel_smallILi29EdPdEEv13rocblas_fill_17rocblas_diagonal_T1_iil ; -- Begin function _ZN9rocsolver6v33100L18trti2_kernel_smallILi29EdPdEEv13rocblas_fill_17rocblas_diagonal_T1_iil
	.p2align	8
	.type	_ZN9rocsolver6v33100L18trti2_kernel_smallILi29EdPdEEv13rocblas_fill_17rocblas_diagonal_T1_iil,@function
_ZN9rocsolver6v33100L18trti2_kernel_smallILi29EdPdEEv13rocblas_fill_17rocblas_diagonal_T1_iil: ; @_ZN9rocsolver6v33100L18trti2_kernel_smallILi29EdPdEEv13rocblas_fill_17rocblas_diagonal_T1_iil
; %bb.0:
	s_add_u32 s0, s0, s7
	s_addc_u32 s1, s1, 0
	v_cmp_gt_u32_e32 vcc, 29, v0
	s_and_saveexec_b64 s[8:9], vcc
	s_cbranch_execz .LBB28_550
; %bb.1:
	s_load_dwordx8 s[8:15], s[4:5], 0x0
	s_ashr_i32 s7, s6, 31
	v_lshlrev_b32_e32 v61, 3, v0
	s_waitcnt lgkmcnt(0)
	s_ashr_i32 s5, s12, 31
	s_mov_b32 s4, s12
	s_mul_hi_u32 s12, s14, s6
	s_mul_i32 s7, s14, s7
	s_add_i32 s7, s12, s7
	s_mul_i32 s12, s15, s6
	s_add_i32 s7, s7, s12
	s_mul_i32 s6, s14, s6
	s_lshl_b64 s[6:7], s[6:7], 3
	s_add_u32 s6, s10, s6
	s_addc_u32 s7, s11, s7
	s_lshl_b64 s[4:5], s[4:5], 3
	s_add_u32 s4, s6, s4
	s_addc_u32 s5, s7, s5
	v_mov_b32_e32 v1, s5
	v_add_co_u32_e32 v3, vcc, s4, v61
	s_ashr_i32 s7, s13, 31
	s_mov_b32 s6, s13
	v_addc_co_u32_e32 v4, vcc, 0, v1, vcc
	s_lshl_b64 s[6:7], s[6:7], 3
	v_add_co_u32_e32 v1, vcc, s6, v3
	s_add_i32 s6, s13, s13
	v_add_u32_e32 v5, s6, v0
	v_ashrrev_i32_e32 v6, 31, v5
	v_mov_b32_e32 v2, s7
	v_lshlrev_b64 v[7:8], 3, v[5:6]
	v_addc_co_u32_e32 v2, vcc, v4, v2, vcc
	v_add_u32_e32 v9, s13, v5
	v_mov_b32_e32 v6, s5
	v_add_co_u32_e32 v7, vcc, s4, v7
	v_ashrrev_i32_e32 v10, 31, v9
	v_addc_co_u32_e32 v8, vcc, v6, v8, vcc
	v_lshlrev_b64 v[5:6], 3, v[9:10]
	v_add_u32_e32 v11, s13, v9
	v_mov_b32_e32 v10, s5
	v_add_co_u32_e32 v5, vcc, s4, v5
	v_ashrrev_i32_e32 v12, 31, v11
	v_addc_co_u32_e32 v6, vcc, v10, v6, vcc
	v_lshlrev_b64 v[9:10], 3, v[11:12]
	;; [unrolled: 6-line block ×3, first 2 shown]
	v_mov_b32_e32 v14, s5
	v_add_co_u32_e32 v11, vcc, s4, v11
	v_add_u32_e32 v13, s13, v13
	v_addc_co_u32_e32 v12, vcc, v14, v12, vcc
	v_ashrrev_i32_e32 v14, 31, v13
	v_lshlrev_b64 v[15:16], 3, v[13:14]
	v_add_u32_e32 v17, s13, v13
	v_mov_b32_e32 v14, s5
	v_add_co_u32_e32 v15, vcc, s4, v15
	v_ashrrev_i32_e32 v18, 31, v17
	v_addc_co_u32_e32 v16, vcc, v14, v16, vcc
	v_lshlrev_b64 v[13:14], 3, v[17:18]
	v_mov_b32_e32 v18, s5
	v_add_co_u32_e32 v13, vcc, s4, v13
	v_add_u32_e32 v17, s13, v17
	v_addc_co_u32_e32 v14, vcc, v18, v14, vcc
	v_ashrrev_i32_e32 v18, 31, v17
	v_lshlrev_b64 v[19:20], 3, v[17:18]
	v_add_u32_e32 v21, s13, v17
	v_mov_b32_e32 v18, s5
	v_add_co_u32_e32 v19, vcc, s4, v19
	v_ashrrev_i32_e32 v22, 31, v21
	v_addc_co_u32_e32 v20, vcc, v18, v20, vcc
	v_lshlrev_b64 v[17:18], 3, v[21:22]
	v_add_u32_e32 v23, s13, v21
	v_mov_b32_e32 v22, s5
	v_add_co_u32_e32 v17, vcc, s4, v17
	v_ashrrev_i32_e32 v24, 31, v23
	v_addc_co_u32_e32 v18, vcc, v22, v18, vcc
	v_lshlrev_b64 v[21:22], 3, v[23:24]
	v_add_u32_e32 v25, s13, v23
	v_mov_b32_e32 v24, s5
	v_add_co_u32_e32 v21, vcc, s4, v21
	v_ashrrev_i32_e32 v26, 31, v25
	v_addc_co_u32_e32 v22, vcc, v24, v22, vcc
	v_lshlrev_b64 v[23:24], 3, v[25:26]
	v_add_u32_e32 v27, s13, v25
	v_mov_b32_e32 v26, s5
	v_add_co_u32_e32 v23, vcc, s4, v23
	v_ashrrev_i32_e32 v28, 31, v27
	v_addc_co_u32_e32 v24, vcc, v26, v24, vcc
	v_lshlrev_b64 v[25:26], 3, v[27:28]
	v_add_u32_e32 v29, s13, v27
	v_mov_b32_e32 v28, s5
	v_add_co_u32_e32 v25, vcc, s4, v25
	v_ashrrev_i32_e32 v30, 31, v29
	v_addc_co_u32_e32 v26, vcc, v28, v26, vcc
	v_lshlrev_b64 v[27:28], 3, v[29:30]
	v_add_u32_e32 v31, s13, v29
	v_mov_b32_e32 v30, s5
	v_add_co_u32_e32 v27, vcc, s4, v27
	v_ashrrev_i32_e32 v32, 31, v31
	v_addc_co_u32_e32 v28, vcc, v30, v28, vcc
	v_lshlrev_b64 v[29:30], 3, v[31:32]
	v_add_u32_e32 v33, s13, v31
	v_mov_b32_e32 v32, s5
	v_add_co_u32_e32 v29, vcc, s4, v29
	v_ashrrev_i32_e32 v34, 31, v33
	v_addc_co_u32_e32 v30, vcc, v32, v30, vcc
	v_lshlrev_b64 v[31:32], 3, v[33:34]
	v_mov_b32_e32 v34, s5
	v_add_co_u32_e32 v31, vcc, s4, v31
	global_load_dwordx2 v[37:38], v61, s[4:5]
	global_load_dwordx2 v[39:40], v[1:2], off
	global_load_dwordx2 v[41:42], v[7:8], off
	;; [unrolled: 1-line block ×12, first 2 shown]
	v_addc_co_u32_e32 v32, vcc, v34, v32, vcc
	global_load_dwordx2 v[64:65], v[27:28], off
	global_load_dwordx2 v[66:67], v[29:30], off
	;; [unrolled: 1-line block ×3, first 2 shown]
	v_add_u32_e32 v35, s13, v33
	v_ashrrev_i32_e32 v36, 31, v35
	v_lshlrev_b64 v[33:34], 3, v[35:36]
	v_mov_b32_e32 v36, s5
	v_add_co_u32_e32 v33, vcc, s4, v33
	v_add_u32_e32 v72, s13, v35
	v_addc_co_u32_e32 v34, vcc, v36, v34, vcc
	v_ashrrev_i32_e32 v73, 31, v72
	global_load_dwordx2 v[70:71], v[33:34], off
	v_lshlrev_b64 v[35:36], 3, v[72:73]
	v_mov_b32_e32 v73, s5
	v_add_co_u32_e32 v35, vcc, s4, v35
	v_addc_co_u32_e32 v36, vcc, v73, v36, vcc
	global_load_dwordx2 v[73:74], v[35:36], off
	s_waitcnt vmcnt(17)
	buffer_store_dword v38, off, s[0:3], 0 offset:4
	buffer_store_dword v37, off, s[0:3], 0
	s_waitcnt vmcnt(18)
	buffer_store_dword v40, off, s[0:3], 0 offset:12
	buffer_store_dword v39, off, s[0:3], 0 offset:8
	s_waitcnt vmcnt(19)
	buffer_store_dword v42, off, s[0:3], 0 offset:20
	buffer_store_dword v41, off, s[0:3], 0 offset:16
	;; [unrolled: 3-line block ×16, first 2 shown]
	v_add_u32_e32 v39, s13, v72
	v_ashrrev_i32_e32 v40, 31, v39
	v_lshlrev_b64 v[37:38], 3, v[39:40]
	v_add_u32_e32 v41, s13, v39
	v_mov_b32_e32 v40, s5
	v_add_co_u32_e32 v37, vcc, s4, v37
	v_ashrrev_i32_e32 v42, 31, v41
	v_addc_co_u32_e32 v38, vcc, v40, v38, vcc
	v_lshlrev_b64 v[39:40], 3, v[41:42]
	v_add_u32_e32 v43, s13, v41
	v_mov_b32_e32 v42, s5
	v_add_co_u32_e32 v39, vcc, s4, v39
	v_ashrrev_i32_e32 v44, 31, v43
	v_addc_co_u32_e32 v40, vcc, v42, v40, vcc
	;; [unrolled: 6-line block ×9, first 2 shown]
	v_lshlrev_b64 v[55:56], 3, v[57:58]
	v_mov_b32_e32 v58, s5
	v_add_co_u32_e32 v55, vcc, s4, v55
	v_add_u32_e32 v57, s13, v57
	v_addc_co_u32_e32 v56, vcc, v58, v56, vcc
	v_ashrrev_i32_e32 v58, 31, v57
	v_lshlrev_b64 v[57:58], 3, v[57:58]
	global_load_dwordx2 v[59:60], v[37:38], off
	v_mov_b32_e32 v76, s5
	v_add_co_u32_e32 v57, vcc, s4, v57
	global_load_dwordx2 v[62:63], v[39:40], off
	global_load_dwordx2 v[64:65], v[41:42], off
	s_waitcnt vmcnt(37)
	buffer_store_dword v73, off, s[0:3], 0 offset:136
	buffer_store_dword v74, off, s[0:3], 0 offset:140
	v_addc_co_u32_e32 v58, vcc, v76, v58, vcc
	global_load_dwordx2 v[66:67], v[43:44], off
	global_load_dwordx2 v[68:69], v[45:46], off
	;; [unrolled: 1-line block ×8, first 2 shown]
	s_cmpk_lg_i32 s9, 0x84
	s_cselect_b64 s[10:11], -1, 0
	s_cmpk_eq_i32 s9, 0x84
	s_waitcnt vmcnt(12)
	buffer_store_dword v59, off, s[0:3], 0 offset:144
	buffer_store_dword v60, off, s[0:3], 0 offset:148
	v_mov_b32_e32 v59, 0
	v_mov_b32_e32 v60, 0xbff00000
	s_waitcnt vmcnt(13)
	buffer_store_dword v63, off, s[0:3], 0 offset:156
	buffer_store_dword v62, off, s[0:3], 0 offset:152
	s_waitcnt vmcnt(14)
	buffer_store_dword v65, off, s[0:3], 0 offset:164
	buffer_store_dword v64, off, s[0:3], 0 offset:160
	;; [unrolled: 3-line block ×10, first 2 shown]
	s_cbranch_scc1 .LBB28_3
; %bb.2:
	v_mov_b32_e32 v59, 0
	v_lshl_add_u32 v70, v0, 3, v59
	buffer_load_dword v59, v70, s[0:3], 0 offen
	buffer_load_dword v60, v70, s[0:3], 0 offen offset:4
	s_waitcnt vmcnt(0)
	v_div_scale_f64 v[62:63], s[4:5], v[59:60], v[59:60], 1.0
	v_rcp_f64_e32 v[64:65], v[62:63]
	v_fma_f64 v[66:67], -v[62:63], v[64:65], 1.0
	v_fma_f64 v[64:65], v[64:65], v[66:67], v[64:65]
	v_div_scale_f64 v[66:67], vcc, 1.0, v[59:60], 1.0
	v_fma_f64 v[68:69], -v[62:63], v[64:65], 1.0
	v_fma_f64 v[64:65], v[64:65], v[68:69], v[64:65]
	v_mul_f64 v[68:69], v[66:67], v[64:65]
	v_fma_f64 v[62:63], -v[62:63], v[68:69], v[66:67]
	v_div_fmas_f64 v[62:63], v[62:63], v[64:65], v[68:69]
	v_div_fixup_f64 v[59:60], v[62:63], v[59:60], 1.0
	buffer_store_dword v59, v70, s[0:3], 0 offen
	buffer_store_dword v60, v70, s[0:3], 0 offen offset:4
	v_xor_b32_e32 v60, 0x80000000, v60
.LBB28_3:
	s_cmpk_eq_i32 s8, 0x79
	v_add_u32_e32 v62, 0xf0, v61
	v_mov_b32_e32 v63, v61
	s_mov_b64 s[4:5], -1
	ds_write_b64 v61, v[59:60]
	s_cbranch_scc1 .LBB28_277
; %bb.4:
	buffer_load_dword v59, off, s[0:3], 0 offset:216
	buffer_load_dword v60, off, s[0:3], 0 offset:220
	s_movk_i32 s12, 0x48
	s_movk_i32 s13, 0x50
	;; [unrolled: 1-line block ×18, first 2 shown]
	v_cmp_eq_u32_e64 s[4:5], 28, v0
	s_waitcnt vmcnt(0)
	ds_write_b64 v62, v[59:60]
	s_waitcnt lgkmcnt(0)
	; wave barrier
	s_and_saveexec_b64 s[6:7], s[4:5]
	s_cbranch_execz .LBB28_10
; %bb.5:
	s_and_b64 vcc, exec, s[10:11]
	s_cbranch_vccz .LBB28_7
; %bb.6:
	buffer_load_dword v59, v63, s[0:3], 0 offen
	buffer_load_dword v60, v63, s[0:3], 0 offen offset:4
	ds_read_b64 v[64:65], v62
	s_waitcnt vmcnt(0) lgkmcnt(0)
	v_mul_f64 v[59:60], v[59:60], v[64:65]
	s_cbranch_execz .LBB28_8
	s_branch .LBB28_9
.LBB28_7:
                                        ; implicit-def: $vgpr59_vgpr60
.LBB28_8:
	ds_read_b64 v[59:60], v62
.LBB28_9:
	v_mov_b32_e32 v64, 0
	ds_read_b64 v[64:65], v64 offset:216
	s_waitcnt lgkmcnt(0)
	v_mul_f64 v[59:60], v[59:60], v[64:65]
	buffer_store_dword v60, off, s[0:3], 0 offset:220
	buffer_store_dword v59, off, s[0:3], 0 offset:216
.LBB28_10:
	s_or_b64 exec, exec, s[6:7]
	buffer_load_dword v59, off, s[0:3], 0 offset:208
	buffer_load_dword v60, off, s[0:3], 0 offset:212
	s_or_b32 s14, 0, 8
	s_mov_b32 s15, 16
	s_mov_b32 s16, 24
	;; [unrolled: 1-line block ×9, first 2 shown]
	v_cmp_lt_u32_e64 s[6:7], 26, v0
	s_waitcnt vmcnt(0)
	ds_write_b64 v62, v[59:60]
	s_waitcnt lgkmcnt(0)
	; wave barrier
	s_and_saveexec_b64 s[8:9], s[6:7]
	s_cbranch_execz .LBB28_16
; %bb.11:
	s_andn2_b64 vcc, exec, s[10:11]
	s_cbranch_vccnz .LBB28_13
; %bb.12:
	buffer_load_dword v59, v63, s[0:3], 0 offen
	buffer_load_dword v60, v63, s[0:3], 0 offen offset:4
	ds_read_b64 v[64:65], v62
	s_waitcnt vmcnt(0) lgkmcnt(0)
	v_mul_f64 v[59:60], v[59:60], v[64:65]
	s_cbranch_execz .LBB28_14
	s_branch .LBB28_15
.LBB28_13:
                                        ; implicit-def: $vgpr59_vgpr60
.LBB28_14:
	ds_read_b64 v[59:60], v62
.LBB28_15:
	buffer_load_dword v68, off, s[0:3], 0 offset:216
	buffer_load_dword v69, off, s[0:3], 0 offset:220
	v_mov_b32_e32 v64, 0
	ds_read2_b64 v[64:67], v64 offset0:26 offset1:57
	s_waitcnt vmcnt(0) lgkmcnt(0)
	v_fma_f64 v[66:67], v[68:69], v[66:67], v[59:60]
	v_cndmask_b32_e64 v60, v60, v67, s[4:5]
	v_cndmask_b32_e64 v59, v59, v66, s[4:5]
	v_mul_f64 v[59:60], v[59:60], v[64:65]
	buffer_store_dword v60, off, s[0:3], 0 offset:212
	buffer_store_dword v59, off, s[0:3], 0 offset:208
.LBB28_16:
	s_or_b64 exec, exec, s[8:9]
	buffer_load_dword v59, off, s[0:3], 0 offset:200
	buffer_load_dword v60, off, s[0:3], 0 offset:204
	v_cmp_lt_u32_e64 s[4:5], 25, v0
	s_waitcnt vmcnt(0)
	ds_write_b64 v62, v[59:60]
	s_waitcnt lgkmcnt(0)
	; wave barrier
	s_and_saveexec_b64 s[8:9], s[4:5]
	s_cbranch_execz .LBB28_26
; %bb.17:
	s_andn2_b64 vcc, exec, s[10:11]
	s_cbranch_vccnz .LBB28_19
; %bb.18:
	buffer_load_dword v59, v63, s[0:3], 0 offen
	buffer_load_dword v60, v63, s[0:3], 0 offen offset:4
	ds_read_b64 v[64:65], v62
	s_waitcnt vmcnt(0) lgkmcnt(0)
	v_mul_f64 v[59:60], v[59:60], v[64:65]
	s_cbranch_execz .LBB28_20
	s_branch .LBB28_21
.LBB28_19:
                                        ; implicit-def: $vgpr59_vgpr60
.LBB28_20:
	ds_read_b64 v[59:60], v62
.LBB28_21:
	s_and_saveexec_b64 s[12:13], s[6:7]
	s_cbranch_execz .LBB28_25
; %bb.22:
	v_subrev_u32_e32 v64, 26, v0
	s_movk_i32 s41, 0x1c0
	s_mov_b64 s[6:7], 0
.LBB28_23:                              ; =>This Inner Loop Header: Depth=1
	v_mov_b32_e32 v67, s40
	buffer_load_dword v65, v67, s[0:3], 0 offen
	buffer_load_dword v66, v67, s[0:3], 0 offen offset:4
	v_mov_b32_e32 v67, s41
	ds_read_b64 v[67:68], v67
	v_add_u32_e32 v64, -1, v64
	s_add_i32 s41, s41, 8
	s_add_i32 s40, s40, 8
	v_cmp_eq_u32_e32 vcc, 0, v64
	s_or_b64 s[6:7], vcc, s[6:7]
	s_waitcnt vmcnt(0) lgkmcnt(0)
	v_fma_f64 v[59:60], v[65:66], v[67:68], v[59:60]
	s_andn2_b64 exec, exec, s[6:7]
	s_cbranch_execnz .LBB28_23
; %bb.24:
	s_or_b64 exec, exec, s[6:7]
.LBB28_25:
	s_or_b64 exec, exec, s[12:13]
	v_mov_b32_e32 v64, 0
	ds_read_b64 v[64:65], v64 offset:200
	s_waitcnt lgkmcnt(0)
	v_mul_f64 v[59:60], v[59:60], v[64:65]
	buffer_store_dword v60, off, s[0:3], 0 offset:204
	buffer_store_dword v59, off, s[0:3], 0 offset:200
.LBB28_26:
	s_or_b64 exec, exec, s[8:9]
	buffer_load_dword v59, off, s[0:3], 0 offset:192
	buffer_load_dword v60, off, s[0:3], 0 offset:196
	v_cmp_lt_u32_e64 s[6:7], 24, v0
	s_waitcnt vmcnt(0)
	ds_write_b64 v62, v[59:60]
	s_waitcnt lgkmcnt(0)
	; wave barrier
	s_and_saveexec_b64 s[8:9], s[6:7]
	s_cbranch_execz .LBB28_36
; %bb.27:
	s_andn2_b64 vcc, exec, s[10:11]
	s_cbranch_vccnz .LBB28_29
; %bb.28:
	buffer_load_dword v59, v63, s[0:3], 0 offen
	buffer_load_dword v60, v63, s[0:3], 0 offen offset:4
	ds_read_b64 v[64:65], v62
	s_waitcnt vmcnt(0) lgkmcnt(0)
	v_mul_f64 v[59:60], v[59:60], v[64:65]
	s_cbranch_execz .LBB28_30
	s_branch .LBB28_31
.LBB28_29:
                                        ; implicit-def: $vgpr59_vgpr60
.LBB28_30:
	ds_read_b64 v[59:60], v62
.LBB28_31:
	s_and_saveexec_b64 s[12:13], s[4:5]
	s_cbranch_execz .LBB28_35
; %bb.32:
	v_subrev_u32_e32 v64, 25, v0
	s_movk_i32 s40, 0x1b8
	s_mov_b64 s[4:5], 0
.LBB28_33:                              ; =>This Inner Loop Header: Depth=1
	v_mov_b32_e32 v67, s39
	buffer_load_dword v65, v67, s[0:3], 0 offen
	buffer_load_dword v66, v67, s[0:3], 0 offen offset:4
	v_mov_b32_e32 v67, s40
	ds_read_b64 v[67:68], v67
	v_add_u32_e32 v64, -1, v64
	s_add_i32 s40, s40, 8
	s_add_i32 s39, s39, 8
	v_cmp_eq_u32_e32 vcc, 0, v64
	s_or_b64 s[4:5], vcc, s[4:5]
	s_waitcnt vmcnt(0) lgkmcnt(0)
	v_fma_f64 v[59:60], v[65:66], v[67:68], v[59:60]
	s_andn2_b64 exec, exec, s[4:5]
	s_cbranch_execnz .LBB28_33
; %bb.34:
	s_or_b64 exec, exec, s[4:5]
.LBB28_35:
	s_or_b64 exec, exec, s[12:13]
	v_mov_b32_e32 v64, 0
	ds_read_b64 v[64:65], v64 offset:192
	s_waitcnt lgkmcnt(0)
	v_mul_f64 v[59:60], v[59:60], v[64:65]
	buffer_store_dword v60, off, s[0:3], 0 offset:196
	buffer_store_dword v59, off, s[0:3], 0 offset:192
.LBB28_36:
	;; [unrolled: 58-line block ×8, first 2 shown]
	s_or_b64 exec, exec, s[8:9]
	buffer_load_dword v59, off, s[0:3], 0 offset:136
	buffer_load_dword v60, off, s[0:3], 0 offset:140
	v_cmp_lt_u32_e64 s[4:5], 17, v0
	s_waitcnt vmcnt(0)
	ds_write_b64 v62, v[59:60]
	s_waitcnt lgkmcnt(0)
	; wave barrier
	s_and_saveexec_b64 s[8:9], s[4:5]
	s_cbranch_execz .LBB28_106
; %bb.97:
	s_andn2_b64 vcc, exec, s[10:11]
	s_cbranch_vccnz .LBB28_99
; %bb.98:
	buffer_load_dword v59, v63, s[0:3], 0 offen
	buffer_load_dword v60, v63, s[0:3], 0 offen offset:4
	ds_read_b64 v[64:65], v62
	s_waitcnt vmcnt(0) lgkmcnt(0)
	v_mul_f64 v[59:60], v[59:60], v[64:65]
	s_cbranch_execz .LBB28_100
	s_branch .LBB28_101
.LBB28_99:
                                        ; implicit-def: $vgpr59_vgpr60
.LBB28_100:
	ds_read_b64 v[59:60], v62
.LBB28_101:
	s_and_saveexec_b64 s[12:13], s[6:7]
	s_cbranch_execz .LBB28_105
; %bb.102:
	v_subrev_u32_e32 v64, 18, v0
	s_movk_i32 s33, 0x180
	s_mov_b64 s[6:7], 0
.LBB28_103:                             ; =>This Inner Loop Header: Depth=1
	v_mov_b32_e32 v67, s31
	buffer_load_dword v65, v67, s[0:3], 0 offen
	buffer_load_dword v66, v67, s[0:3], 0 offen offset:4
	v_mov_b32_e32 v67, s33
	ds_read_b64 v[67:68], v67
	v_add_u32_e32 v64, -1, v64
	s_add_i32 s33, s33, 8
	s_add_i32 s31, s31, 8
	v_cmp_eq_u32_e32 vcc, 0, v64
	s_or_b64 s[6:7], vcc, s[6:7]
	s_waitcnt vmcnt(0) lgkmcnt(0)
	v_fma_f64 v[59:60], v[65:66], v[67:68], v[59:60]
	s_andn2_b64 exec, exec, s[6:7]
	s_cbranch_execnz .LBB28_103
; %bb.104:
	s_or_b64 exec, exec, s[6:7]
.LBB28_105:
	s_or_b64 exec, exec, s[12:13]
	v_mov_b32_e32 v64, 0
	ds_read_b64 v[64:65], v64 offset:136
	s_waitcnt lgkmcnt(0)
	v_mul_f64 v[59:60], v[59:60], v[64:65]
	buffer_store_dword v60, off, s[0:3], 0 offset:140
	buffer_store_dword v59, off, s[0:3], 0 offset:136
.LBB28_106:
	s_or_b64 exec, exec, s[8:9]
	buffer_load_dword v59, off, s[0:3], 0 offset:128
	buffer_load_dword v60, off, s[0:3], 0 offset:132
	v_cmp_lt_u32_e64 s[6:7], 16, v0
	s_waitcnt vmcnt(0)
	ds_write_b64 v62, v[59:60]
	s_waitcnt lgkmcnt(0)
	; wave barrier
	s_and_saveexec_b64 s[8:9], s[6:7]
	s_cbranch_execz .LBB28_116
; %bb.107:
	s_andn2_b64 vcc, exec, s[10:11]
	s_cbranch_vccnz .LBB28_109
; %bb.108:
	buffer_load_dword v59, v63, s[0:3], 0 offen
	buffer_load_dword v60, v63, s[0:3], 0 offen offset:4
	ds_read_b64 v[64:65], v62
	s_waitcnt vmcnt(0) lgkmcnt(0)
	v_mul_f64 v[59:60], v[59:60], v[64:65]
	s_cbranch_execz .LBB28_110
	s_branch .LBB28_111
.LBB28_109:
                                        ; implicit-def: $vgpr59_vgpr60
.LBB28_110:
	ds_read_b64 v[59:60], v62
.LBB28_111:
	s_and_saveexec_b64 s[12:13], s[4:5]
	s_cbranch_execz .LBB28_115
; %bb.112:
	v_subrev_u32_e32 v64, 17, v0
	s_movk_i32 s31, 0x178
	s_mov_b64 s[4:5], 0
.LBB28_113:                             ; =>This Inner Loop Header: Depth=1
	v_mov_b32_e32 v67, s30
	buffer_load_dword v65, v67, s[0:3], 0 offen
	buffer_load_dword v66, v67, s[0:3], 0 offen offset:4
	v_mov_b32_e32 v67, s31
	ds_read_b64 v[67:68], v67
	v_add_u32_e32 v64, -1, v64
	s_add_i32 s31, s31, 8
	s_add_i32 s30, s30, 8
	v_cmp_eq_u32_e32 vcc, 0, v64
	s_or_b64 s[4:5], vcc, s[4:5]
	s_waitcnt vmcnt(0) lgkmcnt(0)
	v_fma_f64 v[59:60], v[65:66], v[67:68], v[59:60]
	s_andn2_b64 exec, exec, s[4:5]
	s_cbranch_execnz .LBB28_113
; %bb.114:
	s_or_b64 exec, exec, s[4:5]
.LBB28_115:
	s_or_b64 exec, exec, s[12:13]
	v_mov_b32_e32 v64, 0
	ds_read_b64 v[64:65], v64 offset:128
	s_waitcnt lgkmcnt(0)
	v_mul_f64 v[59:60], v[59:60], v[64:65]
	buffer_store_dword v60, off, s[0:3], 0 offset:132
	buffer_store_dword v59, off, s[0:3], 0 offset:128
.LBB28_116:
	s_or_b64 exec, exec, s[8:9]
	buffer_load_dword v59, off, s[0:3], 0 offset:120
	buffer_load_dword v60, off, s[0:3], 0 offset:124
	v_cmp_lt_u32_e64 s[4:5], 15, v0
	s_waitcnt vmcnt(0)
	ds_write_b64 v62, v[59:60]
	s_waitcnt lgkmcnt(0)
	; wave barrier
	s_and_saveexec_b64 s[8:9], s[4:5]
	s_cbranch_execz .LBB28_126
; %bb.117:
	s_andn2_b64 vcc, exec, s[10:11]
	s_cbranch_vccnz .LBB28_119
; %bb.118:
	buffer_load_dword v59, v63, s[0:3], 0 offen
	buffer_load_dword v60, v63, s[0:3], 0 offen offset:4
	ds_read_b64 v[64:65], v62
	s_waitcnt vmcnt(0) lgkmcnt(0)
	v_mul_f64 v[59:60], v[59:60], v[64:65]
	s_cbranch_execz .LBB28_120
	s_branch .LBB28_121
.LBB28_119:
                                        ; implicit-def: $vgpr59_vgpr60
.LBB28_120:
	ds_read_b64 v[59:60], v62
.LBB28_121:
	s_and_saveexec_b64 s[12:13], s[6:7]
	s_cbranch_execz .LBB28_125
; %bb.122:
	v_add_u32_e32 v64, -16, v0
	s_movk_i32 s30, 0x170
	s_mov_b64 s[6:7], 0
.LBB28_123:                             ; =>This Inner Loop Header: Depth=1
	v_mov_b32_e32 v67, s29
	buffer_load_dword v65, v67, s[0:3], 0 offen
	buffer_load_dword v66, v67, s[0:3], 0 offen offset:4
	v_mov_b32_e32 v67, s30
	ds_read_b64 v[67:68], v67
	v_add_u32_e32 v64, -1, v64
	s_add_i32 s30, s30, 8
	s_add_i32 s29, s29, 8
	v_cmp_eq_u32_e32 vcc, 0, v64
	s_or_b64 s[6:7], vcc, s[6:7]
	s_waitcnt vmcnt(0) lgkmcnt(0)
	v_fma_f64 v[59:60], v[65:66], v[67:68], v[59:60]
	s_andn2_b64 exec, exec, s[6:7]
	s_cbranch_execnz .LBB28_123
; %bb.124:
	s_or_b64 exec, exec, s[6:7]
.LBB28_125:
	s_or_b64 exec, exec, s[12:13]
	v_mov_b32_e32 v64, 0
	ds_read_b64 v[64:65], v64 offset:120
	s_waitcnt lgkmcnt(0)
	v_mul_f64 v[59:60], v[59:60], v[64:65]
	buffer_store_dword v60, off, s[0:3], 0 offset:124
	buffer_store_dword v59, off, s[0:3], 0 offset:120
.LBB28_126:
	s_or_b64 exec, exec, s[8:9]
	buffer_load_dword v59, off, s[0:3], 0 offset:112
	buffer_load_dword v60, off, s[0:3], 0 offset:116
	v_cmp_lt_u32_e64 s[6:7], 14, v0
	s_waitcnt vmcnt(0)
	ds_write_b64 v62, v[59:60]
	s_waitcnt lgkmcnt(0)
	; wave barrier
	s_and_saveexec_b64 s[8:9], s[6:7]
	s_cbranch_execz .LBB28_136
; %bb.127:
	s_andn2_b64 vcc, exec, s[10:11]
	s_cbranch_vccnz .LBB28_129
; %bb.128:
	buffer_load_dword v59, v63, s[0:3], 0 offen
	buffer_load_dword v60, v63, s[0:3], 0 offen offset:4
	ds_read_b64 v[64:65], v62
	s_waitcnt vmcnt(0) lgkmcnt(0)
	v_mul_f64 v[59:60], v[59:60], v[64:65]
	s_cbranch_execz .LBB28_130
	s_branch .LBB28_131
.LBB28_129:
                                        ; implicit-def: $vgpr59_vgpr60
.LBB28_130:
	ds_read_b64 v[59:60], v62
.LBB28_131:
	s_and_saveexec_b64 s[12:13], s[4:5]
	s_cbranch_execz .LBB28_135
; %bb.132:
	v_add_u32_e32 v64, -15, v0
	s_movk_i32 s29, 0x168
	s_mov_b64 s[4:5], 0
.LBB28_133:                             ; =>This Inner Loop Header: Depth=1
	v_mov_b32_e32 v67, s28
	buffer_load_dword v65, v67, s[0:3], 0 offen
	buffer_load_dword v66, v67, s[0:3], 0 offen offset:4
	v_mov_b32_e32 v67, s29
	ds_read_b64 v[67:68], v67
	v_add_u32_e32 v64, -1, v64
	s_add_i32 s29, s29, 8
	s_add_i32 s28, s28, 8
	v_cmp_eq_u32_e32 vcc, 0, v64
	s_or_b64 s[4:5], vcc, s[4:5]
	s_waitcnt vmcnt(0) lgkmcnt(0)
	v_fma_f64 v[59:60], v[65:66], v[67:68], v[59:60]
	s_andn2_b64 exec, exec, s[4:5]
	s_cbranch_execnz .LBB28_133
; %bb.134:
	s_or_b64 exec, exec, s[4:5]
.LBB28_135:
	s_or_b64 exec, exec, s[12:13]
	v_mov_b32_e32 v64, 0
	ds_read_b64 v[64:65], v64 offset:112
	s_waitcnt lgkmcnt(0)
	v_mul_f64 v[59:60], v[59:60], v[64:65]
	buffer_store_dword v60, off, s[0:3], 0 offset:116
	buffer_store_dword v59, off, s[0:3], 0 offset:112
.LBB28_136:
	s_or_b64 exec, exec, s[8:9]
	buffer_load_dword v59, off, s[0:3], 0 offset:104
	buffer_load_dword v60, off, s[0:3], 0 offset:108
	v_cmp_lt_u32_e64 s[4:5], 13, v0
	s_waitcnt vmcnt(0)
	ds_write_b64 v62, v[59:60]
	s_waitcnt lgkmcnt(0)
	; wave barrier
	s_and_saveexec_b64 s[8:9], s[4:5]
	s_cbranch_execz .LBB28_146
; %bb.137:
	s_andn2_b64 vcc, exec, s[10:11]
	s_cbranch_vccnz .LBB28_139
; %bb.138:
	buffer_load_dword v59, v63, s[0:3], 0 offen
	buffer_load_dword v60, v63, s[0:3], 0 offen offset:4
	ds_read_b64 v[64:65], v62
	s_waitcnt vmcnt(0) lgkmcnt(0)
	v_mul_f64 v[59:60], v[59:60], v[64:65]
	s_cbranch_execz .LBB28_140
	s_branch .LBB28_141
.LBB28_139:
                                        ; implicit-def: $vgpr59_vgpr60
.LBB28_140:
	ds_read_b64 v[59:60], v62
.LBB28_141:
	s_and_saveexec_b64 s[12:13], s[6:7]
	s_cbranch_execz .LBB28_145
; %bb.142:
	v_add_u32_e32 v64, -14, v0
	s_movk_i32 s28, 0x160
	s_mov_b64 s[6:7], 0
.LBB28_143:                             ; =>This Inner Loop Header: Depth=1
	v_mov_b32_e32 v67, s27
	buffer_load_dword v65, v67, s[0:3], 0 offen
	buffer_load_dword v66, v67, s[0:3], 0 offen offset:4
	v_mov_b32_e32 v67, s28
	ds_read_b64 v[67:68], v67
	v_add_u32_e32 v64, -1, v64
	s_add_i32 s28, s28, 8
	s_add_i32 s27, s27, 8
	v_cmp_eq_u32_e32 vcc, 0, v64
	s_or_b64 s[6:7], vcc, s[6:7]
	s_waitcnt vmcnt(0) lgkmcnt(0)
	v_fma_f64 v[59:60], v[65:66], v[67:68], v[59:60]
	s_andn2_b64 exec, exec, s[6:7]
	s_cbranch_execnz .LBB28_143
; %bb.144:
	s_or_b64 exec, exec, s[6:7]
.LBB28_145:
	s_or_b64 exec, exec, s[12:13]
	v_mov_b32_e32 v64, 0
	ds_read_b64 v[64:65], v64 offset:104
	s_waitcnt lgkmcnt(0)
	v_mul_f64 v[59:60], v[59:60], v[64:65]
	buffer_store_dword v60, off, s[0:3], 0 offset:108
	buffer_store_dword v59, off, s[0:3], 0 offset:104
.LBB28_146:
	s_or_b64 exec, exec, s[8:9]
	buffer_load_dword v59, off, s[0:3], 0 offset:96
	buffer_load_dword v60, off, s[0:3], 0 offset:100
	v_cmp_lt_u32_e64 s[6:7], 12, v0
	s_waitcnt vmcnt(0)
	ds_write_b64 v62, v[59:60]
	s_waitcnt lgkmcnt(0)
	; wave barrier
	s_and_saveexec_b64 s[8:9], s[6:7]
	s_cbranch_execz .LBB28_156
; %bb.147:
	s_andn2_b64 vcc, exec, s[10:11]
	s_cbranch_vccnz .LBB28_149
; %bb.148:
	buffer_load_dword v59, v63, s[0:3], 0 offen
	buffer_load_dword v60, v63, s[0:3], 0 offen offset:4
	ds_read_b64 v[64:65], v62
	s_waitcnt vmcnt(0) lgkmcnt(0)
	v_mul_f64 v[59:60], v[59:60], v[64:65]
	s_cbranch_execz .LBB28_150
	s_branch .LBB28_151
.LBB28_149:
                                        ; implicit-def: $vgpr59_vgpr60
.LBB28_150:
	ds_read_b64 v[59:60], v62
.LBB28_151:
	s_and_saveexec_b64 s[12:13], s[4:5]
	s_cbranch_execz .LBB28_155
; %bb.152:
	v_add_u32_e32 v64, -13, v0
	s_movk_i32 s27, 0x158
	s_mov_b64 s[4:5], 0
.LBB28_153:                             ; =>This Inner Loop Header: Depth=1
	v_mov_b32_e32 v67, s26
	buffer_load_dword v65, v67, s[0:3], 0 offen
	buffer_load_dword v66, v67, s[0:3], 0 offen offset:4
	v_mov_b32_e32 v67, s27
	ds_read_b64 v[67:68], v67
	v_add_u32_e32 v64, -1, v64
	s_add_i32 s27, s27, 8
	s_add_i32 s26, s26, 8
	v_cmp_eq_u32_e32 vcc, 0, v64
	s_or_b64 s[4:5], vcc, s[4:5]
	s_waitcnt vmcnt(0) lgkmcnt(0)
	v_fma_f64 v[59:60], v[65:66], v[67:68], v[59:60]
	s_andn2_b64 exec, exec, s[4:5]
	s_cbranch_execnz .LBB28_153
; %bb.154:
	s_or_b64 exec, exec, s[4:5]
.LBB28_155:
	s_or_b64 exec, exec, s[12:13]
	v_mov_b32_e32 v64, 0
	ds_read_b64 v[64:65], v64 offset:96
	s_waitcnt lgkmcnt(0)
	v_mul_f64 v[59:60], v[59:60], v[64:65]
	buffer_store_dword v60, off, s[0:3], 0 offset:100
	buffer_store_dword v59, off, s[0:3], 0 offset:96
.LBB28_156:
	s_or_b64 exec, exec, s[8:9]
	buffer_load_dword v59, off, s[0:3], 0 offset:88
	buffer_load_dword v60, off, s[0:3], 0 offset:92
	v_cmp_lt_u32_e64 s[4:5], 11, v0
	s_waitcnt vmcnt(0)
	ds_write_b64 v62, v[59:60]
	s_waitcnt lgkmcnt(0)
	; wave barrier
	s_and_saveexec_b64 s[8:9], s[4:5]
	s_cbranch_execz .LBB28_166
; %bb.157:
	s_andn2_b64 vcc, exec, s[10:11]
	s_cbranch_vccnz .LBB28_159
; %bb.158:
	buffer_load_dword v59, v63, s[0:3], 0 offen
	buffer_load_dword v60, v63, s[0:3], 0 offen offset:4
	ds_read_b64 v[64:65], v62
	s_waitcnt vmcnt(0) lgkmcnt(0)
	v_mul_f64 v[59:60], v[59:60], v[64:65]
	s_cbranch_execz .LBB28_160
	s_branch .LBB28_161
.LBB28_159:
                                        ; implicit-def: $vgpr59_vgpr60
.LBB28_160:
	ds_read_b64 v[59:60], v62
.LBB28_161:
	s_and_saveexec_b64 s[12:13], s[6:7]
	s_cbranch_execz .LBB28_165
; %bb.162:
	v_add_u32_e32 v64, -12, v0
	s_movk_i32 s26, 0x150
	s_mov_b64 s[6:7], 0
.LBB28_163:                             ; =>This Inner Loop Header: Depth=1
	v_mov_b32_e32 v67, s25
	buffer_load_dword v65, v67, s[0:3], 0 offen
	buffer_load_dword v66, v67, s[0:3], 0 offen offset:4
	v_mov_b32_e32 v67, s26
	ds_read_b64 v[67:68], v67
	v_add_u32_e32 v64, -1, v64
	s_add_i32 s26, s26, 8
	s_add_i32 s25, s25, 8
	v_cmp_eq_u32_e32 vcc, 0, v64
	s_or_b64 s[6:7], vcc, s[6:7]
	s_waitcnt vmcnt(0) lgkmcnt(0)
	v_fma_f64 v[59:60], v[65:66], v[67:68], v[59:60]
	s_andn2_b64 exec, exec, s[6:7]
	s_cbranch_execnz .LBB28_163
; %bb.164:
	s_or_b64 exec, exec, s[6:7]
.LBB28_165:
	s_or_b64 exec, exec, s[12:13]
	v_mov_b32_e32 v64, 0
	ds_read_b64 v[64:65], v64 offset:88
	s_waitcnt lgkmcnt(0)
	v_mul_f64 v[59:60], v[59:60], v[64:65]
	buffer_store_dword v60, off, s[0:3], 0 offset:92
	buffer_store_dword v59, off, s[0:3], 0 offset:88
.LBB28_166:
	s_or_b64 exec, exec, s[8:9]
	buffer_load_dword v59, off, s[0:3], 0 offset:80
	buffer_load_dword v60, off, s[0:3], 0 offset:84
	v_cmp_lt_u32_e64 s[6:7], 10, v0
	s_waitcnt vmcnt(0)
	ds_write_b64 v62, v[59:60]
	s_waitcnt lgkmcnt(0)
	; wave barrier
	s_and_saveexec_b64 s[8:9], s[6:7]
	s_cbranch_execz .LBB28_176
; %bb.167:
	s_andn2_b64 vcc, exec, s[10:11]
	s_cbranch_vccnz .LBB28_169
; %bb.168:
	buffer_load_dword v59, v63, s[0:3], 0 offen
	buffer_load_dword v60, v63, s[0:3], 0 offen offset:4
	ds_read_b64 v[64:65], v62
	s_waitcnt vmcnt(0) lgkmcnt(0)
	v_mul_f64 v[59:60], v[59:60], v[64:65]
	s_cbranch_execz .LBB28_170
	s_branch .LBB28_171
.LBB28_169:
                                        ; implicit-def: $vgpr59_vgpr60
.LBB28_170:
	ds_read_b64 v[59:60], v62
.LBB28_171:
	s_and_saveexec_b64 s[12:13], s[4:5]
	s_cbranch_execz .LBB28_175
; %bb.172:
	v_add_u32_e32 v64, -11, v0
	s_movk_i32 s25, 0x148
	s_mov_b64 s[4:5], 0
.LBB28_173:                             ; =>This Inner Loop Header: Depth=1
	v_mov_b32_e32 v67, s24
	buffer_load_dword v65, v67, s[0:3], 0 offen
	buffer_load_dword v66, v67, s[0:3], 0 offen offset:4
	v_mov_b32_e32 v67, s25
	ds_read_b64 v[67:68], v67
	v_add_u32_e32 v64, -1, v64
	s_add_i32 s25, s25, 8
	s_add_i32 s24, s24, 8
	v_cmp_eq_u32_e32 vcc, 0, v64
	s_or_b64 s[4:5], vcc, s[4:5]
	s_waitcnt vmcnt(0) lgkmcnt(0)
	v_fma_f64 v[59:60], v[65:66], v[67:68], v[59:60]
	s_andn2_b64 exec, exec, s[4:5]
	s_cbranch_execnz .LBB28_173
; %bb.174:
	s_or_b64 exec, exec, s[4:5]
.LBB28_175:
	s_or_b64 exec, exec, s[12:13]
	v_mov_b32_e32 v64, 0
	ds_read_b64 v[64:65], v64 offset:80
	s_waitcnt lgkmcnt(0)
	v_mul_f64 v[59:60], v[59:60], v[64:65]
	buffer_store_dword v60, off, s[0:3], 0 offset:84
	buffer_store_dword v59, off, s[0:3], 0 offset:80
.LBB28_176:
	s_or_b64 exec, exec, s[8:9]
	buffer_load_dword v59, off, s[0:3], 0 offset:72
	buffer_load_dword v60, off, s[0:3], 0 offset:76
	v_cmp_lt_u32_e64 s[4:5], 9, v0
	s_waitcnt vmcnt(0)
	ds_write_b64 v62, v[59:60]
	s_waitcnt lgkmcnt(0)
	; wave barrier
	s_and_saveexec_b64 s[8:9], s[4:5]
	s_cbranch_execz .LBB28_186
; %bb.177:
	s_andn2_b64 vcc, exec, s[10:11]
	s_cbranch_vccnz .LBB28_179
; %bb.178:
	buffer_load_dword v59, v63, s[0:3], 0 offen
	buffer_load_dword v60, v63, s[0:3], 0 offen offset:4
	ds_read_b64 v[64:65], v62
	s_waitcnt vmcnt(0) lgkmcnt(0)
	v_mul_f64 v[59:60], v[59:60], v[64:65]
	s_cbranch_execz .LBB28_180
	s_branch .LBB28_181
.LBB28_179:
                                        ; implicit-def: $vgpr59_vgpr60
.LBB28_180:
	ds_read_b64 v[59:60], v62
.LBB28_181:
	s_and_saveexec_b64 s[12:13], s[6:7]
	s_cbranch_execz .LBB28_185
; %bb.182:
	v_add_u32_e32 v64, -10, v0
	s_movk_i32 s24, 0x140
	s_mov_b64 s[6:7], 0
.LBB28_183:                             ; =>This Inner Loop Header: Depth=1
	v_mov_b32_e32 v67, s23
	buffer_load_dword v65, v67, s[0:3], 0 offen
	buffer_load_dword v66, v67, s[0:3], 0 offen offset:4
	v_mov_b32_e32 v67, s24
	ds_read_b64 v[67:68], v67
	v_add_u32_e32 v64, -1, v64
	s_add_i32 s24, s24, 8
	s_add_i32 s23, s23, 8
	v_cmp_eq_u32_e32 vcc, 0, v64
	s_or_b64 s[6:7], vcc, s[6:7]
	s_waitcnt vmcnt(0) lgkmcnt(0)
	v_fma_f64 v[59:60], v[65:66], v[67:68], v[59:60]
	s_andn2_b64 exec, exec, s[6:7]
	s_cbranch_execnz .LBB28_183
; %bb.184:
	s_or_b64 exec, exec, s[6:7]
.LBB28_185:
	s_or_b64 exec, exec, s[12:13]
	v_mov_b32_e32 v64, 0
	ds_read_b64 v[64:65], v64 offset:72
	s_waitcnt lgkmcnt(0)
	v_mul_f64 v[59:60], v[59:60], v[64:65]
	buffer_store_dword v60, off, s[0:3], 0 offset:76
	buffer_store_dword v59, off, s[0:3], 0 offset:72
.LBB28_186:
	s_or_b64 exec, exec, s[8:9]
	buffer_load_dword v59, off, s[0:3], 0 offset:64
	buffer_load_dword v60, off, s[0:3], 0 offset:68
	v_cmp_lt_u32_e64 s[6:7], 8, v0
	s_waitcnt vmcnt(0)
	ds_write_b64 v62, v[59:60]
	s_waitcnt lgkmcnt(0)
	; wave barrier
	s_and_saveexec_b64 s[8:9], s[6:7]
	s_cbranch_execz .LBB28_196
; %bb.187:
	s_andn2_b64 vcc, exec, s[10:11]
	s_cbranch_vccnz .LBB28_189
; %bb.188:
	buffer_load_dword v59, v63, s[0:3], 0 offen
	buffer_load_dword v60, v63, s[0:3], 0 offen offset:4
	ds_read_b64 v[64:65], v62
	s_waitcnt vmcnt(0) lgkmcnt(0)
	v_mul_f64 v[59:60], v[59:60], v[64:65]
	s_cbranch_execz .LBB28_190
	s_branch .LBB28_191
.LBB28_189:
                                        ; implicit-def: $vgpr59_vgpr60
.LBB28_190:
	ds_read_b64 v[59:60], v62
.LBB28_191:
	s_and_saveexec_b64 s[12:13], s[4:5]
	s_cbranch_execz .LBB28_195
; %bb.192:
	v_add_u32_e32 v64, -9, v0
	s_movk_i32 s23, 0x138
	s_mov_b64 s[4:5], 0
.LBB28_193:                             ; =>This Inner Loop Header: Depth=1
	v_mov_b32_e32 v67, s22
	buffer_load_dword v65, v67, s[0:3], 0 offen
	buffer_load_dword v66, v67, s[0:3], 0 offen offset:4
	v_mov_b32_e32 v67, s23
	ds_read_b64 v[67:68], v67
	v_add_u32_e32 v64, -1, v64
	s_add_i32 s23, s23, 8
	s_add_i32 s22, s22, 8
	v_cmp_eq_u32_e32 vcc, 0, v64
	s_or_b64 s[4:5], vcc, s[4:5]
	s_waitcnt vmcnt(0) lgkmcnt(0)
	v_fma_f64 v[59:60], v[65:66], v[67:68], v[59:60]
	s_andn2_b64 exec, exec, s[4:5]
	s_cbranch_execnz .LBB28_193
; %bb.194:
	s_or_b64 exec, exec, s[4:5]
.LBB28_195:
	s_or_b64 exec, exec, s[12:13]
	v_mov_b32_e32 v64, 0
	ds_read_b64 v[64:65], v64 offset:64
	s_waitcnt lgkmcnt(0)
	v_mul_f64 v[59:60], v[59:60], v[64:65]
	buffer_store_dword v60, off, s[0:3], 0 offset:68
	buffer_store_dword v59, off, s[0:3], 0 offset:64
.LBB28_196:
	s_or_b64 exec, exec, s[8:9]
	buffer_load_dword v59, off, s[0:3], 0 offset:56
	buffer_load_dword v60, off, s[0:3], 0 offset:60
	v_cmp_lt_u32_e64 s[4:5], 7, v0
	s_waitcnt vmcnt(0)
	ds_write_b64 v62, v[59:60]
	s_waitcnt lgkmcnt(0)
	; wave barrier
	s_and_saveexec_b64 s[8:9], s[4:5]
	s_cbranch_execz .LBB28_206
; %bb.197:
	s_andn2_b64 vcc, exec, s[10:11]
	s_cbranch_vccnz .LBB28_199
; %bb.198:
	buffer_load_dword v59, v63, s[0:3], 0 offen
	buffer_load_dword v60, v63, s[0:3], 0 offen offset:4
	ds_read_b64 v[64:65], v62
	s_waitcnt vmcnt(0) lgkmcnt(0)
	v_mul_f64 v[59:60], v[59:60], v[64:65]
	s_cbranch_execz .LBB28_200
	s_branch .LBB28_201
.LBB28_199:
                                        ; implicit-def: $vgpr59_vgpr60
.LBB28_200:
	ds_read_b64 v[59:60], v62
.LBB28_201:
	s_and_saveexec_b64 s[12:13], s[6:7]
	s_cbranch_execz .LBB28_205
; %bb.202:
	v_add_u32_e32 v64, -8, v0
	s_movk_i32 s22, 0x130
	s_mov_b64 s[6:7], 0
.LBB28_203:                             ; =>This Inner Loop Header: Depth=1
	v_mov_b32_e32 v67, s21
	buffer_load_dword v65, v67, s[0:3], 0 offen
	buffer_load_dword v66, v67, s[0:3], 0 offen offset:4
	v_mov_b32_e32 v67, s22
	ds_read_b64 v[67:68], v67
	v_add_u32_e32 v64, -1, v64
	s_add_i32 s22, s22, 8
	s_add_i32 s21, s21, 8
	v_cmp_eq_u32_e32 vcc, 0, v64
	s_or_b64 s[6:7], vcc, s[6:7]
	s_waitcnt vmcnt(0) lgkmcnt(0)
	v_fma_f64 v[59:60], v[65:66], v[67:68], v[59:60]
	s_andn2_b64 exec, exec, s[6:7]
	s_cbranch_execnz .LBB28_203
; %bb.204:
	s_or_b64 exec, exec, s[6:7]
.LBB28_205:
	s_or_b64 exec, exec, s[12:13]
	v_mov_b32_e32 v64, 0
	ds_read_b64 v[64:65], v64 offset:56
	s_waitcnt lgkmcnt(0)
	v_mul_f64 v[59:60], v[59:60], v[64:65]
	buffer_store_dword v60, off, s[0:3], 0 offset:60
	buffer_store_dword v59, off, s[0:3], 0 offset:56
.LBB28_206:
	s_or_b64 exec, exec, s[8:9]
	buffer_load_dword v59, off, s[0:3], 0 offset:48
	buffer_load_dword v60, off, s[0:3], 0 offset:52
	v_cmp_lt_u32_e64 s[6:7], 6, v0
	s_waitcnt vmcnt(0)
	ds_write_b64 v62, v[59:60]
	s_waitcnt lgkmcnt(0)
	; wave barrier
	s_and_saveexec_b64 s[8:9], s[6:7]
	s_cbranch_execz .LBB28_216
; %bb.207:
	s_andn2_b64 vcc, exec, s[10:11]
	s_cbranch_vccnz .LBB28_209
; %bb.208:
	buffer_load_dword v59, v63, s[0:3], 0 offen
	buffer_load_dword v60, v63, s[0:3], 0 offen offset:4
	ds_read_b64 v[64:65], v62
	s_waitcnt vmcnt(0) lgkmcnt(0)
	v_mul_f64 v[59:60], v[59:60], v[64:65]
	s_cbranch_execz .LBB28_210
	s_branch .LBB28_211
.LBB28_209:
                                        ; implicit-def: $vgpr59_vgpr60
.LBB28_210:
	ds_read_b64 v[59:60], v62
.LBB28_211:
	s_and_saveexec_b64 s[12:13], s[4:5]
	s_cbranch_execz .LBB28_215
; %bb.212:
	v_add_u32_e32 v64, -7, v0
	s_movk_i32 s21, 0x128
	s_mov_b64 s[4:5], 0
.LBB28_213:                             ; =>This Inner Loop Header: Depth=1
	v_mov_b32_e32 v67, s20
	buffer_load_dword v65, v67, s[0:3], 0 offen
	buffer_load_dword v66, v67, s[0:3], 0 offen offset:4
	v_mov_b32_e32 v67, s21
	ds_read_b64 v[67:68], v67
	v_add_u32_e32 v64, -1, v64
	s_add_i32 s21, s21, 8
	s_add_i32 s20, s20, 8
	v_cmp_eq_u32_e32 vcc, 0, v64
	s_or_b64 s[4:5], vcc, s[4:5]
	s_waitcnt vmcnt(0) lgkmcnt(0)
	v_fma_f64 v[59:60], v[65:66], v[67:68], v[59:60]
	s_andn2_b64 exec, exec, s[4:5]
	s_cbranch_execnz .LBB28_213
; %bb.214:
	s_or_b64 exec, exec, s[4:5]
.LBB28_215:
	s_or_b64 exec, exec, s[12:13]
	v_mov_b32_e32 v64, 0
	ds_read_b64 v[64:65], v64 offset:48
	s_waitcnt lgkmcnt(0)
	v_mul_f64 v[59:60], v[59:60], v[64:65]
	buffer_store_dword v60, off, s[0:3], 0 offset:52
	buffer_store_dword v59, off, s[0:3], 0 offset:48
.LBB28_216:
	s_or_b64 exec, exec, s[8:9]
	buffer_load_dword v59, off, s[0:3], 0 offset:40
	buffer_load_dword v60, off, s[0:3], 0 offset:44
	v_cmp_lt_u32_e64 s[4:5], 5, v0
	s_waitcnt vmcnt(0)
	ds_write_b64 v62, v[59:60]
	s_waitcnt lgkmcnt(0)
	; wave barrier
	s_and_saveexec_b64 s[8:9], s[4:5]
	s_cbranch_execz .LBB28_226
; %bb.217:
	s_andn2_b64 vcc, exec, s[10:11]
	s_cbranch_vccnz .LBB28_219
; %bb.218:
	buffer_load_dword v59, v63, s[0:3], 0 offen
	buffer_load_dword v60, v63, s[0:3], 0 offen offset:4
	ds_read_b64 v[64:65], v62
	s_waitcnt vmcnt(0) lgkmcnt(0)
	v_mul_f64 v[59:60], v[59:60], v[64:65]
	s_cbranch_execz .LBB28_220
	s_branch .LBB28_221
.LBB28_219:
                                        ; implicit-def: $vgpr59_vgpr60
.LBB28_220:
	ds_read_b64 v[59:60], v62
.LBB28_221:
	s_and_saveexec_b64 s[12:13], s[6:7]
	s_cbranch_execz .LBB28_225
; %bb.222:
	v_add_u32_e32 v64, -6, v0
	s_movk_i32 s20, 0x120
	s_mov_b64 s[6:7], 0
.LBB28_223:                             ; =>This Inner Loop Header: Depth=1
	v_mov_b32_e32 v67, s19
	buffer_load_dword v65, v67, s[0:3], 0 offen
	buffer_load_dword v66, v67, s[0:3], 0 offen offset:4
	v_mov_b32_e32 v67, s20
	ds_read_b64 v[67:68], v67
	v_add_u32_e32 v64, -1, v64
	s_add_i32 s20, s20, 8
	s_add_i32 s19, s19, 8
	v_cmp_eq_u32_e32 vcc, 0, v64
	s_or_b64 s[6:7], vcc, s[6:7]
	s_waitcnt vmcnt(0) lgkmcnt(0)
	v_fma_f64 v[59:60], v[65:66], v[67:68], v[59:60]
	s_andn2_b64 exec, exec, s[6:7]
	s_cbranch_execnz .LBB28_223
; %bb.224:
	s_or_b64 exec, exec, s[6:7]
.LBB28_225:
	s_or_b64 exec, exec, s[12:13]
	v_mov_b32_e32 v64, 0
	ds_read_b64 v[64:65], v64 offset:40
	s_waitcnt lgkmcnt(0)
	v_mul_f64 v[59:60], v[59:60], v[64:65]
	buffer_store_dword v60, off, s[0:3], 0 offset:44
	buffer_store_dword v59, off, s[0:3], 0 offset:40
.LBB28_226:
	s_or_b64 exec, exec, s[8:9]
	buffer_load_dword v59, off, s[0:3], 0 offset:32
	buffer_load_dword v60, off, s[0:3], 0 offset:36
	v_cmp_lt_u32_e64 s[6:7], 4, v0
	s_waitcnt vmcnt(0)
	ds_write_b64 v62, v[59:60]
	s_waitcnt lgkmcnt(0)
	; wave barrier
	s_and_saveexec_b64 s[8:9], s[6:7]
	s_cbranch_execz .LBB28_236
; %bb.227:
	s_andn2_b64 vcc, exec, s[10:11]
	s_cbranch_vccnz .LBB28_229
; %bb.228:
	buffer_load_dword v59, v63, s[0:3], 0 offen
	buffer_load_dword v60, v63, s[0:3], 0 offen offset:4
	ds_read_b64 v[64:65], v62
	s_waitcnt vmcnt(0) lgkmcnt(0)
	v_mul_f64 v[59:60], v[59:60], v[64:65]
	s_cbranch_execz .LBB28_230
	s_branch .LBB28_231
.LBB28_229:
                                        ; implicit-def: $vgpr59_vgpr60
.LBB28_230:
	ds_read_b64 v[59:60], v62
.LBB28_231:
	s_and_saveexec_b64 s[12:13], s[4:5]
	s_cbranch_execz .LBB28_235
; %bb.232:
	v_add_u32_e32 v64, -5, v0
	s_movk_i32 s19, 0x118
	s_mov_b64 s[4:5], 0
.LBB28_233:                             ; =>This Inner Loop Header: Depth=1
	v_mov_b32_e32 v67, s18
	buffer_load_dword v65, v67, s[0:3], 0 offen
	buffer_load_dword v66, v67, s[0:3], 0 offen offset:4
	v_mov_b32_e32 v67, s19
	ds_read_b64 v[67:68], v67
	v_add_u32_e32 v64, -1, v64
	s_add_i32 s19, s19, 8
	s_add_i32 s18, s18, 8
	v_cmp_eq_u32_e32 vcc, 0, v64
	s_or_b64 s[4:5], vcc, s[4:5]
	s_waitcnt vmcnt(0) lgkmcnt(0)
	v_fma_f64 v[59:60], v[65:66], v[67:68], v[59:60]
	s_andn2_b64 exec, exec, s[4:5]
	s_cbranch_execnz .LBB28_233
; %bb.234:
	s_or_b64 exec, exec, s[4:5]
.LBB28_235:
	s_or_b64 exec, exec, s[12:13]
	v_mov_b32_e32 v64, 0
	ds_read_b64 v[64:65], v64 offset:32
	s_waitcnt lgkmcnt(0)
	v_mul_f64 v[59:60], v[59:60], v[64:65]
	buffer_store_dword v60, off, s[0:3], 0 offset:36
	buffer_store_dword v59, off, s[0:3], 0 offset:32
.LBB28_236:
	s_or_b64 exec, exec, s[8:9]
	buffer_load_dword v59, off, s[0:3], 0 offset:24
	buffer_load_dword v60, off, s[0:3], 0 offset:28
	v_cmp_lt_u32_e64 s[4:5], 3, v0
	s_waitcnt vmcnt(0)
	ds_write_b64 v62, v[59:60]
	s_waitcnt lgkmcnt(0)
	; wave barrier
	s_and_saveexec_b64 s[8:9], s[4:5]
	s_cbranch_execz .LBB28_246
; %bb.237:
	s_andn2_b64 vcc, exec, s[10:11]
	s_cbranch_vccnz .LBB28_239
; %bb.238:
	buffer_load_dword v59, v63, s[0:3], 0 offen
	buffer_load_dword v60, v63, s[0:3], 0 offen offset:4
	ds_read_b64 v[64:65], v62
	s_waitcnt vmcnt(0) lgkmcnt(0)
	v_mul_f64 v[59:60], v[59:60], v[64:65]
	s_cbranch_execz .LBB28_240
	s_branch .LBB28_241
.LBB28_239:
                                        ; implicit-def: $vgpr59_vgpr60
.LBB28_240:
	ds_read_b64 v[59:60], v62
.LBB28_241:
	s_and_saveexec_b64 s[12:13], s[6:7]
	s_cbranch_execz .LBB28_245
; %bb.242:
	v_add_u32_e32 v64, -4, v0
	s_movk_i32 s18, 0x110
	s_mov_b64 s[6:7], 0
.LBB28_243:                             ; =>This Inner Loop Header: Depth=1
	v_mov_b32_e32 v67, s17
	buffer_load_dword v65, v67, s[0:3], 0 offen
	buffer_load_dword v66, v67, s[0:3], 0 offen offset:4
	v_mov_b32_e32 v67, s18
	ds_read_b64 v[67:68], v67
	v_add_u32_e32 v64, -1, v64
	s_add_i32 s18, s18, 8
	s_add_i32 s17, s17, 8
	v_cmp_eq_u32_e32 vcc, 0, v64
	s_or_b64 s[6:7], vcc, s[6:7]
	s_waitcnt vmcnt(0) lgkmcnt(0)
	v_fma_f64 v[59:60], v[65:66], v[67:68], v[59:60]
	s_andn2_b64 exec, exec, s[6:7]
	s_cbranch_execnz .LBB28_243
; %bb.244:
	s_or_b64 exec, exec, s[6:7]
.LBB28_245:
	s_or_b64 exec, exec, s[12:13]
	v_mov_b32_e32 v64, 0
	ds_read_b64 v[64:65], v64 offset:24
	s_waitcnt lgkmcnt(0)
	v_mul_f64 v[59:60], v[59:60], v[64:65]
	buffer_store_dword v60, off, s[0:3], 0 offset:28
	buffer_store_dword v59, off, s[0:3], 0 offset:24
.LBB28_246:
	s_or_b64 exec, exec, s[8:9]
	buffer_load_dword v59, off, s[0:3], 0 offset:16
	buffer_load_dword v60, off, s[0:3], 0 offset:20
	v_cmp_lt_u32_e64 s[6:7], 2, v0
	s_waitcnt vmcnt(0)
	ds_write_b64 v62, v[59:60]
	s_waitcnt lgkmcnt(0)
	; wave barrier
	s_and_saveexec_b64 s[8:9], s[6:7]
	s_cbranch_execz .LBB28_256
; %bb.247:
	s_andn2_b64 vcc, exec, s[10:11]
	s_cbranch_vccnz .LBB28_249
; %bb.248:
	buffer_load_dword v59, v63, s[0:3], 0 offen
	buffer_load_dword v60, v63, s[0:3], 0 offen offset:4
	ds_read_b64 v[64:65], v62
	s_waitcnt vmcnt(0) lgkmcnt(0)
	v_mul_f64 v[59:60], v[59:60], v[64:65]
	s_cbranch_execz .LBB28_250
	s_branch .LBB28_251
.LBB28_249:
                                        ; implicit-def: $vgpr59_vgpr60
.LBB28_250:
	ds_read_b64 v[59:60], v62
.LBB28_251:
	s_and_saveexec_b64 s[12:13], s[4:5]
	s_cbranch_execz .LBB28_255
; %bb.252:
	v_add_u32_e32 v64, -3, v0
	s_movk_i32 s17, 0x108
	s_mov_b64 s[4:5], 0
.LBB28_253:                             ; =>This Inner Loop Header: Depth=1
	v_mov_b32_e32 v67, s16
	buffer_load_dword v65, v67, s[0:3], 0 offen
	buffer_load_dword v66, v67, s[0:3], 0 offen offset:4
	v_mov_b32_e32 v67, s17
	ds_read_b64 v[67:68], v67
	v_add_u32_e32 v64, -1, v64
	s_add_i32 s17, s17, 8
	s_add_i32 s16, s16, 8
	v_cmp_eq_u32_e32 vcc, 0, v64
	s_or_b64 s[4:5], vcc, s[4:5]
	s_waitcnt vmcnt(0) lgkmcnt(0)
	v_fma_f64 v[59:60], v[65:66], v[67:68], v[59:60]
	s_andn2_b64 exec, exec, s[4:5]
	s_cbranch_execnz .LBB28_253
; %bb.254:
	s_or_b64 exec, exec, s[4:5]
.LBB28_255:
	s_or_b64 exec, exec, s[12:13]
	v_mov_b32_e32 v64, 0
	ds_read_b64 v[64:65], v64 offset:16
	s_waitcnt lgkmcnt(0)
	v_mul_f64 v[59:60], v[59:60], v[64:65]
	buffer_store_dword v60, off, s[0:3], 0 offset:20
	buffer_store_dword v59, off, s[0:3], 0 offset:16
.LBB28_256:
	s_or_b64 exec, exec, s[8:9]
	buffer_load_dword v59, off, s[0:3], 0 offset:8
	buffer_load_dword v60, off, s[0:3], 0 offset:12
	v_cmp_lt_u32_e64 s[4:5], 1, v0
	s_waitcnt vmcnt(0)
	ds_write_b64 v62, v[59:60]
	s_waitcnt lgkmcnt(0)
	; wave barrier
	s_and_saveexec_b64 s[8:9], s[4:5]
	s_cbranch_execz .LBB28_266
; %bb.257:
	s_andn2_b64 vcc, exec, s[10:11]
	s_cbranch_vccnz .LBB28_259
; %bb.258:
	buffer_load_dword v59, v63, s[0:3], 0 offen
	buffer_load_dword v60, v63, s[0:3], 0 offen offset:4
	ds_read_b64 v[64:65], v62
	s_waitcnt vmcnt(0) lgkmcnt(0)
	v_mul_f64 v[59:60], v[59:60], v[64:65]
	s_cbranch_execz .LBB28_260
	s_branch .LBB28_261
.LBB28_259:
                                        ; implicit-def: $vgpr59_vgpr60
.LBB28_260:
	ds_read_b64 v[59:60], v62
.LBB28_261:
	s_and_saveexec_b64 s[12:13], s[6:7]
	s_cbranch_execz .LBB28_265
; %bb.262:
	v_add_u32_e32 v64, -2, v0
	s_movk_i32 s16, 0x100
	s_mov_b64 s[6:7], 0
.LBB28_263:                             ; =>This Inner Loop Header: Depth=1
	v_mov_b32_e32 v67, s15
	buffer_load_dword v65, v67, s[0:3], 0 offen
	buffer_load_dword v66, v67, s[0:3], 0 offen offset:4
	v_mov_b32_e32 v67, s16
	ds_read_b64 v[67:68], v67
	v_add_u32_e32 v64, -1, v64
	s_add_i32 s16, s16, 8
	s_add_i32 s15, s15, 8
	v_cmp_eq_u32_e32 vcc, 0, v64
	s_or_b64 s[6:7], vcc, s[6:7]
	s_waitcnt vmcnt(0) lgkmcnt(0)
	v_fma_f64 v[59:60], v[65:66], v[67:68], v[59:60]
	s_andn2_b64 exec, exec, s[6:7]
	s_cbranch_execnz .LBB28_263
; %bb.264:
	s_or_b64 exec, exec, s[6:7]
.LBB28_265:
	s_or_b64 exec, exec, s[12:13]
	v_mov_b32_e32 v64, 0
	ds_read_b64 v[64:65], v64 offset:8
	s_waitcnt lgkmcnt(0)
	v_mul_f64 v[59:60], v[59:60], v[64:65]
	buffer_store_dword v60, off, s[0:3], 0 offset:12
	buffer_store_dword v59, off, s[0:3], 0 offset:8
.LBB28_266:
	s_or_b64 exec, exec, s[8:9]
	buffer_load_dword v59, off, s[0:3], 0
	buffer_load_dword v60, off, s[0:3], 0 offset:4
	v_cmp_ne_u32_e32 vcc, 0, v0
	s_waitcnt vmcnt(0)
	ds_write_b64 v62, v[59:60]
	s_waitcnt lgkmcnt(0)
	; wave barrier
	s_and_saveexec_b64 s[6:7], vcc
	s_cbranch_execz .LBB28_276
; %bb.267:
	s_andn2_b64 vcc, exec, s[10:11]
	s_cbranch_vccnz .LBB28_269
; %bb.268:
	buffer_load_dword v59, v63, s[0:3], 0 offen
	buffer_load_dword v60, v63, s[0:3], 0 offen offset:4
	ds_read_b64 v[64:65], v62
	s_waitcnt vmcnt(0) lgkmcnt(0)
	v_mul_f64 v[59:60], v[59:60], v[64:65]
	s_cbranch_execz .LBB28_270
	s_branch .LBB28_271
.LBB28_269:
                                        ; implicit-def: $vgpr59_vgpr60
.LBB28_270:
	ds_read_b64 v[59:60], v62
.LBB28_271:
	s_and_saveexec_b64 s[8:9], s[4:5]
	s_cbranch_execz .LBB28_275
; %bb.272:
	v_add_u32_e32 v64, -1, v0
	s_movk_i32 s12, 0xf8
	s_mov_b64 s[4:5], 0
.LBB28_273:                             ; =>This Inner Loop Header: Depth=1
	v_mov_b32_e32 v67, s14
	buffer_load_dword v65, v67, s[0:3], 0 offen
	buffer_load_dword v66, v67, s[0:3], 0 offen offset:4
	v_mov_b32_e32 v67, s12
	ds_read_b64 v[67:68], v67
	v_add_u32_e32 v64, -1, v64
	s_add_i32 s12, s12, 8
	s_add_i32 s14, s14, 8
	v_cmp_eq_u32_e32 vcc, 0, v64
	s_or_b64 s[4:5], vcc, s[4:5]
	s_waitcnt vmcnt(0) lgkmcnt(0)
	v_fma_f64 v[59:60], v[65:66], v[67:68], v[59:60]
	s_andn2_b64 exec, exec, s[4:5]
	s_cbranch_execnz .LBB28_273
; %bb.274:
	s_or_b64 exec, exec, s[4:5]
.LBB28_275:
	s_or_b64 exec, exec, s[8:9]
	v_mov_b32_e32 v64, 0
	ds_read_b64 v[64:65], v64
	s_waitcnt lgkmcnt(0)
	v_mul_f64 v[59:60], v[59:60], v[64:65]
	buffer_store_dword v60, off, s[0:3], 0 offset:4
	buffer_store_dword v59, off, s[0:3], 0
.LBB28_276:
	s_or_b64 exec, exec, s[6:7]
	s_mov_b64 s[4:5], 0
.LBB28_277:
	s_and_b64 vcc, exec, s[4:5]
	s_cbranch_vccz .LBB28_549
; %bb.278:
	buffer_load_dword v59, off, s[0:3], 0 offset:8
	buffer_load_dword v60, off, s[0:3], 0 offset:12
	v_cmp_eq_u32_e64 s[6:7], 0, v0
	s_waitcnt vmcnt(0)
	ds_write_b64 v62, v[59:60]
	s_waitcnt lgkmcnt(0)
	; wave barrier
	s_and_saveexec_b64 s[4:5], s[6:7]
	s_cbranch_execz .LBB28_284
; %bb.279:
	s_and_b64 vcc, exec, s[10:11]
	s_cbranch_vccz .LBB28_281
; %bb.280:
	buffer_load_dword v59, v63, s[0:3], 0 offen
	buffer_load_dword v60, v63, s[0:3], 0 offen offset:4
	ds_read_b64 v[64:65], v62
	s_waitcnt vmcnt(0) lgkmcnt(0)
	v_mul_f64 v[59:60], v[59:60], v[64:65]
	s_cbranch_execz .LBB28_282
	s_branch .LBB28_283
.LBB28_281:
                                        ; implicit-def: $vgpr59_vgpr60
.LBB28_282:
	ds_read_b64 v[59:60], v62
.LBB28_283:
	v_mov_b32_e32 v64, 0
	ds_read_b64 v[64:65], v64 offset:8
	s_waitcnt lgkmcnt(0)
	v_mul_f64 v[59:60], v[59:60], v[64:65]
	buffer_store_dword v60, off, s[0:3], 0 offset:12
	buffer_store_dword v59, off, s[0:3], 0 offset:8
.LBB28_284:
	s_or_b64 exec, exec, s[4:5]
	buffer_load_dword v59, off, s[0:3], 0 offset:16
	buffer_load_dword v60, off, s[0:3], 0 offset:20
	v_cndmask_b32_e64 v64, 0, 1, s[10:11]
	v_cmp_gt_u32_e32 vcc, 2, v0
	v_cmp_ne_u32_e64 s[4:5], 1, v64
	s_waitcnt vmcnt(0)
	ds_write_b64 v62, v[59:60]
	s_waitcnt lgkmcnt(0)
	; wave barrier
	s_and_saveexec_b64 s[8:9], vcc
	s_cbranch_execz .LBB28_290
; %bb.285:
	s_and_b64 vcc, exec, s[4:5]
	s_cbranch_vccnz .LBB28_287
; %bb.286:
	buffer_load_dword v59, v63, s[0:3], 0 offen
	buffer_load_dword v60, v63, s[0:3], 0 offen offset:4
	ds_read_b64 v[64:65], v62
	s_waitcnt vmcnt(0) lgkmcnt(0)
	v_mul_f64 v[59:60], v[59:60], v[64:65]
	s_cbranch_execz .LBB28_288
	s_branch .LBB28_289
.LBB28_287:
                                        ; implicit-def: $vgpr59_vgpr60
.LBB28_288:
	ds_read_b64 v[59:60], v62
.LBB28_289:
	buffer_load_dword v68, off, s[0:3], 0 offset:8
	buffer_load_dword v69, off, s[0:3], 0 offset:12
	v_mov_b32_e32 v64, 0
	ds_read2_b64 v[64:67], v64 offset0:2 offset1:31
	s_waitcnt vmcnt(0) lgkmcnt(0)
	v_fma_f64 v[66:67], v[68:69], v[66:67], v[59:60]
	v_cndmask_b32_e64 v60, v60, v67, s[6:7]
	v_cndmask_b32_e64 v59, v59, v66, s[6:7]
	v_mul_f64 v[59:60], v[59:60], v[64:65]
	buffer_store_dword v60, off, s[0:3], 0 offset:20
	buffer_store_dword v59, off, s[0:3], 0 offset:16
.LBB28_290:
	s_or_b64 exec, exec, s[8:9]
	buffer_load_dword v59, off, s[0:3], 0 offset:24
	buffer_load_dword v60, off, s[0:3], 0 offset:28
	v_cmp_gt_u32_e32 vcc, 3, v0
	s_waitcnt vmcnt(0)
	ds_write_b64 v62, v[59:60]
	s_waitcnt lgkmcnt(0)
	; wave barrier
	s_and_saveexec_b64 s[8:9], vcc
	s_cbranch_execz .LBB28_298
; %bb.291:
	s_and_b64 vcc, exec, s[4:5]
	s_cbranch_vccnz .LBB28_293
; %bb.292:
	buffer_load_dword v59, v63, s[0:3], 0 offen
	buffer_load_dword v60, v63, s[0:3], 0 offen offset:4
	ds_read_b64 v[64:65], v62
	s_waitcnt vmcnt(0) lgkmcnt(0)
	v_mul_f64 v[59:60], v[59:60], v[64:65]
	s_cbranch_execz .LBB28_294
	s_branch .LBB28_295
.LBB28_293:
                                        ; implicit-def: $vgpr59_vgpr60
.LBB28_294:
	ds_read_b64 v[59:60], v62
.LBB28_295:
	v_cmp_ne_u32_e32 vcc, 2, v0
	s_and_saveexec_b64 s[10:11], vcc
	s_cbranch_execz .LBB28_297
; %bb.296:
	buffer_load_dword v64, v63, s[0:3], 0 offen offset:8
	buffer_load_dword v65, v63, s[0:3], 0 offen offset:12
	buffer_load_dword v66, off, s[0:3], 0 offset:16
	buffer_load_dword v67, off, s[0:3], 0 offset:20
	ds_read_b64 v[68:69], v62 offset:8
	v_mov_b32_e32 v70, 0
	ds_read_b64 v[70:71], v70 offset:256
	s_waitcnt vmcnt(2) lgkmcnt(1)
	v_fma_f64 v[59:60], v[64:65], v[68:69], v[59:60]
	s_waitcnt vmcnt(0) lgkmcnt(0)
	v_fma_f64 v[64:65], v[66:67], v[70:71], v[59:60]
	v_cndmask_b32_e64 v60, v60, v65, s[6:7]
	v_cndmask_b32_e64 v59, v59, v64, s[6:7]
.LBB28_297:
	s_or_b64 exec, exec, s[10:11]
	v_mov_b32_e32 v64, 0
	ds_read_b64 v[64:65], v64 offset:24
	s_waitcnt lgkmcnt(0)
	v_mul_f64 v[59:60], v[59:60], v[64:65]
	buffer_store_dword v60, off, s[0:3], 0 offset:28
	buffer_store_dword v59, off, s[0:3], 0 offset:24
.LBB28_298:
	s_or_b64 exec, exec, s[8:9]
	buffer_load_dword v59, off, s[0:3], 0 offset:32
	buffer_load_dword v60, off, s[0:3], 0 offset:36
	v_cmp_gt_u32_e32 vcc, 4, v0
	s_waitcnt vmcnt(0)
	ds_write_b64 v62, v[59:60]
	s_waitcnt lgkmcnt(0)
	; wave barrier
	s_and_saveexec_b64 s[6:7], vcc
	s_cbranch_execz .LBB28_308
; %bb.299:
	s_and_b64 vcc, exec, s[4:5]
	s_cbranch_vccnz .LBB28_301
; %bb.300:
	buffer_load_dword v59, v63, s[0:3], 0 offen
	buffer_load_dword v60, v63, s[0:3], 0 offen offset:4
	ds_read_b64 v[64:65], v62
	s_waitcnt vmcnt(0) lgkmcnt(0)
	v_mul_f64 v[59:60], v[59:60], v[64:65]
	s_cbranch_execz .LBB28_302
	s_branch .LBB28_303
.LBB28_301:
                                        ; implicit-def: $vgpr59_vgpr60
.LBB28_302:
	ds_read_b64 v[59:60], v62
.LBB28_303:
	v_cmp_ne_u32_e32 vcc, 3, v0
	s_and_saveexec_b64 s[8:9], vcc
	s_cbranch_execz .LBB28_307
; %bb.304:
	s_mov_b32 s10, 0
	v_add_u32_e32 v64, 0xf8, v61
	v_add3_u32 v65, v61, s10, 8
	s_mov_b64 s[10:11], 0
	v_mov_b32_e32 v66, v0
.LBB28_305:                             ; =>This Inner Loop Header: Depth=1
	buffer_load_dword v67, v65, s[0:3], 0 offen
	buffer_load_dword v68, v65, s[0:3], 0 offen offset:4
	ds_read_b64 v[69:70], v64
	v_add_u32_e32 v66, 1, v66
	v_cmp_lt_u32_e32 vcc, 2, v66
	v_add_u32_e32 v64, 8, v64
	s_or_b64 s[10:11], vcc, s[10:11]
	v_add_u32_e32 v65, 8, v65
	s_waitcnt vmcnt(0) lgkmcnt(0)
	v_fma_f64 v[59:60], v[67:68], v[69:70], v[59:60]
	s_andn2_b64 exec, exec, s[10:11]
	s_cbranch_execnz .LBB28_305
; %bb.306:
	s_or_b64 exec, exec, s[10:11]
.LBB28_307:
	s_or_b64 exec, exec, s[8:9]
	v_mov_b32_e32 v64, 0
	ds_read_b64 v[64:65], v64 offset:32
	s_waitcnt lgkmcnt(0)
	v_mul_f64 v[59:60], v[59:60], v[64:65]
	buffer_store_dword v60, off, s[0:3], 0 offset:36
	buffer_store_dword v59, off, s[0:3], 0 offset:32
.LBB28_308:
	s_or_b64 exec, exec, s[6:7]
	buffer_load_dword v59, off, s[0:3], 0 offset:40
	buffer_load_dword v60, off, s[0:3], 0 offset:44
	v_cmp_gt_u32_e32 vcc, 5, v0
	s_waitcnt vmcnt(0)
	ds_write_b64 v62, v[59:60]
	s_waitcnt lgkmcnt(0)
	; wave barrier
	s_and_saveexec_b64 s[6:7], vcc
	s_cbranch_execz .LBB28_318
; %bb.309:
	s_and_b64 vcc, exec, s[4:5]
	s_cbranch_vccnz .LBB28_311
; %bb.310:
	buffer_load_dword v59, v63, s[0:3], 0 offen
	buffer_load_dword v60, v63, s[0:3], 0 offen offset:4
	ds_read_b64 v[64:65], v62
	s_waitcnt vmcnt(0) lgkmcnt(0)
	v_mul_f64 v[59:60], v[59:60], v[64:65]
	s_cbranch_execz .LBB28_312
	s_branch .LBB28_313
.LBB28_311:
                                        ; implicit-def: $vgpr59_vgpr60
.LBB28_312:
	ds_read_b64 v[59:60], v62
.LBB28_313:
	v_cmp_ne_u32_e32 vcc, 4, v0
	s_and_saveexec_b64 s[8:9], vcc
	s_cbranch_execz .LBB28_317
; %bb.314:
	s_mov_b32 s10, 0
	v_add_u32_e32 v64, 0xf8, v61
	v_add3_u32 v65, v61, s10, 8
	s_mov_b64 s[10:11], 0
	v_mov_b32_e32 v66, v0
.LBB28_315:                             ; =>This Inner Loop Header: Depth=1
	buffer_load_dword v67, v65, s[0:3], 0 offen
	buffer_load_dword v68, v65, s[0:3], 0 offen offset:4
	ds_read_b64 v[69:70], v64
	v_add_u32_e32 v66, 1, v66
	v_cmp_lt_u32_e32 vcc, 3, v66
	v_add_u32_e32 v64, 8, v64
	s_or_b64 s[10:11], vcc, s[10:11]
	v_add_u32_e32 v65, 8, v65
	s_waitcnt vmcnt(0) lgkmcnt(0)
	v_fma_f64 v[59:60], v[67:68], v[69:70], v[59:60]
	s_andn2_b64 exec, exec, s[10:11]
	s_cbranch_execnz .LBB28_315
; %bb.316:
	s_or_b64 exec, exec, s[10:11]
.LBB28_317:
	s_or_b64 exec, exec, s[8:9]
	v_mov_b32_e32 v64, 0
	ds_read_b64 v[64:65], v64 offset:40
	s_waitcnt lgkmcnt(0)
	v_mul_f64 v[59:60], v[59:60], v[64:65]
	buffer_store_dword v60, off, s[0:3], 0 offset:44
	buffer_store_dword v59, off, s[0:3], 0 offset:40
.LBB28_318:
	;; [unrolled: 59-line block ×23, first 2 shown]
	s_or_b64 exec, exec, s[6:7]
	buffer_load_dword v59, off, s[0:3], 0 offset:216
	buffer_load_dword v60, off, s[0:3], 0 offset:220
	v_cmp_gt_u32_e64 s[6:7], 27, v0
	s_waitcnt vmcnt(0)
	ds_write_b64 v62, v[59:60]
	s_waitcnt lgkmcnt(0)
	; wave barrier
	s_and_saveexec_b64 s[8:9], s[6:7]
	s_cbranch_execz .LBB28_538
; %bb.529:
	s_and_b64 vcc, exec, s[4:5]
	s_cbranch_vccnz .LBB28_531
; %bb.530:
	buffer_load_dword v59, v63, s[0:3], 0 offen
	buffer_load_dword v60, v63, s[0:3], 0 offen offset:4
	ds_read_b64 v[64:65], v62
	s_waitcnt vmcnt(0) lgkmcnt(0)
	v_mul_f64 v[59:60], v[59:60], v[64:65]
	s_cbranch_execz .LBB28_532
	s_branch .LBB28_533
.LBB28_531:
                                        ; implicit-def: $vgpr59_vgpr60
.LBB28_532:
	ds_read_b64 v[59:60], v62
.LBB28_533:
	v_cmp_ne_u32_e32 vcc, 26, v0
	s_and_saveexec_b64 s[10:11], vcc
	s_cbranch_execz .LBB28_537
; %bb.534:
	s_mov_b32 s12, 0
	v_add_u32_e32 v64, 0xf8, v61
	v_add3_u32 v65, v61, s12, 8
	s_mov_b64 s[12:13], 0
	v_mov_b32_e32 v66, v0
.LBB28_535:                             ; =>This Inner Loop Header: Depth=1
	buffer_load_dword v67, v65, s[0:3], 0 offen
	buffer_load_dword v68, v65, s[0:3], 0 offen offset:4
	ds_read_b64 v[69:70], v64
	v_add_u32_e32 v66, 1, v66
	v_cmp_lt_u32_e32 vcc, 25, v66
	v_add_u32_e32 v64, 8, v64
	s_or_b64 s[12:13], vcc, s[12:13]
	v_add_u32_e32 v65, 8, v65
	s_waitcnt vmcnt(0) lgkmcnt(0)
	v_fma_f64 v[59:60], v[67:68], v[69:70], v[59:60]
	s_andn2_b64 exec, exec, s[12:13]
	s_cbranch_execnz .LBB28_535
; %bb.536:
	s_or_b64 exec, exec, s[12:13]
.LBB28_537:
	s_or_b64 exec, exec, s[10:11]
	v_mov_b32_e32 v64, 0
	ds_read_b64 v[64:65], v64 offset:216
	s_waitcnt lgkmcnt(0)
	v_mul_f64 v[59:60], v[59:60], v[64:65]
	buffer_store_dword v60, off, s[0:3], 0 offset:220
	buffer_store_dword v59, off, s[0:3], 0 offset:216
.LBB28_538:
	s_or_b64 exec, exec, s[8:9]
	buffer_load_dword v59, off, s[0:3], 0 offset:224
	buffer_load_dword v60, off, s[0:3], 0 offset:228
	v_cmp_ne_u32_e32 vcc, 28, v0
	s_waitcnt vmcnt(0)
	ds_write_b64 v62, v[59:60]
	s_waitcnt lgkmcnt(0)
	; wave barrier
	s_and_saveexec_b64 s[8:9], vcc
	s_cbranch_execz .LBB28_548
; %bb.539:
	s_and_b64 vcc, exec, s[4:5]
	s_cbranch_vccnz .LBB28_541
; %bb.540:
	buffer_load_dword v59, v63, s[0:3], 0 offen
	buffer_load_dword v60, v63, s[0:3], 0 offen offset:4
	ds_read_b64 v[63:64], v62
	s_waitcnt vmcnt(0) lgkmcnt(0)
	v_mul_f64 v[59:60], v[59:60], v[63:64]
	s_cbranch_execz .LBB28_542
	s_branch .LBB28_543
.LBB28_541:
                                        ; implicit-def: $vgpr59_vgpr60
.LBB28_542:
	ds_read_b64 v[59:60], v62
.LBB28_543:
	s_and_saveexec_b64 s[4:5], s[6:7]
	s_cbranch_execz .LBB28_547
; %bb.544:
	s_mov_b32 s6, 0
	v_add_u32_e32 v62, 0xf8, v61
	v_add3_u32 v61, v61, s6, 8
	s_mov_b64 s[6:7], 0
.LBB28_545:                             ; =>This Inner Loop Header: Depth=1
	buffer_load_dword v63, v61, s[0:3], 0 offen
	buffer_load_dword v64, v61, s[0:3], 0 offen offset:4
	ds_read_b64 v[65:66], v62
	v_add_u32_e32 v0, 1, v0
	v_cmp_lt_u32_e32 vcc, 26, v0
	v_add_u32_e32 v62, 8, v62
	s_or_b64 s[6:7], vcc, s[6:7]
	v_add_u32_e32 v61, 8, v61
	s_waitcnt vmcnt(0) lgkmcnt(0)
	v_fma_f64 v[59:60], v[63:64], v[65:66], v[59:60]
	s_andn2_b64 exec, exec, s[6:7]
	s_cbranch_execnz .LBB28_545
; %bb.546:
	s_or_b64 exec, exec, s[6:7]
.LBB28_547:
	s_or_b64 exec, exec, s[4:5]
	v_mov_b32_e32 v0, 0
	ds_read_b64 v[61:62], v0 offset:224
	s_waitcnt lgkmcnt(0)
	v_mul_f64 v[59:60], v[59:60], v[61:62]
	buffer_store_dword v60, off, s[0:3], 0 offset:228
	buffer_store_dword v59, off, s[0:3], 0 offset:224
.LBB28_548:
	s_or_b64 exec, exec, s[8:9]
.LBB28_549:
	buffer_load_dword v59, off, s[0:3], 0
	buffer_load_dword v60, off, s[0:3], 0 offset:4
	buffer_load_dword v61, off, s[0:3], 0 offset:8
	;; [unrolled: 1-line block ×15, first 2 shown]
	s_waitcnt vmcnt(14)
	global_store_dwordx2 v[3:4], v[59:60], off
	buffer_load_dword v4, off, s[0:3], 0 offset:68
	s_nop 0
	buffer_load_dword v59, off, s[0:3], 0 offset:72
	buffer_load_dword v60, off, s[0:3], 0 offset:76
	;; [unrolled: 1-line block ×7, first 2 shown]
	s_waitcnt vmcnt(21)
	global_store_dwordx2 v[1:2], v[61:62], off
	s_waitcnt vmcnt(20)
	global_store_dwordx2 v[7:8], v[63:64], off
	buffer_load_dword v0, off, s[0:3], 0 offset:96
	buffer_load_dword v1, off, s[0:3], 0 offset:100
	s_nop 0
	buffer_load_dword v7, off, s[0:3], 0 offset:104
	buffer_load_dword v8, off, s[0:3], 0 offset:108
	buffer_load_dword v61, off, s[0:3], 0 offset:112
	buffer_load_dword v62, off, s[0:3], 0 offset:116
	buffer_load_dword v63, off, s[0:3], 0 offset:120
	buffer_load_dword v64, off, s[0:3], 0 offset:124
	s_waitcnt vmcnt(27)
	global_store_dwordx2 v[5:6], v[65:66], off
	s_waitcnt vmcnt(26)
	global_store_dwordx2 v[9:10], v[67:68], off
	buffer_load_dword v5, off, s[0:3], 0 offset:128
	buffer_load_dword v6, off, s[0:3], 0 offset:132
	s_nop 0
	buffer_load_dword v9, off, s[0:3], 0 offset:136
	buffer_load_dword v10, off, s[0:3], 0 offset:140
	buffer_load_dword v65, off, s[0:3], 0 offset:144
	buffer_load_dword v66, off, s[0:3], 0 offset:148
	buffer_load_dword v67, off, s[0:3], 0 offset:152
	buffer_load_dword v68, off, s[0:3], 0 offset:156
	;; [unrolled: 13-line block ×3, first 2 shown]
	s_waitcnt vmcnt(39)
	global_store_dwordx2 v[13:14], v[73:74], off
	s_waitcnt vmcnt(31)
	global_store_dwordx2 v[19:20], v[3:4], off
	buffer_load_dword v2, off, s[0:3], 0 offset:192
	s_nop 0
	buffer_load_dword v3, off, s[0:3], 0 offset:196
	buffer_load_dword v13, off, s[0:3], 0 offset:200
	;; [unrolled: 1-line block ×9, first 2 shown]
	s_nop 0
	global_store_dwordx2 v[17:18], v[59:60], off
	global_store_dwordx2 v[21:22], v[75:76], off
	;; [unrolled: 1-line block ×3, first 2 shown]
	s_waitcnt vmcnt(41)
	global_store_dwordx2 v[25:26], v[0:1], off
	s_waitcnt vmcnt(40)
	global_store_dwordx2 v[27:28], v[7:8], off
	s_waitcnt vmcnt(39)
	global_store_dwordx2 v[29:30], v[61:62], off
	s_waitcnt vmcnt(38)
	global_store_dwordx2 v[31:32], v[63:64], off
	s_waitcnt vmcnt(35)
	global_store_dwordx2 v[33:34], v[5:6], off
	s_waitcnt vmcnt(34)
	global_store_dwordx2 v[35:36], v[9:10], off
	s_waitcnt vmcnt(33)
	global_store_dwordx2 v[37:38], v[65:66], off
	s_waitcnt vmcnt(32)
	global_store_dwordx2 v[39:40], v[67:68], off
	s_waitcnt vmcnt(29)
	global_store_dwordx2 v[41:42], v[11:12], off
	s_waitcnt vmcnt(28)
	global_store_dwordx2 v[43:44], v[15:16], off
	s_waitcnt vmcnt(27)
	global_store_dwordx2 v[45:46], v[69:70], off
	s_waitcnt vmcnt(26)
	global_store_dwordx2 v[47:48], v[71:72], off
	s_waitcnt vmcnt(23)
	global_store_dwordx2 v[49:50], v[2:3], off
	s_waitcnt vmcnt(22)
	global_store_dwordx2 v[51:52], v[13:14], off
	s_waitcnt vmcnt(21)
	global_store_dwordx2 v[53:54], v[19:20], off
	s_waitcnt vmcnt(20)
	global_store_dwordx2 v[55:56], v[73:74], off
	s_waitcnt vmcnt(19)
	global_store_dwordx2 v[57:58], v[79:80], off
.LBB28_550:
	s_endpgm
	.section	.rodata,"a",@progbits
	.p2align	6, 0x0
	.amdhsa_kernel _ZN9rocsolver6v33100L18trti2_kernel_smallILi29EdPdEEv13rocblas_fill_17rocblas_diagonal_T1_iil
		.amdhsa_group_segment_fixed_size 472
		.amdhsa_private_segment_fixed_size 240
		.amdhsa_kernarg_size 32
		.amdhsa_user_sgpr_count 6
		.amdhsa_user_sgpr_private_segment_buffer 1
		.amdhsa_user_sgpr_dispatch_ptr 0
		.amdhsa_user_sgpr_queue_ptr 0
		.amdhsa_user_sgpr_kernarg_segment_ptr 1
		.amdhsa_user_sgpr_dispatch_id 0
		.amdhsa_user_sgpr_flat_scratch_init 0
		.amdhsa_user_sgpr_private_segment_size 0
		.amdhsa_uses_dynamic_stack 0
		.amdhsa_system_sgpr_private_segment_wavefront_offset 1
		.amdhsa_system_sgpr_workgroup_id_x 1
		.amdhsa_system_sgpr_workgroup_id_y 0
		.amdhsa_system_sgpr_workgroup_id_z 0
		.amdhsa_system_sgpr_workgroup_info 0
		.amdhsa_system_vgpr_workitem_id 0
		.amdhsa_next_free_vgpr 82
		.amdhsa_next_free_sgpr 42
		.amdhsa_reserve_vcc 1
		.amdhsa_reserve_flat_scratch 0
		.amdhsa_float_round_mode_32 0
		.amdhsa_float_round_mode_16_64 0
		.amdhsa_float_denorm_mode_32 3
		.amdhsa_float_denorm_mode_16_64 3
		.amdhsa_dx10_clamp 1
		.amdhsa_ieee_mode 1
		.amdhsa_fp16_overflow 0
		.amdhsa_exception_fp_ieee_invalid_op 0
		.amdhsa_exception_fp_denorm_src 0
		.amdhsa_exception_fp_ieee_div_zero 0
		.amdhsa_exception_fp_ieee_overflow 0
		.amdhsa_exception_fp_ieee_underflow 0
		.amdhsa_exception_fp_ieee_inexact 0
		.amdhsa_exception_int_div_zero 0
	.end_amdhsa_kernel
	.section	.text._ZN9rocsolver6v33100L18trti2_kernel_smallILi29EdPdEEv13rocblas_fill_17rocblas_diagonal_T1_iil,"axG",@progbits,_ZN9rocsolver6v33100L18trti2_kernel_smallILi29EdPdEEv13rocblas_fill_17rocblas_diagonal_T1_iil,comdat
.Lfunc_end28:
	.size	_ZN9rocsolver6v33100L18trti2_kernel_smallILi29EdPdEEv13rocblas_fill_17rocblas_diagonal_T1_iil, .Lfunc_end28-_ZN9rocsolver6v33100L18trti2_kernel_smallILi29EdPdEEv13rocblas_fill_17rocblas_diagonal_T1_iil
                                        ; -- End function
	.set _ZN9rocsolver6v33100L18trti2_kernel_smallILi29EdPdEEv13rocblas_fill_17rocblas_diagonal_T1_iil.num_vgpr, 82
	.set _ZN9rocsolver6v33100L18trti2_kernel_smallILi29EdPdEEv13rocblas_fill_17rocblas_diagonal_T1_iil.num_agpr, 0
	.set _ZN9rocsolver6v33100L18trti2_kernel_smallILi29EdPdEEv13rocblas_fill_17rocblas_diagonal_T1_iil.numbered_sgpr, 42
	.set _ZN9rocsolver6v33100L18trti2_kernel_smallILi29EdPdEEv13rocblas_fill_17rocblas_diagonal_T1_iil.num_named_barrier, 0
	.set _ZN9rocsolver6v33100L18trti2_kernel_smallILi29EdPdEEv13rocblas_fill_17rocblas_diagonal_T1_iil.private_seg_size, 240
	.set _ZN9rocsolver6v33100L18trti2_kernel_smallILi29EdPdEEv13rocblas_fill_17rocblas_diagonal_T1_iil.uses_vcc, 1
	.set _ZN9rocsolver6v33100L18trti2_kernel_smallILi29EdPdEEv13rocblas_fill_17rocblas_diagonal_T1_iil.uses_flat_scratch, 0
	.set _ZN9rocsolver6v33100L18trti2_kernel_smallILi29EdPdEEv13rocblas_fill_17rocblas_diagonal_T1_iil.has_dyn_sized_stack, 0
	.set _ZN9rocsolver6v33100L18trti2_kernel_smallILi29EdPdEEv13rocblas_fill_17rocblas_diagonal_T1_iil.has_recursion, 0
	.set _ZN9rocsolver6v33100L18trti2_kernel_smallILi29EdPdEEv13rocblas_fill_17rocblas_diagonal_T1_iil.has_indirect_call, 0
	.section	.AMDGPU.csdata,"",@progbits
; Kernel info:
; codeLenInByte = 16856
; TotalNumSgprs: 46
; NumVgprs: 82
; ScratchSize: 240
; MemoryBound: 0
; FloatMode: 240
; IeeeMode: 1
; LDSByteSize: 472 bytes/workgroup (compile time only)
; SGPRBlocks: 5
; VGPRBlocks: 20
; NumSGPRsForWavesPerEU: 46
; NumVGPRsForWavesPerEU: 82
; Occupancy: 3
; WaveLimiterHint : 0
; COMPUTE_PGM_RSRC2:SCRATCH_EN: 1
; COMPUTE_PGM_RSRC2:USER_SGPR: 6
; COMPUTE_PGM_RSRC2:TRAP_HANDLER: 0
; COMPUTE_PGM_RSRC2:TGID_X_EN: 1
; COMPUTE_PGM_RSRC2:TGID_Y_EN: 0
; COMPUTE_PGM_RSRC2:TGID_Z_EN: 0
; COMPUTE_PGM_RSRC2:TIDIG_COMP_CNT: 0
	.section	.text._ZN9rocsolver6v33100L18trti2_kernel_smallILi30EdPdEEv13rocblas_fill_17rocblas_diagonal_T1_iil,"axG",@progbits,_ZN9rocsolver6v33100L18trti2_kernel_smallILi30EdPdEEv13rocblas_fill_17rocblas_diagonal_T1_iil,comdat
	.globl	_ZN9rocsolver6v33100L18trti2_kernel_smallILi30EdPdEEv13rocblas_fill_17rocblas_diagonal_T1_iil ; -- Begin function _ZN9rocsolver6v33100L18trti2_kernel_smallILi30EdPdEEv13rocblas_fill_17rocblas_diagonal_T1_iil
	.p2align	8
	.type	_ZN9rocsolver6v33100L18trti2_kernel_smallILi30EdPdEEv13rocblas_fill_17rocblas_diagonal_T1_iil,@function
_ZN9rocsolver6v33100L18trti2_kernel_smallILi30EdPdEEv13rocblas_fill_17rocblas_diagonal_T1_iil: ; @_ZN9rocsolver6v33100L18trti2_kernel_smallILi30EdPdEEv13rocblas_fill_17rocblas_diagonal_T1_iil
; %bb.0:
	s_add_u32 s0, s0, s7
	s_addc_u32 s1, s1, 0
	v_cmp_gt_u32_e32 vcc, 30, v0
	s_and_saveexec_b64 s[8:9], vcc
	s_cbranch_execz .LBB29_570
; %bb.1:
	s_load_dwordx8 s[8:15], s[4:5], 0x0
	s_ashr_i32 s7, s6, 31
	v_lshlrev_b32_e32 v63, 3, v0
	s_waitcnt lgkmcnt(0)
	s_ashr_i32 s5, s12, 31
	s_mov_b32 s4, s12
	s_mul_hi_u32 s12, s14, s6
	s_mul_i32 s7, s14, s7
	s_add_i32 s7, s12, s7
	s_mul_i32 s12, s15, s6
	s_add_i32 s7, s7, s12
	s_mul_i32 s6, s14, s6
	s_lshl_b64 s[6:7], s[6:7], 3
	s_add_u32 s6, s10, s6
	s_addc_u32 s7, s11, s7
	s_lshl_b64 s[4:5], s[4:5], 3
	s_add_u32 s4, s6, s4
	s_addc_u32 s5, s7, s5
	v_mov_b32_e32 v1, s5
	v_add_co_u32_e32 v3, vcc, s4, v63
	s_ashr_i32 s7, s13, 31
	s_mov_b32 s6, s13
	v_addc_co_u32_e32 v4, vcc, 0, v1, vcc
	s_lshl_b64 s[6:7], s[6:7], 3
	v_add_co_u32_e32 v1, vcc, s6, v3
	s_add_i32 s6, s13, s13
	v_add_u32_e32 v5, s6, v0
	v_ashrrev_i32_e32 v6, 31, v5
	v_mov_b32_e32 v2, s7
	v_lshlrev_b64 v[7:8], 3, v[5:6]
	v_addc_co_u32_e32 v2, vcc, v4, v2, vcc
	v_add_u32_e32 v9, s13, v5
	v_mov_b32_e32 v6, s5
	v_add_co_u32_e32 v7, vcc, s4, v7
	v_ashrrev_i32_e32 v10, 31, v9
	v_addc_co_u32_e32 v8, vcc, v6, v8, vcc
	v_lshlrev_b64 v[5:6], 3, v[9:10]
	v_add_u32_e32 v11, s13, v9
	v_mov_b32_e32 v10, s5
	v_add_co_u32_e32 v5, vcc, s4, v5
	v_ashrrev_i32_e32 v12, 31, v11
	v_addc_co_u32_e32 v6, vcc, v10, v6, vcc
	v_lshlrev_b64 v[9:10], 3, v[11:12]
	global_load_dwordx2 v[25:26], v63, s[4:5]
	v_mov_b32_e32 v12, s5
	v_add_co_u32_e32 v9, vcc, s4, v9
	v_addc_co_u32_e32 v10, vcc, v12, v10, vcc
	global_load_dwordx2 v[33:34], v[1:2], off
	global_load_dwordx2 v[31:32], v[7:8], off
	;; [unrolled: 1-line block ×4, first 2 shown]
	v_add_u32_e32 v13, s13, v11
	v_ashrrev_i32_e32 v14, 31, v13
	v_lshlrev_b64 v[11:12], 3, v[13:14]
	v_mov_b32_e32 v14, s5
	v_add_co_u32_e32 v11, vcc, s4, v11
	v_add_u32_e32 v13, s13, v13
	v_addc_co_u32_e32 v12, vcc, v14, v12, vcc
	v_ashrrev_i32_e32 v14, 31, v13
	v_lshlrev_b64 v[15:16], 3, v[13:14]
	v_add_u32_e32 v17, s13, v13
	v_mov_b32_e32 v14, s5
	v_add_co_u32_e32 v15, vcc, s4, v15
	v_ashrrev_i32_e32 v18, 31, v17
	v_addc_co_u32_e32 v16, vcc, v14, v16, vcc
	v_lshlrev_b64 v[13:14], 3, v[17:18]
	v_add_u32_e32 v17, s13, v17
	v_add_u32_e32 v21, s13, v17
	;; [unrolled: 1-line block ×11, first 2 shown]
	v_mov_b32_e32 v18, s5
	v_add_co_u32_e32 v13, vcc, s4, v13
	v_add_u32_e32 v55, s13, v53
	v_addc_co_u32_e32 v14, vcc, v18, v14, vcc
	v_ashrrev_i32_e32 v18, 31, v17
	v_add_u32_e32 v57, s13, v55
	v_lshlrev_b64 v[19:20], 3, v[17:18]
	v_add_u32_e32 v59, s13, v57
	v_add_u32_e32 v61, s13, v59
	v_mov_b32_e32 v18, s5
	v_add_co_u32_e32 v19, vcc, s4, v19
	v_ashrrev_i32_e32 v22, 31, v21
	v_add_u32_e32 v64, s13, v61
	v_addc_co_u32_e32 v20, vcc, v18, v20, vcc
	v_lshlrev_b64 v[17:18], 3, v[21:22]
	v_add_u32_e32 v66, s13, v64
	v_add_u32_e32 v68, s13, v66
	v_mov_b32_e32 v22, s5
	v_add_co_u32_e32 v17, vcc, s4, v17
	v_ashrrev_i32_e32 v24, 31, v23
	v_add_u32_e32 v70, s13, v68
	v_addc_co_u32_e32 v18, vcc, v22, v18, vcc
	v_lshlrev_b64 v[21:22], 3, v[23:24]
	v_add_u32_e32 v72, s13, v70
	v_add_u32_e32 v74, s13, v72
	v_mov_b32_e32 v24, s5
	v_add_co_u32_e32 v21, vcc, s4, v21
	v_add_u32_e32 v23, s13, v74
	global_load_dwordx2 v[35:36], v[11:12], off
	global_load_dwordx2 v[37:38], v[15:16], off
	v_addc_co_u32_e32 v22, vcc, v24, v22, vcc
	v_ashrrev_i32_e32 v24, 31, v23
	v_lshlrev_b64 v[23:24], 3, v[23:24]
	v_mov_b32_e32 v40, s5
	v_add_co_u32_e32 v23, vcc, s4, v23
	v_addc_co_u32_e32 v24, vcc, v40, v24, vcc
	global_load_dwordx2 v[76:77], v[23:24], off
	global_load_dwordx2 v[78:79], v[13:14], off
	;; [unrolled: 1-line block ×3, first 2 shown]
	v_ashrrev_i32_e32 v40, 31, v39
	s_waitcnt vmcnt(9)
	buffer_store_dword v26, off, s[0:3], 0 offset:4
	buffer_store_dword v25, off, s[0:3], 0
	s_waitcnt vmcnt(10)
	buffer_store_dword v34, off, s[0:3], 0 offset:12
	buffer_store_dword v33, off, s[0:3], 0 offset:8
	s_waitcnt vmcnt(11)
	buffer_store_dword v32, off, s[0:3], 0 offset:20
	global_load_dwordx2 v[32:33], v[17:18], off
	v_lshlrev_b64 v[25:26], 3, v[39:40]
	global_load_dwordx2 v[82:83], v[21:22], off
	v_add_co_u32_e32 v25, vcc, s4, v25
	buffer_store_dword v31, off, s[0:3], 0 offset:16
	s_waitcnt vmcnt(14)
	buffer_store_dword v30, off, s[0:3], 0 offset:28
	buffer_store_dword v29, off, s[0:3], 0 offset:24
	s_waitcnt vmcnt(15)
	buffer_store_dword v28, off, s[0:3], 0 offset:36
	;; [unrolled: 3-line block ×3, first 2 shown]
	buffer_store_dword v35, off, s[0:3], 0 offset:40
	v_mov_b32_e32 v27, s5
	v_ashrrev_i32_e32 v42, 31, v41
	v_addc_co_u32_e32 v26, vcc, v27, v26, vcc
	v_lshlrev_b64 v[27:28], 3, v[41:42]
	v_mov_b32_e32 v29, s5
	v_add_co_u32_e32 v27, vcc, s4, v27
	v_ashrrev_i32_e32 v44, 31, v43
	v_addc_co_u32_e32 v28, vcc, v29, v28, vcc
	v_lshlrev_b64 v[29:30], 3, v[43:44]
	global_load_dwordx2 v[84:85], v[25:26], off
	s_waitcnt vmcnt(18)
	buffer_store_dword v38, off, s[0:3], 0 offset:52
	buffer_store_dword v37, off, s[0:3], 0 offset:48
	s_waitcnt vmcnt(18)
	buffer_store_dword v79, off, s[0:3], 0 offset:60
	buffer_store_dword v78, off, s[0:3], 0 offset:56
	;; [unrolled: 3-line block ×3, first 2 shown]
	v_mov_b32_e32 v31, s5
	v_add_co_u32_e32 v29, vcc, s4, v29
	v_ashrrev_i32_e32 v46, 31, v45
	global_load_dwordx2 v[78:79], v[27:28], off
	s_waitcnt vmcnt(16)
	buffer_store_dword v32, off, s[0:3], 0 offset:72
	buffer_store_dword v33, off, s[0:3], 0 offset:76
	s_waitcnt vmcnt(17)
	buffer_store_dword v82, off, s[0:3], 0 offset:80
	buffer_store_dword v83, off, s[0:3], 0 offset:84
	v_addc_co_u32_e32 v30, vcc, v31, v30, vcc
	v_lshlrev_b64 v[31:32], 3, v[45:46]
	v_mov_b32_e32 v33, s5
	v_add_co_u32_e32 v31, vcc, s4, v31
	v_ashrrev_i32_e32 v48, 31, v47
	v_addc_co_u32_e32 v32, vcc, v33, v32, vcc
	v_lshlrev_b64 v[33:34], 3, v[47:48]
	v_mov_b32_e32 v35, s5
	v_add_co_u32_e32 v33, vcc, s4, v33
	v_ashrrev_i32_e32 v50, 31, v49
	;; [unrolled: 5-line block ×4, first 2 shown]
	v_addc_co_u32_e32 v38, vcc, v39, v38, vcc
	v_lshlrev_b64 v[39:40], 3, v[53:54]
	global_load_dwordx2 v[45:46], v[29:30], off
	global_load_dwordx2 v[47:48], v[31:32], off
	;; [unrolled: 1-line block ×4, first 2 shown]
	v_mov_b32_e32 v41, s5
	v_add_co_u32_e32 v39, vcc, s4, v39
	v_ashrrev_i32_e32 v56, 31, v55
	v_addc_co_u32_e32 v40, vcc, v41, v40, vcc
	v_lshlrev_b64 v[41:42], 3, v[55:56]
	v_mov_b32_e32 v43, s5
	v_add_co_u32_e32 v41, vcc, s4, v41
	v_ashrrev_i32_e32 v58, 31, v57
	v_addc_co_u32_e32 v42, vcc, v43, v42, vcc
	v_lshlrev_b64 v[43:44], 3, v[57:58]
	v_mov_b32_e32 v51, s5
	v_add_co_u32_e32 v43, vcc, s4, v43
	v_addc_co_u32_e32 v44, vcc, v51, v44, vcc
	global_load_dwordx2 v[51:52], v[37:38], off
	global_load_dwordx2 v[53:54], v[39:40], off
	;; [unrolled: 1-line block ×3, first 2 shown]
	v_ashrrev_i32_e32 v60, 31, v59
	v_ashrrev_i32_e32 v62, 31, v61
	;; [unrolled: 1-line block ×6, first 2 shown]
	v_mov_b32_e32 v57, s5
	v_ashrrev_i32_e32 v73, 31, v72
	v_ashrrev_i32_e32 v75, 31, v74
	s_cmpk_lg_i32 s9, 0x84
	s_cselect_b64 s[10:11], -1, 0
	s_cmpk_eq_i32 s9, 0x84
	s_waitcnt vmcnt(18)
	buffer_store_dword v84, off, s[0:3], 0 offset:88
	buffer_store_dword v85, off, s[0:3], 0 offset:92
	s_waitcnt vmcnt(13)
	buffer_store_dword v78, off, s[0:3], 0 offset:96
	buffer_store_dword v79, off, s[0:3], 0 offset:100
	global_load_dwordx2 v[78:79], v[43:44], off
	s_waitcnt vmcnt(11)
	buffer_store_dword v45, off, s[0:3], 0 offset:104
	buffer_store_dword v46, off, s[0:3], 0 offset:108
	s_waitcnt vmcnt(12)
	buffer_store_dword v48, off, s[0:3], 0 offset:116
	buffer_store_dword v47, off, s[0:3], 0 offset:112
	;; [unrolled: 3-line block ×7, first 2 shown]
	v_lshlrev_b64 v[45:46], 3, v[59:60]
	v_mov_b32_e32 v47, s5
	v_add_co_u32_e32 v45, vcc, s4, v45
	v_addc_co_u32_e32 v46, vcc, v47, v46, vcc
	v_lshlrev_b64 v[47:48], 3, v[61:62]
	v_mov_b32_e32 v49, s5
	v_add_co_u32_e32 v47, vcc, s4, v47
	v_addc_co_u32_e32 v48, vcc, v49, v48, vcc
	;; [unrolled: 4-line block ×4, first 2 shown]
	v_lshlrev_b64 v[53:54], 3, v[68:69]
	global_load_dwordx2 v[61:62], v[45:46], off
	global_load_dwordx2 v[64:65], v[47:48], off
	;; [unrolled: 1-line block ×4, first 2 shown]
	v_mov_b32_e32 v55, s5
	v_add_co_u32_e32 v53, vcc, s4, v53
	v_addc_co_u32_e32 v54, vcc, v55, v54, vcc
	v_lshlrev_b64 v[55:56], 3, v[70:71]
	v_mov_b32_e32 v59, s5
	v_add_co_u32_e32 v55, vcc, s4, v55
	v_addc_co_u32_e32 v56, vcc, v57, v56, vcc
	v_lshlrev_b64 v[57:58], 3, v[72:73]
	global_load_dwordx2 v[68:69], v[53:54], off
	v_add_co_u32_e32 v57, vcc, s4, v57
	v_addc_co_u32_e32 v58, vcc, v59, v58, vcc
	v_lshlrev_b64 v[59:60], 3, v[74:75]
	v_mov_b32_e32 v70, s5
	v_add_co_u32_e32 v59, vcc, s4, v59
	v_addc_co_u32_e32 v60, vcc, v70, v60, vcc
	global_load_dwordx2 v[70:71], v[55:56], off
	global_load_dwordx2 v[72:73], v[57:58], off
	;; [unrolled: 1-line block ×3, first 2 shown]
	s_waitcnt vmcnt(22)
	buffer_store_dword v79, off, s[0:3], 0 offset:164
	buffer_store_dword v78, off, s[0:3], 0 offset:160
	s_waitcnt vmcnt(9)
	buffer_store_dword v61, off, s[0:3], 0 offset:168
	buffer_store_dword v62, off, s[0:3], 0 offset:172
	;; [unrolled: 3-line block ×9, first 2 shown]
	buffer_store_dword v76, off, s[0:3], 0 offset:232
	v_mov_b32_e32 v61, 0
	v_mov_b32_e32 v62, 0xbff00000
	buffer_store_dword v77, off, s[0:3], 0 offset:236
	s_cbranch_scc1 .LBB29_3
; %bb.2:
	v_mov_b32_e32 v61, 0
	v_lshl_add_u32 v72, v0, 3, v61
	buffer_load_dword v61, v72, s[0:3], 0 offen
	buffer_load_dword v62, v72, s[0:3], 0 offen offset:4
	s_waitcnt vmcnt(0)
	v_div_scale_f64 v[64:65], s[4:5], v[61:62], v[61:62], 1.0
	v_rcp_f64_e32 v[66:67], v[64:65]
	v_fma_f64 v[68:69], -v[64:65], v[66:67], 1.0
	v_fma_f64 v[66:67], v[66:67], v[68:69], v[66:67]
	v_div_scale_f64 v[68:69], vcc, 1.0, v[61:62], 1.0
	v_fma_f64 v[70:71], -v[64:65], v[66:67], 1.0
	v_fma_f64 v[66:67], v[66:67], v[70:71], v[66:67]
	v_mul_f64 v[70:71], v[68:69], v[66:67]
	v_fma_f64 v[64:65], -v[64:65], v[70:71], v[68:69]
	v_div_fmas_f64 v[64:65], v[64:65], v[66:67], v[70:71]
	v_div_fixup_f64 v[61:62], v[64:65], v[61:62], 1.0
	buffer_store_dword v61, v72, s[0:3], 0 offen
	buffer_store_dword v62, v72, s[0:3], 0 offen offset:4
	v_xor_b32_e32 v62, 0x80000000, v62
.LBB29_3:
	s_cmpk_eq_i32 s8, 0x79
	v_add_u32_e32 v64, 0xf0, v63
	v_mov_b32_e32 v65, v63
	s_mov_b64 s[4:5], -1
	ds_write_b64 v63, v[61:62]
	s_cbranch_scc1 .LBB29_287
; %bb.4:
	buffer_load_dword v61, off, s[0:3], 0 offset:224
	buffer_load_dword v62, off, s[0:3], 0 offset:228
	s_movk_i32 s12, 0x48
	s_movk_i32 s13, 0x50
	;; [unrolled: 1-line block ×19, first 2 shown]
	v_cmp_eq_u32_e64 s[4:5], 29, v0
	s_waitcnt vmcnt(0)
	ds_write_b64 v64, v[61:62]
	s_waitcnt lgkmcnt(0)
	; wave barrier
	s_and_saveexec_b64 s[6:7], s[4:5]
	s_cbranch_execz .LBB29_10
; %bb.5:
	s_and_b64 vcc, exec, s[10:11]
	s_cbranch_vccz .LBB29_7
; %bb.6:
	buffer_load_dword v61, v65, s[0:3], 0 offen
	buffer_load_dword v62, v65, s[0:3], 0 offen offset:4
	ds_read_b64 v[66:67], v64
	s_waitcnt vmcnt(0) lgkmcnt(0)
	v_mul_f64 v[61:62], v[61:62], v[66:67]
	s_cbranch_execz .LBB29_8
	s_branch .LBB29_9
.LBB29_7:
                                        ; implicit-def: $vgpr61_vgpr62
.LBB29_8:
	ds_read_b64 v[61:62], v64
.LBB29_9:
	v_mov_b32_e32 v66, 0
	ds_read_b64 v[66:67], v66 offset:224
	s_waitcnt lgkmcnt(0)
	v_mul_f64 v[61:62], v[61:62], v[66:67]
	buffer_store_dword v62, off, s[0:3], 0 offset:228
	buffer_store_dword v61, off, s[0:3], 0 offset:224
.LBB29_10:
	s_or_b64 exec, exec, s[6:7]
	buffer_load_dword v61, off, s[0:3], 0 offset:216
	buffer_load_dword v62, off, s[0:3], 0 offset:220
	s_or_b32 s14, 0, 8
	s_mov_b32 s15, 16
	s_mov_b32 s16, 24
	;; [unrolled: 1-line block ×9, first 2 shown]
	v_cmp_lt_u32_e64 s[6:7], 27, v0
	s_waitcnt vmcnt(0)
	ds_write_b64 v64, v[61:62]
	s_waitcnt lgkmcnt(0)
	; wave barrier
	s_and_saveexec_b64 s[8:9], s[6:7]
	s_cbranch_execz .LBB29_16
; %bb.11:
	s_andn2_b64 vcc, exec, s[10:11]
	s_cbranch_vccnz .LBB29_13
; %bb.12:
	buffer_load_dword v61, v65, s[0:3], 0 offen
	buffer_load_dword v62, v65, s[0:3], 0 offen offset:4
	ds_read_b64 v[66:67], v64
	s_waitcnt vmcnt(0) lgkmcnt(0)
	v_mul_f64 v[61:62], v[61:62], v[66:67]
	s_cbranch_execz .LBB29_14
	s_branch .LBB29_15
.LBB29_13:
                                        ; implicit-def: $vgpr61_vgpr62
.LBB29_14:
	ds_read_b64 v[61:62], v64
.LBB29_15:
	buffer_load_dword v70, off, s[0:3], 0 offset:224
	buffer_load_dword v71, off, s[0:3], 0 offset:228
	v_mov_b32_e32 v66, 0
	ds_read2_b64 v[66:69], v66 offset0:27 offset1:58
	s_waitcnt vmcnt(0) lgkmcnt(0)
	v_fma_f64 v[68:69], v[70:71], v[68:69], v[61:62]
	v_cndmask_b32_e64 v62, v62, v69, s[4:5]
	v_cndmask_b32_e64 v61, v61, v68, s[4:5]
	v_mul_f64 v[61:62], v[61:62], v[66:67]
	buffer_store_dword v62, off, s[0:3], 0 offset:220
	buffer_store_dword v61, off, s[0:3], 0 offset:216
.LBB29_16:
	s_or_b64 exec, exec, s[8:9]
	buffer_load_dword v61, off, s[0:3], 0 offset:208
	buffer_load_dword v62, off, s[0:3], 0 offset:212
	v_cmp_lt_u32_e64 s[4:5], 26, v0
	s_waitcnt vmcnt(0)
	ds_write_b64 v64, v[61:62]
	s_waitcnt lgkmcnt(0)
	; wave barrier
	s_and_saveexec_b64 s[8:9], s[4:5]
	s_cbranch_execz .LBB29_26
; %bb.17:
	s_andn2_b64 vcc, exec, s[10:11]
	s_cbranch_vccnz .LBB29_19
; %bb.18:
	buffer_load_dword v61, v65, s[0:3], 0 offen
	buffer_load_dword v62, v65, s[0:3], 0 offen offset:4
	ds_read_b64 v[66:67], v64
	s_waitcnt vmcnt(0) lgkmcnt(0)
	v_mul_f64 v[61:62], v[61:62], v[66:67]
	s_cbranch_execz .LBB29_20
	s_branch .LBB29_21
.LBB29_19:
                                        ; implicit-def: $vgpr61_vgpr62
.LBB29_20:
	ds_read_b64 v[61:62], v64
.LBB29_21:
	s_and_saveexec_b64 s[12:13], s[6:7]
	s_cbranch_execz .LBB29_25
; %bb.22:
	v_subrev_u32_e32 v66, 27, v0
	s_movk_i32 s42, 0x1c8
	s_mov_b64 s[6:7], 0
.LBB29_23:                              ; =>This Inner Loop Header: Depth=1
	v_mov_b32_e32 v69, s41
	buffer_load_dword v67, v69, s[0:3], 0 offen
	buffer_load_dword v68, v69, s[0:3], 0 offen offset:4
	v_mov_b32_e32 v69, s42
	ds_read_b64 v[69:70], v69
	v_add_u32_e32 v66, -1, v66
	s_add_i32 s42, s42, 8
	s_add_i32 s41, s41, 8
	v_cmp_eq_u32_e32 vcc, 0, v66
	s_or_b64 s[6:7], vcc, s[6:7]
	s_waitcnt vmcnt(0) lgkmcnt(0)
	v_fma_f64 v[61:62], v[67:68], v[69:70], v[61:62]
	s_andn2_b64 exec, exec, s[6:7]
	s_cbranch_execnz .LBB29_23
; %bb.24:
	s_or_b64 exec, exec, s[6:7]
.LBB29_25:
	s_or_b64 exec, exec, s[12:13]
	v_mov_b32_e32 v66, 0
	ds_read_b64 v[66:67], v66 offset:208
	s_waitcnt lgkmcnt(0)
	v_mul_f64 v[61:62], v[61:62], v[66:67]
	buffer_store_dword v62, off, s[0:3], 0 offset:212
	buffer_store_dword v61, off, s[0:3], 0 offset:208
.LBB29_26:
	s_or_b64 exec, exec, s[8:9]
	buffer_load_dword v61, off, s[0:3], 0 offset:200
	buffer_load_dword v62, off, s[0:3], 0 offset:204
	v_cmp_lt_u32_e64 s[6:7], 25, v0
	s_waitcnt vmcnt(0)
	ds_write_b64 v64, v[61:62]
	s_waitcnt lgkmcnt(0)
	; wave barrier
	s_and_saveexec_b64 s[8:9], s[6:7]
	s_cbranch_execz .LBB29_36
; %bb.27:
	s_andn2_b64 vcc, exec, s[10:11]
	s_cbranch_vccnz .LBB29_29
; %bb.28:
	buffer_load_dword v61, v65, s[0:3], 0 offen
	buffer_load_dword v62, v65, s[0:3], 0 offen offset:4
	ds_read_b64 v[66:67], v64
	s_waitcnt vmcnt(0) lgkmcnt(0)
	v_mul_f64 v[61:62], v[61:62], v[66:67]
	s_cbranch_execz .LBB29_30
	s_branch .LBB29_31
.LBB29_29:
                                        ; implicit-def: $vgpr61_vgpr62
.LBB29_30:
	ds_read_b64 v[61:62], v64
.LBB29_31:
	s_and_saveexec_b64 s[12:13], s[4:5]
	s_cbranch_execz .LBB29_35
; %bb.32:
	v_subrev_u32_e32 v66, 26, v0
	s_movk_i32 s41, 0x1c0
	s_mov_b64 s[4:5], 0
.LBB29_33:                              ; =>This Inner Loop Header: Depth=1
	v_mov_b32_e32 v69, s40
	buffer_load_dword v67, v69, s[0:3], 0 offen
	buffer_load_dword v68, v69, s[0:3], 0 offen offset:4
	v_mov_b32_e32 v69, s41
	ds_read_b64 v[69:70], v69
	v_add_u32_e32 v66, -1, v66
	s_add_i32 s41, s41, 8
	s_add_i32 s40, s40, 8
	v_cmp_eq_u32_e32 vcc, 0, v66
	s_or_b64 s[4:5], vcc, s[4:5]
	s_waitcnt vmcnt(0) lgkmcnt(0)
	v_fma_f64 v[61:62], v[67:68], v[69:70], v[61:62]
	s_andn2_b64 exec, exec, s[4:5]
	s_cbranch_execnz .LBB29_33
; %bb.34:
	s_or_b64 exec, exec, s[4:5]
.LBB29_35:
	s_or_b64 exec, exec, s[12:13]
	v_mov_b32_e32 v66, 0
	ds_read_b64 v[66:67], v66 offset:200
	s_waitcnt lgkmcnt(0)
	v_mul_f64 v[61:62], v[61:62], v[66:67]
	buffer_store_dword v62, off, s[0:3], 0 offset:204
	buffer_store_dword v61, off, s[0:3], 0 offset:200
.LBB29_36:
	;; [unrolled: 58-line block ×8, first 2 shown]
	s_or_b64 exec, exec, s[8:9]
	buffer_load_dword v61, off, s[0:3], 0 offset:144
	buffer_load_dword v62, off, s[0:3], 0 offset:148
	v_cmp_lt_u32_e64 s[4:5], 18, v0
	s_waitcnt vmcnt(0)
	ds_write_b64 v64, v[61:62]
	s_waitcnt lgkmcnt(0)
	; wave barrier
	s_and_saveexec_b64 s[8:9], s[4:5]
	s_cbranch_execz .LBB29_106
; %bb.97:
	s_andn2_b64 vcc, exec, s[10:11]
	s_cbranch_vccnz .LBB29_99
; %bb.98:
	buffer_load_dword v61, v65, s[0:3], 0 offen
	buffer_load_dword v62, v65, s[0:3], 0 offen offset:4
	ds_read_b64 v[66:67], v64
	s_waitcnt vmcnt(0) lgkmcnt(0)
	v_mul_f64 v[61:62], v[61:62], v[66:67]
	s_cbranch_execz .LBB29_100
	s_branch .LBB29_101
.LBB29_99:
                                        ; implicit-def: $vgpr61_vgpr62
.LBB29_100:
	ds_read_b64 v[61:62], v64
.LBB29_101:
	s_and_saveexec_b64 s[12:13], s[6:7]
	s_cbranch_execz .LBB29_105
; %bb.102:
	v_subrev_u32_e32 v66, 19, v0
	s_movk_i32 s34, 0x188
	s_mov_b64 s[6:7], 0
.LBB29_103:                             ; =>This Inner Loop Header: Depth=1
	v_mov_b32_e32 v69, s33
	buffer_load_dword v67, v69, s[0:3], 0 offen
	buffer_load_dword v68, v69, s[0:3], 0 offen offset:4
	v_mov_b32_e32 v69, s34
	ds_read_b64 v[69:70], v69
	v_add_u32_e32 v66, -1, v66
	s_add_i32 s34, s34, 8
	s_add_i32 s33, s33, 8
	v_cmp_eq_u32_e32 vcc, 0, v66
	s_or_b64 s[6:7], vcc, s[6:7]
	s_waitcnt vmcnt(0) lgkmcnt(0)
	v_fma_f64 v[61:62], v[67:68], v[69:70], v[61:62]
	s_andn2_b64 exec, exec, s[6:7]
	s_cbranch_execnz .LBB29_103
; %bb.104:
	s_or_b64 exec, exec, s[6:7]
.LBB29_105:
	s_or_b64 exec, exec, s[12:13]
	v_mov_b32_e32 v66, 0
	ds_read_b64 v[66:67], v66 offset:144
	s_waitcnt lgkmcnt(0)
	v_mul_f64 v[61:62], v[61:62], v[66:67]
	buffer_store_dword v62, off, s[0:3], 0 offset:148
	buffer_store_dword v61, off, s[0:3], 0 offset:144
.LBB29_106:
	s_or_b64 exec, exec, s[8:9]
	buffer_load_dword v61, off, s[0:3], 0 offset:136
	buffer_load_dword v62, off, s[0:3], 0 offset:140
	v_cmp_lt_u32_e64 s[6:7], 17, v0
	s_waitcnt vmcnt(0)
	ds_write_b64 v64, v[61:62]
	s_waitcnt lgkmcnt(0)
	; wave barrier
	s_and_saveexec_b64 s[8:9], s[6:7]
	s_cbranch_execz .LBB29_116
; %bb.107:
	s_andn2_b64 vcc, exec, s[10:11]
	s_cbranch_vccnz .LBB29_109
; %bb.108:
	buffer_load_dword v61, v65, s[0:3], 0 offen
	buffer_load_dword v62, v65, s[0:3], 0 offen offset:4
	ds_read_b64 v[66:67], v64
	s_waitcnt vmcnt(0) lgkmcnt(0)
	v_mul_f64 v[61:62], v[61:62], v[66:67]
	s_cbranch_execz .LBB29_110
	s_branch .LBB29_111
.LBB29_109:
                                        ; implicit-def: $vgpr61_vgpr62
.LBB29_110:
	ds_read_b64 v[61:62], v64
.LBB29_111:
	s_and_saveexec_b64 s[12:13], s[4:5]
	s_cbranch_execz .LBB29_115
; %bb.112:
	v_subrev_u32_e32 v66, 18, v0
	s_movk_i32 s33, 0x180
	s_mov_b64 s[4:5], 0
.LBB29_113:                             ; =>This Inner Loop Header: Depth=1
	v_mov_b32_e32 v69, s31
	buffer_load_dword v67, v69, s[0:3], 0 offen
	buffer_load_dword v68, v69, s[0:3], 0 offen offset:4
	v_mov_b32_e32 v69, s33
	ds_read_b64 v[69:70], v69
	v_add_u32_e32 v66, -1, v66
	s_add_i32 s33, s33, 8
	s_add_i32 s31, s31, 8
	v_cmp_eq_u32_e32 vcc, 0, v66
	s_or_b64 s[4:5], vcc, s[4:5]
	s_waitcnt vmcnt(0) lgkmcnt(0)
	v_fma_f64 v[61:62], v[67:68], v[69:70], v[61:62]
	s_andn2_b64 exec, exec, s[4:5]
	s_cbranch_execnz .LBB29_113
; %bb.114:
	s_or_b64 exec, exec, s[4:5]
.LBB29_115:
	s_or_b64 exec, exec, s[12:13]
	v_mov_b32_e32 v66, 0
	ds_read_b64 v[66:67], v66 offset:136
	s_waitcnt lgkmcnt(0)
	v_mul_f64 v[61:62], v[61:62], v[66:67]
	buffer_store_dword v62, off, s[0:3], 0 offset:140
	buffer_store_dword v61, off, s[0:3], 0 offset:136
.LBB29_116:
	;; [unrolled: 58-line block ×3, first 2 shown]
	s_or_b64 exec, exec, s[8:9]
	buffer_load_dword v61, off, s[0:3], 0 offset:120
	buffer_load_dword v62, off, s[0:3], 0 offset:124
	v_cmp_lt_u32_e64 s[6:7], 15, v0
	s_waitcnt vmcnt(0)
	ds_write_b64 v64, v[61:62]
	s_waitcnt lgkmcnt(0)
	; wave barrier
	s_and_saveexec_b64 s[8:9], s[6:7]
	s_cbranch_execz .LBB29_136
; %bb.127:
	s_andn2_b64 vcc, exec, s[10:11]
	s_cbranch_vccnz .LBB29_129
; %bb.128:
	buffer_load_dword v61, v65, s[0:3], 0 offen
	buffer_load_dword v62, v65, s[0:3], 0 offen offset:4
	ds_read_b64 v[66:67], v64
	s_waitcnt vmcnt(0) lgkmcnt(0)
	v_mul_f64 v[61:62], v[61:62], v[66:67]
	s_cbranch_execz .LBB29_130
	s_branch .LBB29_131
.LBB29_129:
                                        ; implicit-def: $vgpr61_vgpr62
.LBB29_130:
	ds_read_b64 v[61:62], v64
.LBB29_131:
	s_and_saveexec_b64 s[12:13], s[4:5]
	s_cbranch_execz .LBB29_135
; %bb.132:
	v_add_u32_e32 v66, -16, v0
	s_movk_i32 s30, 0x170
	s_mov_b64 s[4:5], 0
.LBB29_133:                             ; =>This Inner Loop Header: Depth=1
	v_mov_b32_e32 v69, s29
	buffer_load_dword v67, v69, s[0:3], 0 offen
	buffer_load_dword v68, v69, s[0:3], 0 offen offset:4
	v_mov_b32_e32 v69, s30
	ds_read_b64 v[69:70], v69
	v_add_u32_e32 v66, -1, v66
	s_add_i32 s30, s30, 8
	s_add_i32 s29, s29, 8
	v_cmp_eq_u32_e32 vcc, 0, v66
	s_or_b64 s[4:5], vcc, s[4:5]
	s_waitcnt vmcnt(0) lgkmcnt(0)
	v_fma_f64 v[61:62], v[67:68], v[69:70], v[61:62]
	s_andn2_b64 exec, exec, s[4:5]
	s_cbranch_execnz .LBB29_133
; %bb.134:
	s_or_b64 exec, exec, s[4:5]
.LBB29_135:
	s_or_b64 exec, exec, s[12:13]
	v_mov_b32_e32 v66, 0
	ds_read_b64 v[66:67], v66 offset:120
	s_waitcnt lgkmcnt(0)
	v_mul_f64 v[61:62], v[61:62], v[66:67]
	buffer_store_dword v62, off, s[0:3], 0 offset:124
	buffer_store_dword v61, off, s[0:3], 0 offset:120
.LBB29_136:
	s_or_b64 exec, exec, s[8:9]
	buffer_load_dword v61, off, s[0:3], 0 offset:112
	buffer_load_dword v62, off, s[0:3], 0 offset:116
	v_cmp_lt_u32_e64 s[4:5], 14, v0
	s_waitcnt vmcnt(0)
	ds_write_b64 v64, v[61:62]
	s_waitcnt lgkmcnt(0)
	; wave barrier
	s_and_saveexec_b64 s[8:9], s[4:5]
	s_cbranch_execz .LBB29_146
; %bb.137:
	s_andn2_b64 vcc, exec, s[10:11]
	s_cbranch_vccnz .LBB29_139
; %bb.138:
	buffer_load_dword v61, v65, s[0:3], 0 offen
	buffer_load_dword v62, v65, s[0:3], 0 offen offset:4
	ds_read_b64 v[66:67], v64
	s_waitcnt vmcnt(0) lgkmcnt(0)
	v_mul_f64 v[61:62], v[61:62], v[66:67]
	s_cbranch_execz .LBB29_140
	s_branch .LBB29_141
.LBB29_139:
                                        ; implicit-def: $vgpr61_vgpr62
.LBB29_140:
	ds_read_b64 v[61:62], v64
.LBB29_141:
	s_and_saveexec_b64 s[12:13], s[6:7]
	s_cbranch_execz .LBB29_145
; %bb.142:
	v_add_u32_e32 v66, -15, v0
	s_movk_i32 s29, 0x168
	s_mov_b64 s[6:7], 0
.LBB29_143:                             ; =>This Inner Loop Header: Depth=1
	v_mov_b32_e32 v69, s28
	buffer_load_dword v67, v69, s[0:3], 0 offen
	buffer_load_dword v68, v69, s[0:3], 0 offen offset:4
	v_mov_b32_e32 v69, s29
	ds_read_b64 v[69:70], v69
	v_add_u32_e32 v66, -1, v66
	s_add_i32 s29, s29, 8
	s_add_i32 s28, s28, 8
	v_cmp_eq_u32_e32 vcc, 0, v66
	s_or_b64 s[6:7], vcc, s[6:7]
	s_waitcnt vmcnt(0) lgkmcnt(0)
	v_fma_f64 v[61:62], v[67:68], v[69:70], v[61:62]
	s_andn2_b64 exec, exec, s[6:7]
	s_cbranch_execnz .LBB29_143
; %bb.144:
	s_or_b64 exec, exec, s[6:7]
.LBB29_145:
	s_or_b64 exec, exec, s[12:13]
	v_mov_b32_e32 v66, 0
	ds_read_b64 v[66:67], v66 offset:112
	s_waitcnt lgkmcnt(0)
	v_mul_f64 v[61:62], v[61:62], v[66:67]
	buffer_store_dword v62, off, s[0:3], 0 offset:116
	buffer_store_dword v61, off, s[0:3], 0 offset:112
.LBB29_146:
	;; [unrolled: 58-line block ×15, first 2 shown]
	s_or_b64 exec, exec, s[8:9]
	buffer_load_dword v61, off, s[0:3], 0
	buffer_load_dword v62, off, s[0:3], 0 offset:4
	v_cmp_ne_u32_e32 vcc, 0, v0
	s_waitcnt vmcnt(0)
	ds_write_b64 v64, v[61:62]
	s_waitcnt lgkmcnt(0)
	; wave barrier
	s_and_saveexec_b64 s[4:5], vcc
	s_cbranch_execz .LBB29_286
; %bb.277:
	s_andn2_b64 vcc, exec, s[10:11]
	s_cbranch_vccnz .LBB29_279
; %bb.278:
	buffer_load_dword v61, v65, s[0:3], 0 offen
	buffer_load_dword v62, v65, s[0:3], 0 offen offset:4
	ds_read_b64 v[66:67], v64
	s_waitcnt vmcnt(0) lgkmcnt(0)
	v_mul_f64 v[61:62], v[61:62], v[66:67]
	s_cbranch_execz .LBB29_280
	s_branch .LBB29_281
.LBB29_279:
                                        ; implicit-def: $vgpr61_vgpr62
.LBB29_280:
	ds_read_b64 v[61:62], v64
.LBB29_281:
	s_and_saveexec_b64 s[8:9], s[6:7]
	s_cbranch_execz .LBB29_285
; %bb.282:
	v_add_u32_e32 v66, -1, v0
	s_movk_i32 s12, 0xf8
	s_mov_b64 s[6:7], 0
.LBB29_283:                             ; =>This Inner Loop Header: Depth=1
	v_mov_b32_e32 v69, s14
	buffer_load_dword v67, v69, s[0:3], 0 offen
	buffer_load_dword v68, v69, s[0:3], 0 offen offset:4
	v_mov_b32_e32 v69, s12
	ds_read_b64 v[69:70], v69
	v_add_u32_e32 v66, -1, v66
	s_add_i32 s12, s12, 8
	s_add_i32 s14, s14, 8
	v_cmp_eq_u32_e32 vcc, 0, v66
	s_or_b64 s[6:7], vcc, s[6:7]
	s_waitcnt vmcnt(0) lgkmcnt(0)
	v_fma_f64 v[61:62], v[67:68], v[69:70], v[61:62]
	s_andn2_b64 exec, exec, s[6:7]
	s_cbranch_execnz .LBB29_283
; %bb.284:
	s_or_b64 exec, exec, s[6:7]
.LBB29_285:
	s_or_b64 exec, exec, s[8:9]
	v_mov_b32_e32 v66, 0
	ds_read_b64 v[66:67], v66
	s_waitcnt lgkmcnt(0)
	v_mul_f64 v[61:62], v[61:62], v[66:67]
	buffer_store_dword v62, off, s[0:3], 0 offset:4
	buffer_store_dword v61, off, s[0:3], 0
.LBB29_286:
	s_or_b64 exec, exec, s[4:5]
	s_mov_b64 s[4:5], 0
.LBB29_287:
	s_and_b64 vcc, exec, s[4:5]
	s_cbranch_vccz .LBB29_569
; %bb.288:
	buffer_load_dword v61, off, s[0:3], 0 offset:8
	buffer_load_dword v62, off, s[0:3], 0 offset:12
	v_cmp_eq_u32_e64 s[6:7], 0, v0
	s_waitcnt vmcnt(0)
	ds_write_b64 v64, v[61:62]
	s_waitcnt lgkmcnt(0)
	; wave barrier
	s_and_saveexec_b64 s[4:5], s[6:7]
	s_cbranch_execz .LBB29_294
; %bb.289:
	s_and_b64 vcc, exec, s[10:11]
	s_cbranch_vccz .LBB29_291
; %bb.290:
	buffer_load_dword v61, v65, s[0:3], 0 offen
	buffer_load_dword v62, v65, s[0:3], 0 offen offset:4
	ds_read_b64 v[66:67], v64
	s_waitcnt vmcnt(0) lgkmcnt(0)
	v_mul_f64 v[61:62], v[61:62], v[66:67]
	s_cbranch_execz .LBB29_292
	s_branch .LBB29_293
.LBB29_291:
                                        ; implicit-def: $vgpr61_vgpr62
.LBB29_292:
	ds_read_b64 v[61:62], v64
.LBB29_293:
	v_mov_b32_e32 v66, 0
	ds_read_b64 v[66:67], v66 offset:8
	s_waitcnt lgkmcnt(0)
	v_mul_f64 v[61:62], v[61:62], v[66:67]
	buffer_store_dword v62, off, s[0:3], 0 offset:12
	buffer_store_dword v61, off, s[0:3], 0 offset:8
.LBB29_294:
	s_or_b64 exec, exec, s[4:5]
	buffer_load_dword v61, off, s[0:3], 0 offset:16
	buffer_load_dword v62, off, s[0:3], 0 offset:20
	v_cndmask_b32_e64 v66, 0, 1, s[10:11]
	v_cmp_gt_u32_e32 vcc, 2, v0
	v_cmp_ne_u32_e64 s[4:5], 1, v66
	s_waitcnt vmcnt(0)
	ds_write_b64 v64, v[61:62]
	s_waitcnt lgkmcnt(0)
	; wave barrier
	s_and_saveexec_b64 s[8:9], vcc
	s_cbranch_execz .LBB29_300
; %bb.295:
	s_and_b64 vcc, exec, s[4:5]
	s_cbranch_vccnz .LBB29_297
; %bb.296:
	buffer_load_dword v61, v65, s[0:3], 0 offen
	buffer_load_dword v62, v65, s[0:3], 0 offen offset:4
	ds_read_b64 v[66:67], v64
	s_waitcnt vmcnt(0) lgkmcnt(0)
	v_mul_f64 v[61:62], v[61:62], v[66:67]
	s_cbranch_execz .LBB29_298
	s_branch .LBB29_299
.LBB29_297:
                                        ; implicit-def: $vgpr61_vgpr62
.LBB29_298:
	ds_read_b64 v[61:62], v64
.LBB29_299:
	buffer_load_dword v70, off, s[0:3], 0 offset:8
	buffer_load_dword v71, off, s[0:3], 0 offset:12
	v_mov_b32_e32 v66, 0
	ds_read2_b64 v[66:69], v66 offset0:2 offset1:31
	s_waitcnt vmcnt(0) lgkmcnt(0)
	v_fma_f64 v[68:69], v[70:71], v[68:69], v[61:62]
	v_cndmask_b32_e64 v62, v62, v69, s[6:7]
	v_cndmask_b32_e64 v61, v61, v68, s[6:7]
	v_mul_f64 v[61:62], v[61:62], v[66:67]
	buffer_store_dword v62, off, s[0:3], 0 offset:20
	buffer_store_dword v61, off, s[0:3], 0 offset:16
.LBB29_300:
	s_or_b64 exec, exec, s[8:9]
	buffer_load_dword v61, off, s[0:3], 0 offset:24
	buffer_load_dword v62, off, s[0:3], 0 offset:28
	v_cmp_gt_u32_e32 vcc, 3, v0
	s_waitcnt vmcnt(0)
	ds_write_b64 v64, v[61:62]
	s_waitcnt lgkmcnt(0)
	; wave barrier
	s_and_saveexec_b64 s[8:9], vcc
	s_cbranch_execz .LBB29_308
; %bb.301:
	s_and_b64 vcc, exec, s[4:5]
	s_cbranch_vccnz .LBB29_303
; %bb.302:
	buffer_load_dword v61, v65, s[0:3], 0 offen
	buffer_load_dword v62, v65, s[0:3], 0 offen offset:4
	ds_read_b64 v[66:67], v64
	s_waitcnt vmcnt(0) lgkmcnt(0)
	v_mul_f64 v[61:62], v[61:62], v[66:67]
	s_cbranch_execz .LBB29_304
	s_branch .LBB29_305
.LBB29_303:
                                        ; implicit-def: $vgpr61_vgpr62
.LBB29_304:
	ds_read_b64 v[61:62], v64
.LBB29_305:
	v_cmp_ne_u32_e32 vcc, 2, v0
	s_and_saveexec_b64 s[10:11], vcc
	s_cbranch_execz .LBB29_307
; %bb.306:
	buffer_load_dword v66, v65, s[0:3], 0 offen offset:8
	buffer_load_dword v67, v65, s[0:3], 0 offen offset:12
	buffer_load_dword v68, off, s[0:3], 0 offset:16
	buffer_load_dword v69, off, s[0:3], 0 offset:20
	ds_read_b64 v[70:71], v64 offset:8
	v_mov_b32_e32 v72, 0
	ds_read_b64 v[72:73], v72 offset:256
	s_waitcnt vmcnt(2) lgkmcnt(1)
	v_fma_f64 v[61:62], v[66:67], v[70:71], v[61:62]
	s_waitcnt vmcnt(0) lgkmcnt(0)
	v_fma_f64 v[66:67], v[68:69], v[72:73], v[61:62]
	v_cndmask_b32_e64 v62, v62, v67, s[6:7]
	v_cndmask_b32_e64 v61, v61, v66, s[6:7]
.LBB29_307:
	s_or_b64 exec, exec, s[10:11]
	v_mov_b32_e32 v66, 0
	ds_read_b64 v[66:67], v66 offset:24
	s_waitcnt lgkmcnt(0)
	v_mul_f64 v[61:62], v[61:62], v[66:67]
	buffer_store_dword v62, off, s[0:3], 0 offset:28
	buffer_store_dword v61, off, s[0:3], 0 offset:24
.LBB29_308:
	s_or_b64 exec, exec, s[8:9]
	buffer_load_dword v61, off, s[0:3], 0 offset:32
	buffer_load_dword v62, off, s[0:3], 0 offset:36
	v_cmp_gt_u32_e32 vcc, 4, v0
	s_waitcnt vmcnt(0)
	ds_write_b64 v64, v[61:62]
	s_waitcnt lgkmcnt(0)
	; wave barrier
	s_and_saveexec_b64 s[6:7], vcc
	s_cbranch_execz .LBB29_318
; %bb.309:
	s_and_b64 vcc, exec, s[4:5]
	s_cbranch_vccnz .LBB29_311
; %bb.310:
	buffer_load_dword v61, v65, s[0:3], 0 offen
	buffer_load_dword v62, v65, s[0:3], 0 offen offset:4
	ds_read_b64 v[66:67], v64
	s_waitcnt vmcnt(0) lgkmcnt(0)
	v_mul_f64 v[61:62], v[61:62], v[66:67]
	s_cbranch_execz .LBB29_312
	s_branch .LBB29_313
.LBB29_311:
                                        ; implicit-def: $vgpr61_vgpr62
.LBB29_312:
	ds_read_b64 v[61:62], v64
.LBB29_313:
	v_cmp_ne_u32_e32 vcc, 3, v0
	s_and_saveexec_b64 s[8:9], vcc
	s_cbranch_execz .LBB29_317
; %bb.314:
	s_mov_b32 s10, 0
	v_add_u32_e32 v66, 0xf8, v63
	v_add3_u32 v67, v63, s10, 8
	s_mov_b64 s[10:11], 0
	v_mov_b32_e32 v68, v0
.LBB29_315:                             ; =>This Inner Loop Header: Depth=1
	buffer_load_dword v69, v67, s[0:3], 0 offen
	buffer_load_dword v70, v67, s[0:3], 0 offen offset:4
	ds_read_b64 v[71:72], v66
	v_add_u32_e32 v68, 1, v68
	v_cmp_lt_u32_e32 vcc, 2, v68
	v_add_u32_e32 v66, 8, v66
	s_or_b64 s[10:11], vcc, s[10:11]
	v_add_u32_e32 v67, 8, v67
	s_waitcnt vmcnt(0) lgkmcnt(0)
	v_fma_f64 v[61:62], v[69:70], v[71:72], v[61:62]
	s_andn2_b64 exec, exec, s[10:11]
	s_cbranch_execnz .LBB29_315
; %bb.316:
	s_or_b64 exec, exec, s[10:11]
.LBB29_317:
	s_or_b64 exec, exec, s[8:9]
	v_mov_b32_e32 v66, 0
	ds_read_b64 v[66:67], v66 offset:32
	s_waitcnt lgkmcnt(0)
	v_mul_f64 v[61:62], v[61:62], v[66:67]
	buffer_store_dword v62, off, s[0:3], 0 offset:36
	buffer_store_dword v61, off, s[0:3], 0 offset:32
.LBB29_318:
	s_or_b64 exec, exec, s[6:7]
	buffer_load_dword v61, off, s[0:3], 0 offset:40
	buffer_load_dword v62, off, s[0:3], 0 offset:44
	v_cmp_gt_u32_e32 vcc, 5, v0
	s_waitcnt vmcnt(0)
	ds_write_b64 v64, v[61:62]
	s_waitcnt lgkmcnt(0)
	; wave barrier
	s_and_saveexec_b64 s[6:7], vcc
	s_cbranch_execz .LBB29_328
; %bb.319:
	s_and_b64 vcc, exec, s[4:5]
	s_cbranch_vccnz .LBB29_321
; %bb.320:
	buffer_load_dword v61, v65, s[0:3], 0 offen
	buffer_load_dword v62, v65, s[0:3], 0 offen offset:4
	ds_read_b64 v[66:67], v64
	s_waitcnt vmcnt(0) lgkmcnt(0)
	v_mul_f64 v[61:62], v[61:62], v[66:67]
	s_cbranch_execz .LBB29_322
	s_branch .LBB29_323
.LBB29_321:
                                        ; implicit-def: $vgpr61_vgpr62
.LBB29_322:
	ds_read_b64 v[61:62], v64
.LBB29_323:
	v_cmp_ne_u32_e32 vcc, 4, v0
	s_and_saveexec_b64 s[8:9], vcc
	s_cbranch_execz .LBB29_327
; %bb.324:
	s_mov_b32 s10, 0
	v_add_u32_e32 v66, 0xf8, v63
	v_add3_u32 v67, v63, s10, 8
	s_mov_b64 s[10:11], 0
	v_mov_b32_e32 v68, v0
.LBB29_325:                             ; =>This Inner Loop Header: Depth=1
	buffer_load_dword v69, v67, s[0:3], 0 offen
	buffer_load_dword v70, v67, s[0:3], 0 offen offset:4
	ds_read_b64 v[71:72], v66
	v_add_u32_e32 v68, 1, v68
	v_cmp_lt_u32_e32 vcc, 3, v68
	v_add_u32_e32 v66, 8, v66
	s_or_b64 s[10:11], vcc, s[10:11]
	v_add_u32_e32 v67, 8, v67
	s_waitcnt vmcnt(0) lgkmcnt(0)
	v_fma_f64 v[61:62], v[69:70], v[71:72], v[61:62]
	s_andn2_b64 exec, exec, s[10:11]
	s_cbranch_execnz .LBB29_325
; %bb.326:
	s_or_b64 exec, exec, s[10:11]
.LBB29_327:
	s_or_b64 exec, exec, s[8:9]
	v_mov_b32_e32 v66, 0
	ds_read_b64 v[66:67], v66 offset:40
	s_waitcnt lgkmcnt(0)
	v_mul_f64 v[61:62], v[61:62], v[66:67]
	buffer_store_dword v62, off, s[0:3], 0 offset:44
	buffer_store_dword v61, off, s[0:3], 0 offset:40
.LBB29_328:
	;; [unrolled: 59-line block ×24, first 2 shown]
	s_or_b64 exec, exec, s[6:7]
	buffer_load_dword v61, off, s[0:3], 0 offset:224
	buffer_load_dword v62, off, s[0:3], 0 offset:228
	v_cmp_gt_u32_e64 s[6:7], 28, v0
	s_waitcnt vmcnt(0)
	ds_write_b64 v64, v[61:62]
	s_waitcnt lgkmcnt(0)
	; wave barrier
	s_and_saveexec_b64 s[8:9], s[6:7]
	s_cbranch_execz .LBB29_558
; %bb.549:
	s_and_b64 vcc, exec, s[4:5]
	s_cbranch_vccnz .LBB29_551
; %bb.550:
	buffer_load_dword v61, v65, s[0:3], 0 offen
	buffer_load_dword v62, v65, s[0:3], 0 offen offset:4
	ds_read_b64 v[66:67], v64
	s_waitcnt vmcnt(0) lgkmcnt(0)
	v_mul_f64 v[61:62], v[61:62], v[66:67]
	s_cbranch_execz .LBB29_552
	s_branch .LBB29_553
.LBB29_551:
                                        ; implicit-def: $vgpr61_vgpr62
.LBB29_552:
	ds_read_b64 v[61:62], v64
.LBB29_553:
	v_cmp_ne_u32_e32 vcc, 27, v0
	s_and_saveexec_b64 s[10:11], vcc
	s_cbranch_execz .LBB29_557
; %bb.554:
	s_mov_b32 s12, 0
	v_add_u32_e32 v66, 0xf8, v63
	v_add3_u32 v67, v63, s12, 8
	s_mov_b64 s[12:13], 0
	v_mov_b32_e32 v68, v0
.LBB29_555:                             ; =>This Inner Loop Header: Depth=1
	buffer_load_dword v69, v67, s[0:3], 0 offen
	buffer_load_dword v70, v67, s[0:3], 0 offen offset:4
	ds_read_b64 v[71:72], v66
	v_add_u32_e32 v68, 1, v68
	v_cmp_lt_u32_e32 vcc, 26, v68
	v_add_u32_e32 v66, 8, v66
	s_or_b64 s[12:13], vcc, s[12:13]
	v_add_u32_e32 v67, 8, v67
	s_waitcnt vmcnt(0) lgkmcnt(0)
	v_fma_f64 v[61:62], v[69:70], v[71:72], v[61:62]
	s_andn2_b64 exec, exec, s[12:13]
	s_cbranch_execnz .LBB29_555
; %bb.556:
	s_or_b64 exec, exec, s[12:13]
.LBB29_557:
	s_or_b64 exec, exec, s[10:11]
	v_mov_b32_e32 v66, 0
	ds_read_b64 v[66:67], v66 offset:224
	s_waitcnt lgkmcnt(0)
	v_mul_f64 v[61:62], v[61:62], v[66:67]
	buffer_store_dword v62, off, s[0:3], 0 offset:228
	buffer_store_dword v61, off, s[0:3], 0 offset:224
.LBB29_558:
	s_or_b64 exec, exec, s[8:9]
	buffer_load_dword v61, off, s[0:3], 0 offset:232
	buffer_load_dword v62, off, s[0:3], 0 offset:236
	v_cmp_ne_u32_e32 vcc, 29, v0
	s_waitcnt vmcnt(0)
	ds_write_b64 v64, v[61:62]
	s_waitcnt lgkmcnt(0)
	; wave barrier
	s_and_saveexec_b64 s[8:9], vcc
	s_cbranch_execz .LBB29_568
; %bb.559:
	s_and_b64 vcc, exec, s[4:5]
	s_cbranch_vccnz .LBB29_561
; %bb.560:
	buffer_load_dword v61, v65, s[0:3], 0 offen
	buffer_load_dword v62, v65, s[0:3], 0 offen offset:4
	ds_read_b64 v[65:66], v64
	s_waitcnt vmcnt(0) lgkmcnt(0)
	v_mul_f64 v[61:62], v[61:62], v[65:66]
	s_cbranch_execz .LBB29_562
	s_branch .LBB29_563
.LBB29_561:
                                        ; implicit-def: $vgpr61_vgpr62
.LBB29_562:
	ds_read_b64 v[61:62], v64
.LBB29_563:
	s_and_saveexec_b64 s[4:5], s[6:7]
	s_cbranch_execz .LBB29_567
; %bb.564:
	s_mov_b32 s6, 0
	v_add_u32_e32 v64, 0xf8, v63
	v_add3_u32 v63, v63, s6, 8
	s_mov_b64 s[6:7], 0
.LBB29_565:                             ; =>This Inner Loop Header: Depth=1
	buffer_load_dword v65, v63, s[0:3], 0 offen
	buffer_load_dword v66, v63, s[0:3], 0 offen offset:4
	ds_read_b64 v[67:68], v64
	v_add_u32_e32 v0, 1, v0
	v_cmp_lt_u32_e32 vcc, 27, v0
	v_add_u32_e32 v64, 8, v64
	s_or_b64 s[6:7], vcc, s[6:7]
	v_add_u32_e32 v63, 8, v63
	s_waitcnt vmcnt(0) lgkmcnt(0)
	v_fma_f64 v[61:62], v[65:66], v[67:68], v[61:62]
	s_andn2_b64 exec, exec, s[6:7]
	s_cbranch_execnz .LBB29_565
; %bb.566:
	s_or_b64 exec, exec, s[6:7]
.LBB29_567:
	s_or_b64 exec, exec, s[4:5]
	v_mov_b32_e32 v0, 0
	ds_read_b64 v[63:64], v0 offset:232
	s_waitcnt lgkmcnt(0)
	v_mul_f64 v[61:62], v[61:62], v[63:64]
	buffer_store_dword v62, off, s[0:3], 0 offset:236
	buffer_store_dword v61, off, s[0:3], 0 offset:232
.LBB29_568:
	s_or_b64 exec, exec, s[8:9]
.LBB29_569:
	buffer_load_dword v61, off, s[0:3], 0
	buffer_load_dword v62, off, s[0:3], 0 offset:4
	buffer_load_dword v63, off, s[0:3], 0 offset:8
	;; [unrolled: 1-line block ×15, first 2 shown]
	s_waitcnt vmcnt(14)
	global_store_dwordx2 v[3:4], v[61:62], off
	buffer_load_dword v4, off, s[0:3], 0 offset:68
	s_nop 0
	buffer_load_dword v61, off, s[0:3], 0 offset:72
	buffer_load_dword v62, off, s[0:3], 0 offset:76
	;; [unrolled: 1-line block ×7, first 2 shown]
	s_waitcnt vmcnt(21)
	global_store_dwordx2 v[1:2], v[63:64], off
	s_waitcnt vmcnt(20)
	global_store_dwordx2 v[7:8], v[65:66], off
	buffer_load_dword v0, off, s[0:3], 0 offset:96
	buffer_load_dword v1, off, s[0:3], 0 offset:100
	s_nop 0
	buffer_load_dword v7, off, s[0:3], 0 offset:104
	buffer_load_dword v8, off, s[0:3], 0 offset:108
	buffer_load_dword v63, off, s[0:3], 0 offset:112
	buffer_load_dword v64, off, s[0:3], 0 offset:116
	buffer_load_dword v65, off, s[0:3], 0 offset:120
	buffer_load_dword v66, off, s[0:3], 0 offset:124
	s_waitcnt vmcnt(27)
	global_store_dwordx2 v[5:6], v[67:68], off
	s_waitcnt vmcnt(26)
	global_store_dwordx2 v[9:10], v[69:70], off
	buffer_load_dword v5, off, s[0:3], 0 offset:128
	buffer_load_dword v6, off, s[0:3], 0 offset:132
	s_nop 0
	buffer_load_dword v9, off, s[0:3], 0 offset:136
	buffer_load_dword v10, off, s[0:3], 0 offset:140
	buffer_load_dword v67, off, s[0:3], 0 offset:144
	buffer_load_dword v68, off, s[0:3], 0 offset:148
	buffer_load_dword v69, off, s[0:3], 0 offset:152
	buffer_load_dword v70, off, s[0:3], 0 offset:156
	s_waitcnt vmcnt(33)
	global_store_dwordx2 v[11:12], v[71:72], off
	s_waitcnt vmcnt(32)
	global_store_dwordx2 v[15:16], v[73:74], off
	buffer_load_dword v11, off, s[0:3], 0 offset:160
	buffer_load_dword v12, off, s[0:3], 0 offset:164
	s_nop 0
	buffer_load_dword v15, off, s[0:3], 0 offset:168
	buffer_load_dword v16, off, s[0:3], 0 offset:172
	buffer_load_dword v71, off, s[0:3], 0 offset:176
	buffer_load_dword v72, off, s[0:3], 0 offset:180
	buffer_load_dword v73, off, s[0:3], 0 offset:184
	buffer_load_dword v74, off, s[0:3], 0 offset:188
	s_waitcnt vmcnt(39)
	global_store_dwordx2 v[13:14], v[75:76], off
	s_waitcnt vmcnt(31)
	global_store_dwordx2 v[19:20], v[3:4], off
	buffer_load_dword v2, off, s[0:3], 0 offset:192
	s_nop 0
	buffer_load_dword v3, off, s[0:3], 0 offset:196
	buffer_load_dword v13, off, s[0:3], 0 offset:200
	;; [unrolled: 1-line block ×7, first 2 shown]
	s_nop 0
	global_store_dwordx2 v[17:18], v[61:62], off
	buffer_load_dword v17, off, s[0:3], 0 offset:224
	s_nop 0
	buffer_load_dword v18, off, s[0:3], 0 offset:228
	buffer_load_dword v61, off, s[0:3], 0 offset:232
	;; [unrolled: 1-line block ×3, first 2 shown]
	s_nop 0
	global_store_dwordx2 v[21:22], v[77:78], off
	global_store_dwordx2 v[25:26], v[79:80], off
	s_waitcnt vmcnt(43)
	global_store_dwordx2 v[27:28], v[0:1], off
	s_waitcnt vmcnt(42)
	;; [unrolled: 2-line block ×18, first 2 shown]
	global_store_dwordx2 v[23:24], v[61:62], off
.LBB29_570:
	s_endpgm
	.section	.rodata,"a",@progbits
	.p2align	6, 0x0
	.amdhsa_kernel _ZN9rocsolver6v33100L18trti2_kernel_smallILi30EdPdEEv13rocblas_fill_17rocblas_diagonal_T1_iil
		.amdhsa_group_segment_fixed_size 480
		.amdhsa_private_segment_fixed_size 256
		.amdhsa_kernarg_size 32
		.amdhsa_user_sgpr_count 6
		.amdhsa_user_sgpr_private_segment_buffer 1
		.amdhsa_user_sgpr_dispatch_ptr 0
		.amdhsa_user_sgpr_queue_ptr 0
		.amdhsa_user_sgpr_kernarg_segment_ptr 1
		.amdhsa_user_sgpr_dispatch_id 0
		.amdhsa_user_sgpr_flat_scratch_init 0
		.amdhsa_user_sgpr_private_segment_size 0
		.amdhsa_uses_dynamic_stack 0
		.amdhsa_system_sgpr_private_segment_wavefront_offset 1
		.amdhsa_system_sgpr_workgroup_id_x 1
		.amdhsa_system_sgpr_workgroup_id_y 0
		.amdhsa_system_sgpr_workgroup_id_z 0
		.amdhsa_system_sgpr_workgroup_info 0
		.amdhsa_system_vgpr_workitem_id 0
		.amdhsa_next_free_vgpr 86
		.amdhsa_next_free_sgpr 43
		.amdhsa_reserve_vcc 1
		.amdhsa_reserve_flat_scratch 0
		.amdhsa_float_round_mode_32 0
		.amdhsa_float_round_mode_16_64 0
		.amdhsa_float_denorm_mode_32 3
		.amdhsa_float_denorm_mode_16_64 3
		.amdhsa_dx10_clamp 1
		.amdhsa_ieee_mode 1
		.amdhsa_fp16_overflow 0
		.amdhsa_exception_fp_ieee_invalid_op 0
		.amdhsa_exception_fp_denorm_src 0
		.amdhsa_exception_fp_ieee_div_zero 0
		.amdhsa_exception_fp_ieee_overflow 0
		.amdhsa_exception_fp_ieee_underflow 0
		.amdhsa_exception_fp_ieee_inexact 0
		.amdhsa_exception_int_div_zero 0
	.end_amdhsa_kernel
	.section	.text._ZN9rocsolver6v33100L18trti2_kernel_smallILi30EdPdEEv13rocblas_fill_17rocblas_diagonal_T1_iil,"axG",@progbits,_ZN9rocsolver6v33100L18trti2_kernel_smallILi30EdPdEEv13rocblas_fill_17rocblas_diagonal_T1_iil,comdat
.Lfunc_end29:
	.size	_ZN9rocsolver6v33100L18trti2_kernel_smallILi30EdPdEEv13rocblas_fill_17rocblas_diagonal_T1_iil, .Lfunc_end29-_ZN9rocsolver6v33100L18trti2_kernel_smallILi30EdPdEEv13rocblas_fill_17rocblas_diagonal_T1_iil
                                        ; -- End function
	.set _ZN9rocsolver6v33100L18trti2_kernel_smallILi30EdPdEEv13rocblas_fill_17rocblas_diagonal_T1_iil.num_vgpr, 86
	.set _ZN9rocsolver6v33100L18trti2_kernel_smallILi30EdPdEEv13rocblas_fill_17rocblas_diagonal_T1_iil.num_agpr, 0
	.set _ZN9rocsolver6v33100L18trti2_kernel_smallILi30EdPdEEv13rocblas_fill_17rocblas_diagonal_T1_iil.numbered_sgpr, 43
	.set _ZN9rocsolver6v33100L18trti2_kernel_smallILi30EdPdEEv13rocblas_fill_17rocblas_diagonal_T1_iil.num_named_barrier, 0
	.set _ZN9rocsolver6v33100L18trti2_kernel_smallILi30EdPdEEv13rocblas_fill_17rocblas_diagonal_T1_iil.private_seg_size, 256
	.set _ZN9rocsolver6v33100L18trti2_kernel_smallILi30EdPdEEv13rocblas_fill_17rocblas_diagonal_T1_iil.uses_vcc, 1
	.set _ZN9rocsolver6v33100L18trti2_kernel_smallILi30EdPdEEv13rocblas_fill_17rocblas_diagonal_T1_iil.uses_flat_scratch, 0
	.set _ZN9rocsolver6v33100L18trti2_kernel_smallILi30EdPdEEv13rocblas_fill_17rocblas_diagonal_T1_iil.has_dyn_sized_stack, 0
	.set _ZN9rocsolver6v33100L18trti2_kernel_smallILi30EdPdEEv13rocblas_fill_17rocblas_diagonal_T1_iil.has_recursion, 0
	.set _ZN9rocsolver6v33100L18trti2_kernel_smallILi30EdPdEEv13rocblas_fill_17rocblas_diagonal_T1_iil.has_indirect_call, 0
	.section	.AMDGPU.csdata,"",@progbits
; Kernel info:
; codeLenInByte = 17460
; TotalNumSgprs: 47
; NumVgprs: 86
; ScratchSize: 256
; MemoryBound: 0
; FloatMode: 240
; IeeeMode: 1
; LDSByteSize: 480 bytes/workgroup (compile time only)
; SGPRBlocks: 5
; VGPRBlocks: 21
; NumSGPRsForWavesPerEU: 47
; NumVGPRsForWavesPerEU: 86
; Occupancy: 2
; WaveLimiterHint : 0
; COMPUTE_PGM_RSRC2:SCRATCH_EN: 1
; COMPUTE_PGM_RSRC2:USER_SGPR: 6
; COMPUTE_PGM_RSRC2:TRAP_HANDLER: 0
; COMPUTE_PGM_RSRC2:TGID_X_EN: 1
; COMPUTE_PGM_RSRC2:TGID_Y_EN: 0
; COMPUTE_PGM_RSRC2:TGID_Z_EN: 0
; COMPUTE_PGM_RSRC2:TIDIG_COMP_CNT: 0
	.section	.text._ZN9rocsolver6v33100L18trti2_kernel_smallILi31EdPdEEv13rocblas_fill_17rocblas_diagonal_T1_iil,"axG",@progbits,_ZN9rocsolver6v33100L18trti2_kernel_smallILi31EdPdEEv13rocblas_fill_17rocblas_diagonal_T1_iil,comdat
	.globl	_ZN9rocsolver6v33100L18trti2_kernel_smallILi31EdPdEEv13rocblas_fill_17rocblas_diagonal_T1_iil ; -- Begin function _ZN9rocsolver6v33100L18trti2_kernel_smallILi31EdPdEEv13rocblas_fill_17rocblas_diagonal_T1_iil
	.p2align	8
	.type	_ZN9rocsolver6v33100L18trti2_kernel_smallILi31EdPdEEv13rocblas_fill_17rocblas_diagonal_T1_iil,@function
_ZN9rocsolver6v33100L18trti2_kernel_smallILi31EdPdEEv13rocblas_fill_17rocblas_diagonal_T1_iil: ; @_ZN9rocsolver6v33100L18trti2_kernel_smallILi31EdPdEEv13rocblas_fill_17rocblas_diagonal_T1_iil
; %bb.0:
	s_add_u32 s0, s0, s7
	s_addc_u32 s1, s1, 0
	v_cmp_gt_u32_e32 vcc, 31, v0
	s_and_saveexec_b64 s[8:9], vcc
	s_cbranch_execz .LBB30_590
; %bb.1:
	s_load_dwordx8 s[8:15], s[4:5], 0x0
	s_ashr_i32 s7, s6, 31
	v_lshlrev_b32_e32 v65, 3, v0
	s_waitcnt lgkmcnt(0)
	s_ashr_i32 s5, s12, 31
	s_mov_b32 s4, s12
	s_mul_hi_u32 s12, s14, s6
	s_mul_i32 s7, s14, s7
	s_add_i32 s7, s12, s7
	s_mul_i32 s12, s15, s6
	s_add_i32 s7, s7, s12
	s_mul_i32 s6, s14, s6
	s_lshl_b64 s[6:7], s[6:7], 3
	s_add_u32 s6, s10, s6
	s_addc_u32 s7, s11, s7
	s_lshl_b64 s[4:5], s[4:5], 3
	s_add_u32 s4, s6, s4
	s_addc_u32 s5, s7, s5
	s_add_i32 s6, s13, s13
	v_add_u32_e32 v3, s6, v0
	v_ashrrev_i32_e32 v4, 31, v3
	v_lshlrev_b64 v[1:2], 3, v[3:4]
	v_mov_b32_e32 v4, s5
	v_add_co_u32_e32 v1, vcc, s4, v1
	v_add_u32_e32 v3, s13, v3
	v_addc_co_u32_e32 v2, vcc, v4, v2, vcc
	v_ashrrev_i32_e32 v4, 31, v3
	v_lshlrev_b64 v[4:5], 3, v[3:4]
	v_mov_b32_e32 v6, s5
	v_add_co_u32_e32 v7, vcc, s4, v4
	v_addc_co_u32_e32 v8, vcc, v6, v5, vcc
	v_add_u32_e32 v5, s13, v3
	v_ashrrev_i32_e32 v6, 31, v5
	v_lshlrev_b64 v[3:4], 3, v[5:6]
	v_mov_b32_e32 v6, s5
	v_add_co_u32_e32 v3, vcc, s4, v3
	v_add_u32_e32 v5, s13, v5
	v_addc_co_u32_e32 v4, vcc, v6, v4, vcc
	v_ashrrev_i32_e32 v6, 31, v5
	v_lshlrev_b64 v[9:10], 3, v[5:6]
	v_mov_b32_e32 v6, s5
	v_add_co_u32_e32 v11, vcc, s4, v9
	v_add_u32_e32 v9, s13, v5
	v_addc_co_u32_e32 v12, vcc, v6, v10, vcc
	;; [unrolled: 6-line block ×6, first 2 shown]
	v_ashrrev_i32_e32 v14, 31, v13
	v_lshlrev_b64 v[17:18], 3, v[13:14]
	v_mov_b32_e32 v21, s5
	v_add_co_u32_e32 v17, vcc, s4, v17
	v_addc_co_u32_e32 v18, vcc, v21, v18, vcc
	v_add_u32_e32 v21, s13, v13
	v_ashrrev_i32_e32 v22, 31, v21
	v_lshlrev_b64 v[13:14], 3, v[21:22]
	v_mov_b32_e32 v23, s5
	v_add_co_u32_e32 v13, vcc, s4, v13
	v_addc_co_u32_e32 v14, vcc, v23, v14, vcc
	v_add_u32_e32 v23, s13, v21
	;; [unrolled: 6-line block ×12, first 2 shown]
	global_load_dwordx2 v[63:64], v65, s[4:5]
	v_mov_b32_e32 v41, s5
	v_add_co_u32_e32 v59, vcc, s4, v65
	s_ashr_i32 s7, s13, 31
	s_mov_b32 s6, s13
	v_addc_co_u32_e32 v60, vcc, 0, v41, vcc
	s_lshl_b64 s[6:7], s[6:7], 3
	v_mov_b32_e32 v41, s7
	v_add_co_u32_e32 v61, vcc, s6, v59
	v_addc_co_u32_e32 v62, vcc, v60, v41, vcc
	global_load_dwordx2 v[66:67], v[61:62], off
	v_ashrrev_i32_e32 v44, 31, v43
	v_lshlrev_b64 v[41:42], 3, v[43:44]
	v_mov_b32_e32 v45, s5
	v_add_co_u32_e32 v41, vcc, s4, v41
	v_addc_co_u32_e32 v42, vcc, v45, v42, vcc
	v_add_u32_e32 v45, s13, v43
	v_ashrrev_i32_e32 v46, 31, v45
	v_lshlrev_b64 v[43:44], 3, v[45:46]
	v_mov_b32_e32 v47, s5
	v_add_co_u32_e32 v43, vcc, s4, v43
	v_addc_co_u32_e32 v44, vcc, v47, v44, vcc
	v_add_u32_e32 v47, s13, v45
	;; [unrolled: 6-line block ×7, first 2 shown]
	global_load_dwordx2 v[68:69], v[1:2], off
	global_load_dwordx2 v[70:71], v[7:8], off
	v_ashrrev_i32_e32 v58, 31, v57
	v_lshlrev_b64 v[55:56], 3, v[57:58]
	v_add_u32_e32 v57, s13, v57
	v_mov_b32_e32 v72, s5
	v_add_co_u32_e32 v55, vcc, s4, v55
	v_ashrrev_i32_e32 v58, 31, v57
	v_addc_co_u32_e32 v56, vcc, v72, v56, vcc
	global_load_dwordx2 v[72:73], v[3:4], off
	global_load_dwordx2 v[74:75], v[11:12], off
	v_lshlrev_b64 v[57:58], 3, v[57:58]
	v_mov_b32_e32 v76, s5
	v_add_co_u32_e32 v57, vcc, s4, v57
	v_addc_co_u32_e32 v58, vcc, v76, v58, vcc
	global_load_dwordx2 v[76:77], v[5:6], off
	global_load_dwordx2 v[78:79], v[57:58], off
	s_waitcnt vmcnt(7)
	buffer_store_dword v64, off, s[0:3], 0 offset:4
	buffer_store_dword v63, off, s[0:3], 0
	global_load_dwordx2 v[63:64], v[15:16], off
	s_waitcnt vmcnt(9)
	buffer_store_dword v67, off, s[0:3], 0 offset:12
	buffer_store_dword v66, off, s[0:3], 0 offset:8
	global_load_dwordx2 v[66:67], v[9:10], off
	s_waitcnt vmcnt(11)
	buffer_store_dword v69, off, s[0:3], 0 offset:20
	buffer_store_dword v68, off, s[0:3], 0 offset:16
	s_waitcnt vmcnt(12)
	buffer_store_dword v71, off, s[0:3], 0 offset:28
	buffer_store_dword v70, off, s[0:3], 0 offset:24
	global_load_dwordx2 v[68:69], v[19:20], off
	s_nop 0
	global_load_dwordx2 v[70:71], v[17:18], off
	s_cmpk_lg_i32 s9, 0x84
	s_cselect_b64 s[10:11], -1, 0
	s_cmpk_eq_i32 s9, 0x84
	s_waitcnt vmcnt(15)
	buffer_store_dword v73, off, s[0:3], 0 offset:36
	buffer_store_dword v72, off, s[0:3], 0 offset:32
	global_load_dwordx2 v[72:73], v[13:14], off
	s_waitcnt vmcnt(17)
	buffer_store_dword v75, off, s[0:3], 0 offset:44
	buffer_store_dword v74, off, s[0:3], 0 offset:40
	global_load_dwordx2 v[74:75], v[21:22], off
	;; [unrolled: 4-line block ×5, first 2 shown]
	s_waitcnt vmcnt(16)
	buffer_store_dword v68, off, s[0:3], 0 offset:72
	buffer_store_dword v69, off, s[0:3], 0 offset:76
	s_waitcnt vmcnt(17)
	buffer_store_dword v70, off, s[0:3], 0 offset:80
	buffer_store_dword v71, off, s[0:3], 0 offset:84
	s_waitcnt vmcnt(16)
	buffer_store_dword v72, off, s[0:3], 0 offset:88
	global_load_dwordx2 v[68:69], v[29:30], off
	global_load_dwordx2 v[70:71], v[31:32], off
	s_nop 0
	buffer_store_dword v73, off, s[0:3], 0 offset:92
	global_load_dwordx2 v[72:73], v[33:34], off
	s_waitcnt vmcnt(18)
	buffer_store_dword v74, off, s[0:3], 0 offset:96
	buffer_store_dword v75, off, s[0:3], 0 offset:100
	global_load_dwordx2 v[74:75], v[35:36], off
	s_waitcnt vmcnt(18)
	buffer_store_dword v76, off, s[0:3], 0 offset:104
	;; [unrolled: 4-line block ×5, first 2 shown]
	buffer_store_dword v69, off, s[0:3], 0 offset:132
	s_waitcnt vmcnt(16)
	buffer_store_dword v70, off, s[0:3], 0 offset:136
	buffer_store_dword v71, off, s[0:3], 0 offset:140
	s_waitcnt vmcnt(16)
	buffer_store_dword v72, off, s[0:3], 0 offset:144
	buffer_store_dword v73, off, s[0:3], 0 offset:148
	s_waitcnt vmcnt(15)
	buffer_store_dword v75, off, s[0:3], 0 offset:156
	buffer_store_dword v74, off, s[0:3], 0 offset:152
	global_load_dwordx2 v[68:69], v[43:44], off
	global_load_dwordx2 v[70:71], v[45:46], off
	;; [unrolled: 1-line block ×3, first 2 shown]
	s_nop 0
	global_load_dwordx2 v[74:75], v[49:50], off
	s_waitcnt vmcnt(18)
	buffer_store_dword v77, off, s[0:3], 0 offset:164
	buffer_store_dword v76, off, s[0:3], 0 offset:160
	global_load_dwordx2 v[76:77], v[53:54], off
	s_waitcnt vmcnt(18)
	buffer_store_dword v63, off, s[0:3], 0 offset:168
	buffer_store_dword v64, off, s[0:3], 0 offset:172
	;; [unrolled: 4-line block ×4, first 2 shown]
	s_waitcnt vmcnt(13)
	buffer_store_dword v70, off, s[0:3], 0 offset:192
	buffer_store_dword v71, off, s[0:3], 0 offset:196
	s_waitcnt vmcnt(14)
	buffer_store_dword v73, off, s[0:3], 0 offset:204
	buffer_store_dword v72, off, s[0:3], 0 offset:200
	;; [unrolled: 3-line block ×4, first 2 shown]
	buffer_store_dword v76, off, s[0:3], 0 offset:224
	buffer_store_dword v77, off, s[0:3], 0 offset:228
	s_waitcnt vmcnt(12)
	buffer_store_dword v66, off, s[0:3], 0 offset:232
	buffer_store_dword v67, off, s[0:3], 0 offset:236
	;; [unrolled: 1-line block ×3, first 2 shown]
	v_mov_b32_e32 v63, 0
	v_mov_b32_e32 v64, 0xbff00000
	buffer_store_dword v79, off, s[0:3], 0 offset:244
	s_cbranch_scc1 .LBB30_3
; %bb.2:
	v_mov_b32_e32 v63, 0
	v_lshl_add_u32 v74, v0, 3, v63
	buffer_load_dword v63, v74, s[0:3], 0 offen
	buffer_load_dword v64, v74, s[0:3], 0 offen offset:4
	s_waitcnt vmcnt(0)
	v_div_scale_f64 v[66:67], s[4:5], v[63:64], v[63:64], 1.0
	v_rcp_f64_e32 v[68:69], v[66:67]
	v_fma_f64 v[70:71], -v[66:67], v[68:69], 1.0
	v_fma_f64 v[68:69], v[68:69], v[70:71], v[68:69]
	v_div_scale_f64 v[70:71], vcc, 1.0, v[63:64], 1.0
	v_fma_f64 v[72:73], -v[66:67], v[68:69], 1.0
	v_fma_f64 v[68:69], v[68:69], v[72:73], v[68:69]
	v_mul_f64 v[72:73], v[70:71], v[68:69]
	v_fma_f64 v[66:67], -v[66:67], v[72:73], v[70:71]
	v_div_fmas_f64 v[66:67], v[66:67], v[68:69], v[72:73]
	v_div_fixup_f64 v[63:64], v[66:67], v[63:64], 1.0
	buffer_store_dword v63, v74, s[0:3], 0 offen
	buffer_store_dword v64, v74, s[0:3], 0 offen offset:4
	v_xor_b32_e32 v64, 0x80000000, v64
.LBB30_3:
	s_cmpk_eq_i32 s8, 0x79
	v_add_u32_e32 v66, 0x100, v65
	v_mov_b32_e32 v67, v65
	s_mov_b64 s[4:5], -1
	ds_write_b64 v65, v[63:64]
	s_cbranch_scc1 .LBB30_297
; %bb.4:
	buffer_load_dword v63, off, s[0:3], 0 offset:232
	buffer_load_dword v64, off, s[0:3], 0 offset:236
	s_movk_i32 s12, 0x48
	s_movk_i32 s13, 0x50
	;; [unrolled: 1-line block ×20, first 2 shown]
	v_cmp_eq_u32_e64 s[4:5], 30, v0
	s_waitcnt vmcnt(0)
	ds_write_b64 v66, v[63:64]
	s_waitcnt lgkmcnt(0)
	; wave barrier
	s_and_saveexec_b64 s[6:7], s[4:5]
	s_cbranch_execz .LBB30_10
; %bb.5:
	s_and_b64 vcc, exec, s[10:11]
	s_cbranch_vccz .LBB30_7
; %bb.6:
	buffer_load_dword v63, v67, s[0:3], 0 offen
	buffer_load_dword v64, v67, s[0:3], 0 offen offset:4
	ds_read_b64 v[68:69], v66
	s_waitcnt vmcnt(0) lgkmcnt(0)
	v_mul_f64 v[63:64], v[63:64], v[68:69]
	s_cbranch_execz .LBB30_8
	s_branch .LBB30_9
.LBB30_7:
                                        ; implicit-def: $vgpr63_vgpr64
.LBB30_8:
	ds_read_b64 v[63:64], v66
.LBB30_9:
	v_mov_b32_e32 v68, 0
	ds_read_b64 v[68:69], v68 offset:232
	s_waitcnt lgkmcnt(0)
	v_mul_f64 v[63:64], v[63:64], v[68:69]
	buffer_store_dword v64, off, s[0:3], 0 offset:236
	buffer_store_dword v63, off, s[0:3], 0 offset:232
.LBB30_10:
	s_or_b64 exec, exec, s[6:7]
	buffer_load_dword v63, off, s[0:3], 0 offset:224
	buffer_load_dword v64, off, s[0:3], 0 offset:228
	s_or_b32 s14, 0, 8
	s_mov_b32 s15, 16
	s_mov_b32 s16, 24
	;; [unrolled: 1-line block ×9, first 2 shown]
	v_cmp_lt_u32_e64 s[6:7], 28, v0
	s_waitcnt vmcnt(0)
	ds_write_b64 v66, v[63:64]
	s_waitcnt lgkmcnt(0)
	; wave barrier
	s_and_saveexec_b64 s[8:9], s[6:7]
	s_cbranch_execz .LBB30_16
; %bb.11:
	s_andn2_b64 vcc, exec, s[10:11]
	s_cbranch_vccnz .LBB30_13
; %bb.12:
	buffer_load_dword v63, v67, s[0:3], 0 offen
	buffer_load_dword v64, v67, s[0:3], 0 offen offset:4
	ds_read_b64 v[68:69], v66
	s_waitcnt vmcnt(0) lgkmcnt(0)
	v_mul_f64 v[63:64], v[63:64], v[68:69]
	s_cbranch_execz .LBB30_14
	s_branch .LBB30_15
.LBB30_13:
                                        ; implicit-def: $vgpr63_vgpr64
.LBB30_14:
	ds_read_b64 v[63:64], v66
.LBB30_15:
	buffer_load_dword v72, off, s[0:3], 0 offset:232
	buffer_load_dword v73, off, s[0:3], 0 offset:236
	v_mov_b32_e32 v68, 0
	ds_read2_b64 v[68:71], v68 offset0:28 offset1:61
	s_waitcnt vmcnt(0) lgkmcnt(0)
	v_fma_f64 v[70:71], v[72:73], v[70:71], v[63:64]
	v_cndmask_b32_e64 v64, v64, v71, s[4:5]
	v_cndmask_b32_e64 v63, v63, v70, s[4:5]
	v_mul_f64 v[63:64], v[63:64], v[68:69]
	buffer_store_dword v64, off, s[0:3], 0 offset:228
	buffer_store_dword v63, off, s[0:3], 0 offset:224
.LBB30_16:
	s_or_b64 exec, exec, s[8:9]
	buffer_load_dword v63, off, s[0:3], 0 offset:216
	buffer_load_dword v64, off, s[0:3], 0 offset:220
	v_cmp_lt_u32_e64 s[4:5], 27, v0
	s_waitcnt vmcnt(0)
	ds_write_b64 v66, v[63:64]
	s_waitcnt lgkmcnt(0)
	; wave barrier
	s_and_saveexec_b64 s[8:9], s[4:5]
	s_cbranch_execz .LBB30_26
; %bb.17:
	s_andn2_b64 vcc, exec, s[10:11]
	s_cbranch_vccnz .LBB30_19
; %bb.18:
	buffer_load_dword v63, v67, s[0:3], 0 offen
	buffer_load_dword v64, v67, s[0:3], 0 offen offset:4
	ds_read_b64 v[68:69], v66
	s_waitcnt vmcnt(0) lgkmcnt(0)
	v_mul_f64 v[63:64], v[63:64], v[68:69]
	s_cbranch_execz .LBB30_20
	s_branch .LBB30_21
.LBB30_19:
                                        ; implicit-def: $vgpr63_vgpr64
.LBB30_20:
	ds_read_b64 v[63:64], v66
.LBB30_21:
	s_and_saveexec_b64 s[12:13], s[6:7]
	s_cbranch_execz .LBB30_25
; %bb.22:
	v_subrev_u32_e32 v68, 28, v0
	s_movk_i32 s43, 0x1e0
	s_mov_b64 s[6:7], 0
.LBB30_23:                              ; =>This Inner Loop Header: Depth=1
	v_mov_b32_e32 v71, s42
	buffer_load_dword v69, v71, s[0:3], 0 offen
	buffer_load_dword v70, v71, s[0:3], 0 offen offset:4
	v_mov_b32_e32 v71, s43
	ds_read_b64 v[71:72], v71
	v_add_u32_e32 v68, -1, v68
	s_add_i32 s43, s43, 8
	s_add_i32 s42, s42, 8
	v_cmp_eq_u32_e32 vcc, 0, v68
	s_or_b64 s[6:7], vcc, s[6:7]
	s_waitcnt vmcnt(0) lgkmcnt(0)
	v_fma_f64 v[63:64], v[69:70], v[71:72], v[63:64]
	s_andn2_b64 exec, exec, s[6:7]
	s_cbranch_execnz .LBB30_23
; %bb.24:
	s_or_b64 exec, exec, s[6:7]
.LBB30_25:
	s_or_b64 exec, exec, s[12:13]
	v_mov_b32_e32 v68, 0
	ds_read_b64 v[68:69], v68 offset:216
	s_waitcnt lgkmcnt(0)
	v_mul_f64 v[63:64], v[63:64], v[68:69]
	buffer_store_dword v64, off, s[0:3], 0 offset:220
	buffer_store_dword v63, off, s[0:3], 0 offset:216
.LBB30_26:
	s_or_b64 exec, exec, s[8:9]
	buffer_load_dword v63, off, s[0:3], 0 offset:208
	buffer_load_dword v64, off, s[0:3], 0 offset:212
	v_cmp_lt_u32_e64 s[6:7], 26, v0
	s_waitcnt vmcnt(0)
	ds_write_b64 v66, v[63:64]
	s_waitcnt lgkmcnt(0)
	; wave barrier
	s_and_saveexec_b64 s[8:9], s[6:7]
	s_cbranch_execz .LBB30_36
; %bb.27:
	s_andn2_b64 vcc, exec, s[10:11]
	s_cbranch_vccnz .LBB30_29
; %bb.28:
	buffer_load_dword v63, v67, s[0:3], 0 offen
	buffer_load_dword v64, v67, s[0:3], 0 offen offset:4
	ds_read_b64 v[68:69], v66
	s_waitcnt vmcnt(0) lgkmcnt(0)
	v_mul_f64 v[63:64], v[63:64], v[68:69]
	s_cbranch_execz .LBB30_30
	s_branch .LBB30_31
.LBB30_29:
                                        ; implicit-def: $vgpr63_vgpr64
.LBB30_30:
	ds_read_b64 v[63:64], v66
.LBB30_31:
	s_and_saveexec_b64 s[12:13], s[4:5]
	s_cbranch_execz .LBB30_35
; %bb.32:
	v_subrev_u32_e32 v68, 27, v0
	s_movk_i32 s42, 0x1d8
	s_mov_b64 s[4:5], 0
.LBB30_33:                              ; =>This Inner Loop Header: Depth=1
	v_mov_b32_e32 v71, s41
	buffer_load_dword v69, v71, s[0:3], 0 offen
	buffer_load_dword v70, v71, s[0:3], 0 offen offset:4
	v_mov_b32_e32 v71, s42
	ds_read_b64 v[71:72], v71
	v_add_u32_e32 v68, -1, v68
	s_add_i32 s42, s42, 8
	s_add_i32 s41, s41, 8
	v_cmp_eq_u32_e32 vcc, 0, v68
	s_or_b64 s[4:5], vcc, s[4:5]
	s_waitcnt vmcnt(0) lgkmcnt(0)
	v_fma_f64 v[63:64], v[69:70], v[71:72], v[63:64]
	s_andn2_b64 exec, exec, s[4:5]
	s_cbranch_execnz .LBB30_33
; %bb.34:
	s_or_b64 exec, exec, s[4:5]
.LBB30_35:
	s_or_b64 exec, exec, s[12:13]
	v_mov_b32_e32 v68, 0
	ds_read_b64 v[68:69], v68 offset:208
	s_waitcnt lgkmcnt(0)
	v_mul_f64 v[63:64], v[63:64], v[68:69]
	buffer_store_dword v64, off, s[0:3], 0 offset:212
	buffer_store_dword v63, off, s[0:3], 0 offset:208
.LBB30_36:
	;; [unrolled: 58-line block ×8, first 2 shown]
	s_or_b64 exec, exec, s[8:9]
	buffer_load_dword v63, off, s[0:3], 0 offset:152
	buffer_load_dword v64, off, s[0:3], 0 offset:156
	v_cmp_lt_u32_e64 s[4:5], 19, v0
	s_waitcnt vmcnt(0)
	ds_write_b64 v66, v[63:64]
	s_waitcnt lgkmcnt(0)
	; wave barrier
	s_and_saveexec_b64 s[8:9], s[4:5]
	s_cbranch_execz .LBB30_106
; %bb.97:
	s_andn2_b64 vcc, exec, s[10:11]
	s_cbranch_vccnz .LBB30_99
; %bb.98:
	buffer_load_dword v63, v67, s[0:3], 0 offen
	buffer_load_dword v64, v67, s[0:3], 0 offen offset:4
	ds_read_b64 v[68:69], v66
	s_waitcnt vmcnt(0) lgkmcnt(0)
	v_mul_f64 v[63:64], v[63:64], v[68:69]
	s_cbranch_execz .LBB30_100
	s_branch .LBB30_101
.LBB30_99:
                                        ; implicit-def: $vgpr63_vgpr64
.LBB30_100:
	ds_read_b64 v[63:64], v66
.LBB30_101:
	s_and_saveexec_b64 s[12:13], s[6:7]
	s_cbranch_execz .LBB30_105
; %bb.102:
	v_subrev_u32_e32 v68, 20, v0
	s_movk_i32 s35, 0x1a0
	s_mov_b64 s[6:7], 0
.LBB30_103:                             ; =>This Inner Loop Header: Depth=1
	v_mov_b32_e32 v71, s34
	buffer_load_dword v69, v71, s[0:3], 0 offen
	buffer_load_dword v70, v71, s[0:3], 0 offen offset:4
	v_mov_b32_e32 v71, s35
	ds_read_b64 v[71:72], v71
	v_add_u32_e32 v68, -1, v68
	s_add_i32 s35, s35, 8
	s_add_i32 s34, s34, 8
	v_cmp_eq_u32_e32 vcc, 0, v68
	s_or_b64 s[6:7], vcc, s[6:7]
	s_waitcnt vmcnt(0) lgkmcnt(0)
	v_fma_f64 v[63:64], v[69:70], v[71:72], v[63:64]
	s_andn2_b64 exec, exec, s[6:7]
	s_cbranch_execnz .LBB30_103
; %bb.104:
	s_or_b64 exec, exec, s[6:7]
.LBB30_105:
	s_or_b64 exec, exec, s[12:13]
	v_mov_b32_e32 v68, 0
	ds_read_b64 v[68:69], v68 offset:152
	s_waitcnt lgkmcnt(0)
	v_mul_f64 v[63:64], v[63:64], v[68:69]
	buffer_store_dword v64, off, s[0:3], 0 offset:156
	buffer_store_dword v63, off, s[0:3], 0 offset:152
.LBB30_106:
	s_or_b64 exec, exec, s[8:9]
	buffer_load_dword v63, off, s[0:3], 0 offset:144
	buffer_load_dword v64, off, s[0:3], 0 offset:148
	v_cmp_lt_u32_e64 s[6:7], 18, v0
	s_waitcnt vmcnt(0)
	ds_write_b64 v66, v[63:64]
	s_waitcnt lgkmcnt(0)
	; wave barrier
	s_and_saveexec_b64 s[8:9], s[6:7]
	s_cbranch_execz .LBB30_116
; %bb.107:
	s_andn2_b64 vcc, exec, s[10:11]
	s_cbranch_vccnz .LBB30_109
; %bb.108:
	buffer_load_dword v63, v67, s[0:3], 0 offen
	buffer_load_dword v64, v67, s[0:3], 0 offen offset:4
	ds_read_b64 v[68:69], v66
	s_waitcnt vmcnt(0) lgkmcnt(0)
	v_mul_f64 v[63:64], v[63:64], v[68:69]
	s_cbranch_execz .LBB30_110
	s_branch .LBB30_111
.LBB30_109:
                                        ; implicit-def: $vgpr63_vgpr64
.LBB30_110:
	ds_read_b64 v[63:64], v66
.LBB30_111:
	s_and_saveexec_b64 s[12:13], s[4:5]
	s_cbranch_execz .LBB30_115
; %bb.112:
	v_subrev_u32_e32 v68, 19, v0
	s_movk_i32 s34, 0x198
	s_mov_b64 s[4:5], 0
.LBB30_113:                             ; =>This Inner Loop Header: Depth=1
	v_mov_b32_e32 v71, s33
	buffer_load_dword v69, v71, s[0:3], 0 offen
	buffer_load_dword v70, v71, s[0:3], 0 offen offset:4
	v_mov_b32_e32 v71, s34
	ds_read_b64 v[71:72], v71
	v_add_u32_e32 v68, -1, v68
	s_add_i32 s34, s34, 8
	s_add_i32 s33, s33, 8
	v_cmp_eq_u32_e32 vcc, 0, v68
	s_or_b64 s[4:5], vcc, s[4:5]
	s_waitcnt vmcnt(0) lgkmcnt(0)
	v_fma_f64 v[63:64], v[69:70], v[71:72], v[63:64]
	s_andn2_b64 exec, exec, s[4:5]
	s_cbranch_execnz .LBB30_113
; %bb.114:
	s_or_b64 exec, exec, s[4:5]
.LBB30_115:
	s_or_b64 exec, exec, s[12:13]
	v_mov_b32_e32 v68, 0
	ds_read_b64 v[68:69], v68 offset:144
	s_waitcnt lgkmcnt(0)
	v_mul_f64 v[63:64], v[63:64], v[68:69]
	buffer_store_dword v64, off, s[0:3], 0 offset:148
	buffer_store_dword v63, off, s[0:3], 0 offset:144
.LBB30_116:
	;; [unrolled: 58-line block ×4, first 2 shown]
	s_or_b64 exec, exec, s[8:9]
	buffer_load_dword v63, off, s[0:3], 0 offset:120
	buffer_load_dword v64, off, s[0:3], 0 offset:124
	v_cmp_lt_u32_e64 s[4:5], 15, v0
	s_waitcnt vmcnt(0)
	ds_write_b64 v66, v[63:64]
	s_waitcnt lgkmcnt(0)
	; wave barrier
	s_and_saveexec_b64 s[8:9], s[4:5]
	s_cbranch_execz .LBB30_146
; %bb.137:
	s_andn2_b64 vcc, exec, s[10:11]
	s_cbranch_vccnz .LBB30_139
; %bb.138:
	buffer_load_dword v63, v67, s[0:3], 0 offen
	buffer_load_dword v64, v67, s[0:3], 0 offen offset:4
	ds_read_b64 v[68:69], v66
	s_waitcnt vmcnt(0) lgkmcnt(0)
	v_mul_f64 v[63:64], v[63:64], v[68:69]
	s_cbranch_execz .LBB30_140
	s_branch .LBB30_141
.LBB30_139:
                                        ; implicit-def: $vgpr63_vgpr64
.LBB30_140:
	ds_read_b64 v[63:64], v66
.LBB30_141:
	s_and_saveexec_b64 s[12:13], s[6:7]
	s_cbranch_execz .LBB30_145
; %bb.142:
	v_add_u32_e32 v68, -16, v0
	s_movk_i32 s30, 0x180
	s_mov_b64 s[6:7], 0
.LBB30_143:                             ; =>This Inner Loop Header: Depth=1
	v_mov_b32_e32 v71, s29
	buffer_load_dword v69, v71, s[0:3], 0 offen
	buffer_load_dword v70, v71, s[0:3], 0 offen offset:4
	v_mov_b32_e32 v71, s30
	ds_read_b64 v[71:72], v71
	v_add_u32_e32 v68, -1, v68
	s_add_i32 s30, s30, 8
	s_add_i32 s29, s29, 8
	v_cmp_eq_u32_e32 vcc, 0, v68
	s_or_b64 s[6:7], vcc, s[6:7]
	s_waitcnt vmcnt(0) lgkmcnt(0)
	v_fma_f64 v[63:64], v[69:70], v[71:72], v[63:64]
	s_andn2_b64 exec, exec, s[6:7]
	s_cbranch_execnz .LBB30_143
; %bb.144:
	s_or_b64 exec, exec, s[6:7]
.LBB30_145:
	s_or_b64 exec, exec, s[12:13]
	v_mov_b32_e32 v68, 0
	ds_read_b64 v[68:69], v68 offset:120
	s_waitcnt lgkmcnt(0)
	v_mul_f64 v[63:64], v[63:64], v[68:69]
	buffer_store_dword v64, off, s[0:3], 0 offset:124
	buffer_store_dword v63, off, s[0:3], 0 offset:120
.LBB30_146:
	s_or_b64 exec, exec, s[8:9]
	buffer_load_dword v63, off, s[0:3], 0 offset:112
	buffer_load_dword v64, off, s[0:3], 0 offset:116
	v_cmp_lt_u32_e64 s[6:7], 14, v0
	s_waitcnt vmcnt(0)
	ds_write_b64 v66, v[63:64]
	s_waitcnt lgkmcnt(0)
	; wave barrier
	s_and_saveexec_b64 s[8:9], s[6:7]
	s_cbranch_execz .LBB30_156
; %bb.147:
	s_andn2_b64 vcc, exec, s[10:11]
	s_cbranch_vccnz .LBB30_149
; %bb.148:
	buffer_load_dword v63, v67, s[0:3], 0 offen
	buffer_load_dword v64, v67, s[0:3], 0 offen offset:4
	ds_read_b64 v[68:69], v66
	s_waitcnt vmcnt(0) lgkmcnt(0)
	v_mul_f64 v[63:64], v[63:64], v[68:69]
	s_cbranch_execz .LBB30_150
	s_branch .LBB30_151
.LBB30_149:
                                        ; implicit-def: $vgpr63_vgpr64
.LBB30_150:
	ds_read_b64 v[63:64], v66
.LBB30_151:
	s_and_saveexec_b64 s[12:13], s[4:5]
	s_cbranch_execz .LBB30_155
; %bb.152:
	v_add_u32_e32 v68, -15, v0
	s_movk_i32 s29, 0x178
	s_mov_b64 s[4:5], 0
.LBB30_153:                             ; =>This Inner Loop Header: Depth=1
	v_mov_b32_e32 v71, s28
	buffer_load_dword v69, v71, s[0:3], 0 offen
	buffer_load_dword v70, v71, s[0:3], 0 offen offset:4
	v_mov_b32_e32 v71, s29
	ds_read_b64 v[71:72], v71
	v_add_u32_e32 v68, -1, v68
	s_add_i32 s29, s29, 8
	s_add_i32 s28, s28, 8
	v_cmp_eq_u32_e32 vcc, 0, v68
	s_or_b64 s[4:5], vcc, s[4:5]
	s_waitcnt vmcnt(0) lgkmcnt(0)
	v_fma_f64 v[63:64], v[69:70], v[71:72], v[63:64]
	s_andn2_b64 exec, exec, s[4:5]
	s_cbranch_execnz .LBB30_153
; %bb.154:
	s_or_b64 exec, exec, s[4:5]
.LBB30_155:
	s_or_b64 exec, exec, s[12:13]
	v_mov_b32_e32 v68, 0
	ds_read_b64 v[68:69], v68 offset:112
	s_waitcnt lgkmcnt(0)
	v_mul_f64 v[63:64], v[63:64], v[68:69]
	buffer_store_dword v64, off, s[0:3], 0 offset:116
	buffer_store_dword v63, off, s[0:3], 0 offset:112
.LBB30_156:
	s_or_b64 exec, exec, s[8:9]
	buffer_load_dword v63, off, s[0:3], 0 offset:104
	buffer_load_dword v64, off, s[0:3], 0 offset:108
	v_cmp_lt_u32_e64 s[4:5], 13, v0
	s_waitcnt vmcnt(0)
	ds_write_b64 v66, v[63:64]
	s_waitcnt lgkmcnt(0)
	; wave barrier
	s_and_saveexec_b64 s[8:9], s[4:5]
	s_cbranch_execz .LBB30_166
; %bb.157:
	s_andn2_b64 vcc, exec, s[10:11]
	s_cbranch_vccnz .LBB30_159
; %bb.158:
	buffer_load_dword v63, v67, s[0:3], 0 offen
	buffer_load_dword v64, v67, s[0:3], 0 offen offset:4
	ds_read_b64 v[68:69], v66
	s_waitcnt vmcnt(0) lgkmcnt(0)
	v_mul_f64 v[63:64], v[63:64], v[68:69]
	s_cbranch_execz .LBB30_160
	s_branch .LBB30_161
.LBB30_159:
                                        ; implicit-def: $vgpr63_vgpr64
.LBB30_160:
	ds_read_b64 v[63:64], v66
.LBB30_161:
	s_and_saveexec_b64 s[12:13], s[6:7]
	s_cbranch_execz .LBB30_165
; %bb.162:
	v_add_u32_e32 v68, -14, v0
	s_movk_i32 s28, 0x170
	s_mov_b64 s[6:7], 0
.LBB30_163:                             ; =>This Inner Loop Header: Depth=1
	v_mov_b32_e32 v71, s27
	buffer_load_dword v69, v71, s[0:3], 0 offen
	buffer_load_dword v70, v71, s[0:3], 0 offen offset:4
	v_mov_b32_e32 v71, s28
	ds_read_b64 v[71:72], v71
	v_add_u32_e32 v68, -1, v68
	s_add_i32 s28, s28, 8
	s_add_i32 s27, s27, 8
	v_cmp_eq_u32_e32 vcc, 0, v68
	s_or_b64 s[6:7], vcc, s[6:7]
	s_waitcnt vmcnt(0) lgkmcnt(0)
	v_fma_f64 v[63:64], v[69:70], v[71:72], v[63:64]
	s_andn2_b64 exec, exec, s[6:7]
	s_cbranch_execnz .LBB30_163
; %bb.164:
	s_or_b64 exec, exec, s[6:7]
.LBB30_165:
	s_or_b64 exec, exec, s[12:13]
	v_mov_b32_e32 v68, 0
	ds_read_b64 v[68:69], v68 offset:104
	s_waitcnt lgkmcnt(0)
	v_mul_f64 v[63:64], v[63:64], v[68:69]
	buffer_store_dword v64, off, s[0:3], 0 offset:108
	buffer_store_dword v63, off, s[0:3], 0 offset:104
.LBB30_166:
	s_or_b64 exec, exec, s[8:9]
	buffer_load_dword v63, off, s[0:3], 0 offset:96
	buffer_load_dword v64, off, s[0:3], 0 offset:100
	v_cmp_lt_u32_e64 s[6:7], 12, v0
	s_waitcnt vmcnt(0)
	ds_write_b64 v66, v[63:64]
	s_waitcnt lgkmcnt(0)
	; wave barrier
	s_and_saveexec_b64 s[8:9], s[6:7]
	s_cbranch_execz .LBB30_176
; %bb.167:
	s_andn2_b64 vcc, exec, s[10:11]
	s_cbranch_vccnz .LBB30_169
; %bb.168:
	buffer_load_dword v63, v67, s[0:3], 0 offen
	buffer_load_dword v64, v67, s[0:3], 0 offen offset:4
	ds_read_b64 v[68:69], v66
	s_waitcnt vmcnt(0) lgkmcnt(0)
	v_mul_f64 v[63:64], v[63:64], v[68:69]
	s_cbranch_execz .LBB30_170
	s_branch .LBB30_171
.LBB30_169:
                                        ; implicit-def: $vgpr63_vgpr64
.LBB30_170:
	ds_read_b64 v[63:64], v66
.LBB30_171:
	s_and_saveexec_b64 s[12:13], s[4:5]
	s_cbranch_execz .LBB30_175
; %bb.172:
	v_add_u32_e32 v68, -13, v0
	s_movk_i32 s27, 0x168
	s_mov_b64 s[4:5], 0
.LBB30_173:                             ; =>This Inner Loop Header: Depth=1
	v_mov_b32_e32 v71, s26
	buffer_load_dword v69, v71, s[0:3], 0 offen
	buffer_load_dword v70, v71, s[0:3], 0 offen offset:4
	v_mov_b32_e32 v71, s27
	ds_read_b64 v[71:72], v71
	v_add_u32_e32 v68, -1, v68
	s_add_i32 s27, s27, 8
	s_add_i32 s26, s26, 8
	v_cmp_eq_u32_e32 vcc, 0, v68
	s_or_b64 s[4:5], vcc, s[4:5]
	s_waitcnt vmcnt(0) lgkmcnt(0)
	v_fma_f64 v[63:64], v[69:70], v[71:72], v[63:64]
	s_andn2_b64 exec, exec, s[4:5]
	s_cbranch_execnz .LBB30_173
; %bb.174:
	s_or_b64 exec, exec, s[4:5]
.LBB30_175:
	s_or_b64 exec, exec, s[12:13]
	v_mov_b32_e32 v68, 0
	ds_read_b64 v[68:69], v68 offset:96
	s_waitcnt lgkmcnt(0)
	v_mul_f64 v[63:64], v[63:64], v[68:69]
	buffer_store_dword v64, off, s[0:3], 0 offset:100
	buffer_store_dword v63, off, s[0:3], 0 offset:96
.LBB30_176:
	s_or_b64 exec, exec, s[8:9]
	buffer_load_dword v63, off, s[0:3], 0 offset:88
	buffer_load_dword v64, off, s[0:3], 0 offset:92
	v_cmp_lt_u32_e64 s[4:5], 11, v0
	s_waitcnt vmcnt(0)
	ds_write_b64 v66, v[63:64]
	s_waitcnt lgkmcnt(0)
	; wave barrier
	s_and_saveexec_b64 s[8:9], s[4:5]
	s_cbranch_execz .LBB30_186
; %bb.177:
	s_andn2_b64 vcc, exec, s[10:11]
	s_cbranch_vccnz .LBB30_179
; %bb.178:
	buffer_load_dword v63, v67, s[0:3], 0 offen
	buffer_load_dword v64, v67, s[0:3], 0 offen offset:4
	ds_read_b64 v[68:69], v66
	s_waitcnt vmcnt(0) lgkmcnt(0)
	v_mul_f64 v[63:64], v[63:64], v[68:69]
	s_cbranch_execz .LBB30_180
	s_branch .LBB30_181
.LBB30_179:
                                        ; implicit-def: $vgpr63_vgpr64
.LBB30_180:
	ds_read_b64 v[63:64], v66
.LBB30_181:
	s_and_saveexec_b64 s[12:13], s[6:7]
	s_cbranch_execz .LBB30_185
; %bb.182:
	v_add_u32_e32 v68, -12, v0
	s_movk_i32 s26, 0x160
	s_mov_b64 s[6:7], 0
.LBB30_183:                             ; =>This Inner Loop Header: Depth=1
	v_mov_b32_e32 v71, s25
	buffer_load_dword v69, v71, s[0:3], 0 offen
	buffer_load_dword v70, v71, s[0:3], 0 offen offset:4
	v_mov_b32_e32 v71, s26
	ds_read_b64 v[71:72], v71
	v_add_u32_e32 v68, -1, v68
	s_add_i32 s26, s26, 8
	s_add_i32 s25, s25, 8
	v_cmp_eq_u32_e32 vcc, 0, v68
	s_or_b64 s[6:7], vcc, s[6:7]
	s_waitcnt vmcnt(0) lgkmcnt(0)
	v_fma_f64 v[63:64], v[69:70], v[71:72], v[63:64]
	s_andn2_b64 exec, exec, s[6:7]
	s_cbranch_execnz .LBB30_183
; %bb.184:
	s_or_b64 exec, exec, s[6:7]
.LBB30_185:
	s_or_b64 exec, exec, s[12:13]
	v_mov_b32_e32 v68, 0
	ds_read_b64 v[68:69], v68 offset:88
	s_waitcnt lgkmcnt(0)
	v_mul_f64 v[63:64], v[63:64], v[68:69]
	buffer_store_dword v64, off, s[0:3], 0 offset:92
	buffer_store_dword v63, off, s[0:3], 0 offset:88
.LBB30_186:
	s_or_b64 exec, exec, s[8:9]
	buffer_load_dword v63, off, s[0:3], 0 offset:80
	buffer_load_dword v64, off, s[0:3], 0 offset:84
	v_cmp_lt_u32_e64 s[6:7], 10, v0
	s_waitcnt vmcnt(0)
	ds_write_b64 v66, v[63:64]
	s_waitcnt lgkmcnt(0)
	; wave barrier
	s_and_saveexec_b64 s[8:9], s[6:7]
	s_cbranch_execz .LBB30_196
; %bb.187:
	s_andn2_b64 vcc, exec, s[10:11]
	s_cbranch_vccnz .LBB30_189
; %bb.188:
	buffer_load_dword v63, v67, s[0:3], 0 offen
	buffer_load_dword v64, v67, s[0:3], 0 offen offset:4
	ds_read_b64 v[68:69], v66
	s_waitcnt vmcnt(0) lgkmcnt(0)
	v_mul_f64 v[63:64], v[63:64], v[68:69]
	s_cbranch_execz .LBB30_190
	s_branch .LBB30_191
.LBB30_189:
                                        ; implicit-def: $vgpr63_vgpr64
.LBB30_190:
	ds_read_b64 v[63:64], v66
.LBB30_191:
	s_and_saveexec_b64 s[12:13], s[4:5]
	s_cbranch_execz .LBB30_195
; %bb.192:
	v_add_u32_e32 v68, -11, v0
	s_movk_i32 s25, 0x158
	s_mov_b64 s[4:5], 0
.LBB30_193:                             ; =>This Inner Loop Header: Depth=1
	v_mov_b32_e32 v71, s24
	buffer_load_dword v69, v71, s[0:3], 0 offen
	buffer_load_dword v70, v71, s[0:3], 0 offen offset:4
	v_mov_b32_e32 v71, s25
	ds_read_b64 v[71:72], v71
	v_add_u32_e32 v68, -1, v68
	s_add_i32 s25, s25, 8
	s_add_i32 s24, s24, 8
	v_cmp_eq_u32_e32 vcc, 0, v68
	s_or_b64 s[4:5], vcc, s[4:5]
	s_waitcnt vmcnt(0) lgkmcnt(0)
	v_fma_f64 v[63:64], v[69:70], v[71:72], v[63:64]
	s_andn2_b64 exec, exec, s[4:5]
	s_cbranch_execnz .LBB30_193
; %bb.194:
	s_or_b64 exec, exec, s[4:5]
.LBB30_195:
	s_or_b64 exec, exec, s[12:13]
	v_mov_b32_e32 v68, 0
	ds_read_b64 v[68:69], v68 offset:80
	s_waitcnt lgkmcnt(0)
	v_mul_f64 v[63:64], v[63:64], v[68:69]
	buffer_store_dword v64, off, s[0:3], 0 offset:84
	buffer_store_dword v63, off, s[0:3], 0 offset:80
.LBB30_196:
	s_or_b64 exec, exec, s[8:9]
	buffer_load_dword v63, off, s[0:3], 0 offset:72
	buffer_load_dword v64, off, s[0:3], 0 offset:76
	v_cmp_lt_u32_e64 s[4:5], 9, v0
	s_waitcnt vmcnt(0)
	ds_write_b64 v66, v[63:64]
	s_waitcnt lgkmcnt(0)
	; wave barrier
	s_and_saveexec_b64 s[8:9], s[4:5]
	s_cbranch_execz .LBB30_206
; %bb.197:
	s_andn2_b64 vcc, exec, s[10:11]
	s_cbranch_vccnz .LBB30_199
; %bb.198:
	buffer_load_dword v63, v67, s[0:3], 0 offen
	buffer_load_dword v64, v67, s[0:3], 0 offen offset:4
	ds_read_b64 v[68:69], v66
	s_waitcnt vmcnt(0) lgkmcnt(0)
	v_mul_f64 v[63:64], v[63:64], v[68:69]
	s_cbranch_execz .LBB30_200
	s_branch .LBB30_201
.LBB30_199:
                                        ; implicit-def: $vgpr63_vgpr64
.LBB30_200:
	ds_read_b64 v[63:64], v66
.LBB30_201:
	s_and_saveexec_b64 s[12:13], s[6:7]
	s_cbranch_execz .LBB30_205
; %bb.202:
	v_add_u32_e32 v68, -10, v0
	s_movk_i32 s24, 0x150
	s_mov_b64 s[6:7], 0
.LBB30_203:                             ; =>This Inner Loop Header: Depth=1
	v_mov_b32_e32 v71, s23
	buffer_load_dword v69, v71, s[0:3], 0 offen
	buffer_load_dword v70, v71, s[0:3], 0 offen offset:4
	v_mov_b32_e32 v71, s24
	ds_read_b64 v[71:72], v71
	v_add_u32_e32 v68, -1, v68
	s_add_i32 s24, s24, 8
	s_add_i32 s23, s23, 8
	v_cmp_eq_u32_e32 vcc, 0, v68
	s_or_b64 s[6:7], vcc, s[6:7]
	s_waitcnt vmcnt(0) lgkmcnt(0)
	v_fma_f64 v[63:64], v[69:70], v[71:72], v[63:64]
	s_andn2_b64 exec, exec, s[6:7]
	s_cbranch_execnz .LBB30_203
; %bb.204:
	s_or_b64 exec, exec, s[6:7]
.LBB30_205:
	s_or_b64 exec, exec, s[12:13]
	v_mov_b32_e32 v68, 0
	ds_read_b64 v[68:69], v68 offset:72
	s_waitcnt lgkmcnt(0)
	v_mul_f64 v[63:64], v[63:64], v[68:69]
	buffer_store_dword v64, off, s[0:3], 0 offset:76
	buffer_store_dword v63, off, s[0:3], 0 offset:72
.LBB30_206:
	s_or_b64 exec, exec, s[8:9]
	buffer_load_dword v63, off, s[0:3], 0 offset:64
	buffer_load_dword v64, off, s[0:3], 0 offset:68
	v_cmp_lt_u32_e64 s[6:7], 8, v0
	s_waitcnt vmcnt(0)
	ds_write_b64 v66, v[63:64]
	s_waitcnt lgkmcnt(0)
	; wave barrier
	s_and_saveexec_b64 s[8:9], s[6:7]
	s_cbranch_execz .LBB30_216
; %bb.207:
	s_andn2_b64 vcc, exec, s[10:11]
	s_cbranch_vccnz .LBB30_209
; %bb.208:
	buffer_load_dword v63, v67, s[0:3], 0 offen
	buffer_load_dword v64, v67, s[0:3], 0 offen offset:4
	ds_read_b64 v[68:69], v66
	s_waitcnt vmcnt(0) lgkmcnt(0)
	v_mul_f64 v[63:64], v[63:64], v[68:69]
	s_cbranch_execz .LBB30_210
	s_branch .LBB30_211
.LBB30_209:
                                        ; implicit-def: $vgpr63_vgpr64
.LBB30_210:
	ds_read_b64 v[63:64], v66
.LBB30_211:
	s_and_saveexec_b64 s[12:13], s[4:5]
	s_cbranch_execz .LBB30_215
; %bb.212:
	v_add_u32_e32 v68, -9, v0
	s_movk_i32 s23, 0x148
	s_mov_b64 s[4:5], 0
.LBB30_213:                             ; =>This Inner Loop Header: Depth=1
	v_mov_b32_e32 v71, s22
	buffer_load_dword v69, v71, s[0:3], 0 offen
	buffer_load_dword v70, v71, s[0:3], 0 offen offset:4
	v_mov_b32_e32 v71, s23
	ds_read_b64 v[71:72], v71
	v_add_u32_e32 v68, -1, v68
	s_add_i32 s23, s23, 8
	s_add_i32 s22, s22, 8
	v_cmp_eq_u32_e32 vcc, 0, v68
	s_or_b64 s[4:5], vcc, s[4:5]
	s_waitcnt vmcnt(0) lgkmcnt(0)
	v_fma_f64 v[63:64], v[69:70], v[71:72], v[63:64]
	s_andn2_b64 exec, exec, s[4:5]
	s_cbranch_execnz .LBB30_213
; %bb.214:
	s_or_b64 exec, exec, s[4:5]
.LBB30_215:
	s_or_b64 exec, exec, s[12:13]
	v_mov_b32_e32 v68, 0
	ds_read_b64 v[68:69], v68 offset:64
	s_waitcnt lgkmcnt(0)
	v_mul_f64 v[63:64], v[63:64], v[68:69]
	buffer_store_dword v64, off, s[0:3], 0 offset:68
	buffer_store_dword v63, off, s[0:3], 0 offset:64
.LBB30_216:
	s_or_b64 exec, exec, s[8:9]
	buffer_load_dword v63, off, s[0:3], 0 offset:56
	buffer_load_dword v64, off, s[0:3], 0 offset:60
	v_cmp_lt_u32_e64 s[4:5], 7, v0
	s_waitcnt vmcnt(0)
	ds_write_b64 v66, v[63:64]
	s_waitcnt lgkmcnt(0)
	; wave barrier
	s_and_saveexec_b64 s[8:9], s[4:5]
	s_cbranch_execz .LBB30_226
; %bb.217:
	s_andn2_b64 vcc, exec, s[10:11]
	s_cbranch_vccnz .LBB30_219
; %bb.218:
	buffer_load_dword v63, v67, s[0:3], 0 offen
	buffer_load_dword v64, v67, s[0:3], 0 offen offset:4
	ds_read_b64 v[68:69], v66
	s_waitcnt vmcnt(0) lgkmcnt(0)
	v_mul_f64 v[63:64], v[63:64], v[68:69]
	s_cbranch_execz .LBB30_220
	s_branch .LBB30_221
.LBB30_219:
                                        ; implicit-def: $vgpr63_vgpr64
.LBB30_220:
	ds_read_b64 v[63:64], v66
.LBB30_221:
	s_and_saveexec_b64 s[12:13], s[6:7]
	s_cbranch_execz .LBB30_225
; %bb.222:
	v_add_u32_e32 v68, -8, v0
	s_movk_i32 s22, 0x140
	s_mov_b64 s[6:7], 0
.LBB30_223:                             ; =>This Inner Loop Header: Depth=1
	v_mov_b32_e32 v71, s21
	buffer_load_dword v69, v71, s[0:3], 0 offen
	buffer_load_dword v70, v71, s[0:3], 0 offen offset:4
	v_mov_b32_e32 v71, s22
	ds_read_b64 v[71:72], v71
	v_add_u32_e32 v68, -1, v68
	s_add_i32 s22, s22, 8
	s_add_i32 s21, s21, 8
	v_cmp_eq_u32_e32 vcc, 0, v68
	s_or_b64 s[6:7], vcc, s[6:7]
	s_waitcnt vmcnt(0) lgkmcnt(0)
	v_fma_f64 v[63:64], v[69:70], v[71:72], v[63:64]
	s_andn2_b64 exec, exec, s[6:7]
	s_cbranch_execnz .LBB30_223
; %bb.224:
	s_or_b64 exec, exec, s[6:7]
.LBB30_225:
	s_or_b64 exec, exec, s[12:13]
	v_mov_b32_e32 v68, 0
	ds_read_b64 v[68:69], v68 offset:56
	s_waitcnt lgkmcnt(0)
	v_mul_f64 v[63:64], v[63:64], v[68:69]
	buffer_store_dword v64, off, s[0:3], 0 offset:60
	buffer_store_dword v63, off, s[0:3], 0 offset:56
.LBB30_226:
	s_or_b64 exec, exec, s[8:9]
	buffer_load_dword v63, off, s[0:3], 0 offset:48
	buffer_load_dword v64, off, s[0:3], 0 offset:52
	v_cmp_lt_u32_e64 s[6:7], 6, v0
	s_waitcnt vmcnt(0)
	ds_write_b64 v66, v[63:64]
	s_waitcnt lgkmcnt(0)
	; wave barrier
	s_and_saveexec_b64 s[8:9], s[6:7]
	s_cbranch_execz .LBB30_236
; %bb.227:
	s_andn2_b64 vcc, exec, s[10:11]
	s_cbranch_vccnz .LBB30_229
; %bb.228:
	buffer_load_dword v63, v67, s[0:3], 0 offen
	buffer_load_dword v64, v67, s[0:3], 0 offen offset:4
	ds_read_b64 v[68:69], v66
	s_waitcnt vmcnt(0) lgkmcnt(0)
	v_mul_f64 v[63:64], v[63:64], v[68:69]
	s_cbranch_execz .LBB30_230
	s_branch .LBB30_231
.LBB30_229:
                                        ; implicit-def: $vgpr63_vgpr64
.LBB30_230:
	ds_read_b64 v[63:64], v66
.LBB30_231:
	s_and_saveexec_b64 s[12:13], s[4:5]
	s_cbranch_execz .LBB30_235
; %bb.232:
	v_add_u32_e32 v68, -7, v0
	s_movk_i32 s21, 0x138
	s_mov_b64 s[4:5], 0
.LBB30_233:                             ; =>This Inner Loop Header: Depth=1
	v_mov_b32_e32 v71, s20
	buffer_load_dword v69, v71, s[0:3], 0 offen
	buffer_load_dword v70, v71, s[0:3], 0 offen offset:4
	v_mov_b32_e32 v71, s21
	ds_read_b64 v[71:72], v71
	v_add_u32_e32 v68, -1, v68
	s_add_i32 s21, s21, 8
	s_add_i32 s20, s20, 8
	v_cmp_eq_u32_e32 vcc, 0, v68
	s_or_b64 s[4:5], vcc, s[4:5]
	s_waitcnt vmcnt(0) lgkmcnt(0)
	v_fma_f64 v[63:64], v[69:70], v[71:72], v[63:64]
	s_andn2_b64 exec, exec, s[4:5]
	s_cbranch_execnz .LBB30_233
; %bb.234:
	s_or_b64 exec, exec, s[4:5]
.LBB30_235:
	s_or_b64 exec, exec, s[12:13]
	v_mov_b32_e32 v68, 0
	ds_read_b64 v[68:69], v68 offset:48
	s_waitcnt lgkmcnt(0)
	v_mul_f64 v[63:64], v[63:64], v[68:69]
	buffer_store_dword v64, off, s[0:3], 0 offset:52
	buffer_store_dword v63, off, s[0:3], 0 offset:48
.LBB30_236:
	s_or_b64 exec, exec, s[8:9]
	buffer_load_dword v63, off, s[0:3], 0 offset:40
	buffer_load_dword v64, off, s[0:3], 0 offset:44
	v_cmp_lt_u32_e64 s[4:5], 5, v0
	s_waitcnt vmcnt(0)
	ds_write_b64 v66, v[63:64]
	s_waitcnt lgkmcnt(0)
	; wave barrier
	s_and_saveexec_b64 s[8:9], s[4:5]
	s_cbranch_execz .LBB30_246
; %bb.237:
	s_andn2_b64 vcc, exec, s[10:11]
	s_cbranch_vccnz .LBB30_239
; %bb.238:
	buffer_load_dword v63, v67, s[0:3], 0 offen
	buffer_load_dword v64, v67, s[0:3], 0 offen offset:4
	ds_read_b64 v[68:69], v66
	s_waitcnt vmcnt(0) lgkmcnt(0)
	v_mul_f64 v[63:64], v[63:64], v[68:69]
	s_cbranch_execz .LBB30_240
	s_branch .LBB30_241
.LBB30_239:
                                        ; implicit-def: $vgpr63_vgpr64
.LBB30_240:
	ds_read_b64 v[63:64], v66
.LBB30_241:
	s_and_saveexec_b64 s[12:13], s[6:7]
	s_cbranch_execz .LBB30_245
; %bb.242:
	v_add_u32_e32 v68, -6, v0
	s_movk_i32 s20, 0x130
	s_mov_b64 s[6:7], 0
.LBB30_243:                             ; =>This Inner Loop Header: Depth=1
	v_mov_b32_e32 v71, s19
	buffer_load_dword v69, v71, s[0:3], 0 offen
	buffer_load_dword v70, v71, s[0:3], 0 offen offset:4
	v_mov_b32_e32 v71, s20
	ds_read_b64 v[71:72], v71
	v_add_u32_e32 v68, -1, v68
	s_add_i32 s20, s20, 8
	s_add_i32 s19, s19, 8
	v_cmp_eq_u32_e32 vcc, 0, v68
	s_or_b64 s[6:7], vcc, s[6:7]
	s_waitcnt vmcnt(0) lgkmcnt(0)
	v_fma_f64 v[63:64], v[69:70], v[71:72], v[63:64]
	s_andn2_b64 exec, exec, s[6:7]
	s_cbranch_execnz .LBB30_243
; %bb.244:
	s_or_b64 exec, exec, s[6:7]
.LBB30_245:
	s_or_b64 exec, exec, s[12:13]
	v_mov_b32_e32 v68, 0
	ds_read_b64 v[68:69], v68 offset:40
	s_waitcnt lgkmcnt(0)
	v_mul_f64 v[63:64], v[63:64], v[68:69]
	buffer_store_dword v64, off, s[0:3], 0 offset:44
	buffer_store_dword v63, off, s[0:3], 0 offset:40
.LBB30_246:
	s_or_b64 exec, exec, s[8:9]
	buffer_load_dword v63, off, s[0:3], 0 offset:32
	buffer_load_dword v64, off, s[0:3], 0 offset:36
	v_cmp_lt_u32_e64 s[6:7], 4, v0
	s_waitcnt vmcnt(0)
	ds_write_b64 v66, v[63:64]
	s_waitcnt lgkmcnt(0)
	; wave barrier
	s_and_saveexec_b64 s[8:9], s[6:7]
	s_cbranch_execz .LBB30_256
; %bb.247:
	s_andn2_b64 vcc, exec, s[10:11]
	s_cbranch_vccnz .LBB30_249
; %bb.248:
	buffer_load_dword v63, v67, s[0:3], 0 offen
	buffer_load_dword v64, v67, s[0:3], 0 offen offset:4
	ds_read_b64 v[68:69], v66
	s_waitcnt vmcnt(0) lgkmcnt(0)
	v_mul_f64 v[63:64], v[63:64], v[68:69]
	s_cbranch_execz .LBB30_250
	s_branch .LBB30_251
.LBB30_249:
                                        ; implicit-def: $vgpr63_vgpr64
.LBB30_250:
	ds_read_b64 v[63:64], v66
.LBB30_251:
	s_and_saveexec_b64 s[12:13], s[4:5]
	s_cbranch_execz .LBB30_255
; %bb.252:
	v_add_u32_e32 v68, -5, v0
	s_movk_i32 s19, 0x128
	s_mov_b64 s[4:5], 0
.LBB30_253:                             ; =>This Inner Loop Header: Depth=1
	v_mov_b32_e32 v71, s18
	buffer_load_dword v69, v71, s[0:3], 0 offen
	buffer_load_dword v70, v71, s[0:3], 0 offen offset:4
	v_mov_b32_e32 v71, s19
	ds_read_b64 v[71:72], v71
	v_add_u32_e32 v68, -1, v68
	s_add_i32 s19, s19, 8
	s_add_i32 s18, s18, 8
	v_cmp_eq_u32_e32 vcc, 0, v68
	s_or_b64 s[4:5], vcc, s[4:5]
	s_waitcnt vmcnt(0) lgkmcnt(0)
	v_fma_f64 v[63:64], v[69:70], v[71:72], v[63:64]
	s_andn2_b64 exec, exec, s[4:5]
	s_cbranch_execnz .LBB30_253
; %bb.254:
	s_or_b64 exec, exec, s[4:5]
.LBB30_255:
	s_or_b64 exec, exec, s[12:13]
	v_mov_b32_e32 v68, 0
	ds_read_b64 v[68:69], v68 offset:32
	s_waitcnt lgkmcnt(0)
	v_mul_f64 v[63:64], v[63:64], v[68:69]
	buffer_store_dword v64, off, s[0:3], 0 offset:36
	buffer_store_dword v63, off, s[0:3], 0 offset:32
.LBB30_256:
	s_or_b64 exec, exec, s[8:9]
	buffer_load_dword v63, off, s[0:3], 0 offset:24
	buffer_load_dword v64, off, s[0:3], 0 offset:28
	v_cmp_lt_u32_e64 s[4:5], 3, v0
	s_waitcnt vmcnt(0)
	ds_write_b64 v66, v[63:64]
	s_waitcnt lgkmcnt(0)
	; wave barrier
	s_and_saveexec_b64 s[8:9], s[4:5]
	s_cbranch_execz .LBB30_266
; %bb.257:
	s_andn2_b64 vcc, exec, s[10:11]
	s_cbranch_vccnz .LBB30_259
; %bb.258:
	buffer_load_dword v63, v67, s[0:3], 0 offen
	buffer_load_dword v64, v67, s[0:3], 0 offen offset:4
	ds_read_b64 v[68:69], v66
	s_waitcnt vmcnt(0) lgkmcnt(0)
	v_mul_f64 v[63:64], v[63:64], v[68:69]
	s_cbranch_execz .LBB30_260
	s_branch .LBB30_261
.LBB30_259:
                                        ; implicit-def: $vgpr63_vgpr64
.LBB30_260:
	ds_read_b64 v[63:64], v66
.LBB30_261:
	s_and_saveexec_b64 s[12:13], s[6:7]
	s_cbranch_execz .LBB30_265
; %bb.262:
	v_add_u32_e32 v68, -4, v0
	s_movk_i32 s18, 0x120
	s_mov_b64 s[6:7], 0
.LBB30_263:                             ; =>This Inner Loop Header: Depth=1
	v_mov_b32_e32 v71, s17
	buffer_load_dword v69, v71, s[0:3], 0 offen
	buffer_load_dword v70, v71, s[0:3], 0 offen offset:4
	v_mov_b32_e32 v71, s18
	ds_read_b64 v[71:72], v71
	v_add_u32_e32 v68, -1, v68
	s_add_i32 s18, s18, 8
	s_add_i32 s17, s17, 8
	v_cmp_eq_u32_e32 vcc, 0, v68
	s_or_b64 s[6:7], vcc, s[6:7]
	s_waitcnt vmcnt(0) lgkmcnt(0)
	v_fma_f64 v[63:64], v[69:70], v[71:72], v[63:64]
	s_andn2_b64 exec, exec, s[6:7]
	s_cbranch_execnz .LBB30_263
; %bb.264:
	s_or_b64 exec, exec, s[6:7]
.LBB30_265:
	s_or_b64 exec, exec, s[12:13]
	v_mov_b32_e32 v68, 0
	ds_read_b64 v[68:69], v68 offset:24
	s_waitcnt lgkmcnt(0)
	v_mul_f64 v[63:64], v[63:64], v[68:69]
	buffer_store_dword v64, off, s[0:3], 0 offset:28
	buffer_store_dword v63, off, s[0:3], 0 offset:24
.LBB30_266:
	s_or_b64 exec, exec, s[8:9]
	buffer_load_dword v63, off, s[0:3], 0 offset:16
	buffer_load_dword v64, off, s[0:3], 0 offset:20
	v_cmp_lt_u32_e64 s[6:7], 2, v0
	s_waitcnt vmcnt(0)
	ds_write_b64 v66, v[63:64]
	s_waitcnt lgkmcnt(0)
	; wave barrier
	s_and_saveexec_b64 s[8:9], s[6:7]
	s_cbranch_execz .LBB30_276
; %bb.267:
	s_andn2_b64 vcc, exec, s[10:11]
	s_cbranch_vccnz .LBB30_269
; %bb.268:
	buffer_load_dword v63, v67, s[0:3], 0 offen
	buffer_load_dword v64, v67, s[0:3], 0 offen offset:4
	ds_read_b64 v[68:69], v66
	s_waitcnt vmcnt(0) lgkmcnt(0)
	v_mul_f64 v[63:64], v[63:64], v[68:69]
	s_cbranch_execz .LBB30_270
	s_branch .LBB30_271
.LBB30_269:
                                        ; implicit-def: $vgpr63_vgpr64
.LBB30_270:
	ds_read_b64 v[63:64], v66
.LBB30_271:
	s_and_saveexec_b64 s[12:13], s[4:5]
	s_cbranch_execz .LBB30_275
; %bb.272:
	v_add_u32_e32 v68, -3, v0
	s_movk_i32 s17, 0x118
	s_mov_b64 s[4:5], 0
.LBB30_273:                             ; =>This Inner Loop Header: Depth=1
	v_mov_b32_e32 v71, s16
	buffer_load_dword v69, v71, s[0:3], 0 offen
	buffer_load_dword v70, v71, s[0:3], 0 offen offset:4
	v_mov_b32_e32 v71, s17
	ds_read_b64 v[71:72], v71
	v_add_u32_e32 v68, -1, v68
	s_add_i32 s17, s17, 8
	s_add_i32 s16, s16, 8
	v_cmp_eq_u32_e32 vcc, 0, v68
	s_or_b64 s[4:5], vcc, s[4:5]
	s_waitcnt vmcnt(0) lgkmcnt(0)
	v_fma_f64 v[63:64], v[69:70], v[71:72], v[63:64]
	s_andn2_b64 exec, exec, s[4:5]
	s_cbranch_execnz .LBB30_273
; %bb.274:
	s_or_b64 exec, exec, s[4:5]
.LBB30_275:
	s_or_b64 exec, exec, s[12:13]
	v_mov_b32_e32 v68, 0
	ds_read_b64 v[68:69], v68 offset:16
	s_waitcnt lgkmcnt(0)
	v_mul_f64 v[63:64], v[63:64], v[68:69]
	buffer_store_dword v64, off, s[0:3], 0 offset:20
	buffer_store_dword v63, off, s[0:3], 0 offset:16
.LBB30_276:
	s_or_b64 exec, exec, s[8:9]
	buffer_load_dword v63, off, s[0:3], 0 offset:8
	buffer_load_dword v64, off, s[0:3], 0 offset:12
	v_cmp_lt_u32_e64 s[4:5], 1, v0
	s_waitcnt vmcnt(0)
	ds_write_b64 v66, v[63:64]
	s_waitcnt lgkmcnt(0)
	; wave barrier
	s_and_saveexec_b64 s[8:9], s[4:5]
	s_cbranch_execz .LBB30_286
; %bb.277:
	s_andn2_b64 vcc, exec, s[10:11]
	s_cbranch_vccnz .LBB30_279
; %bb.278:
	buffer_load_dword v63, v67, s[0:3], 0 offen
	buffer_load_dword v64, v67, s[0:3], 0 offen offset:4
	ds_read_b64 v[68:69], v66
	s_waitcnt vmcnt(0) lgkmcnt(0)
	v_mul_f64 v[63:64], v[63:64], v[68:69]
	s_cbranch_execz .LBB30_280
	s_branch .LBB30_281
.LBB30_279:
                                        ; implicit-def: $vgpr63_vgpr64
.LBB30_280:
	ds_read_b64 v[63:64], v66
.LBB30_281:
	s_and_saveexec_b64 s[12:13], s[6:7]
	s_cbranch_execz .LBB30_285
; %bb.282:
	v_add_u32_e32 v68, -2, v0
	s_movk_i32 s16, 0x110
	s_mov_b64 s[6:7], 0
.LBB30_283:                             ; =>This Inner Loop Header: Depth=1
	v_mov_b32_e32 v71, s15
	buffer_load_dword v69, v71, s[0:3], 0 offen
	buffer_load_dword v70, v71, s[0:3], 0 offen offset:4
	v_mov_b32_e32 v71, s16
	ds_read_b64 v[71:72], v71
	v_add_u32_e32 v68, -1, v68
	s_add_i32 s16, s16, 8
	s_add_i32 s15, s15, 8
	v_cmp_eq_u32_e32 vcc, 0, v68
	s_or_b64 s[6:7], vcc, s[6:7]
	s_waitcnt vmcnt(0) lgkmcnt(0)
	v_fma_f64 v[63:64], v[69:70], v[71:72], v[63:64]
	s_andn2_b64 exec, exec, s[6:7]
	s_cbranch_execnz .LBB30_283
; %bb.284:
	s_or_b64 exec, exec, s[6:7]
.LBB30_285:
	s_or_b64 exec, exec, s[12:13]
	v_mov_b32_e32 v68, 0
	ds_read_b64 v[68:69], v68 offset:8
	s_waitcnt lgkmcnt(0)
	v_mul_f64 v[63:64], v[63:64], v[68:69]
	buffer_store_dword v64, off, s[0:3], 0 offset:12
	buffer_store_dword v63, off, s[0:3], 0 offset:8
.LBB30_286:
	s_or_b64 exec, exec, s[8:9]
	buffer_load_dword v63, off, s[0:3], 0
	buffer_load_dword v64, off, s[0:3], 0 offset:4
	v_cmp_ne_u32_e32 vcc, 0, v0
	s_waitcnt vmcnt(0)
	ds_write_b64 v66, v[63:64]
	s_waitcnt lgkmcnt(0)
	; wave barrier
	s_and_saveexec_b64 s[6:7], vcc
	s_cbranch_execz .LBB30_296
; %bb.287:
	s_andn2_b64 vcc, exec, s[10:11]
	s_cbranch_vccnz .LBB30_289
; %bb.288:
	buffer_load_dword v63, v67, s[0:3], 0 offen
	buffer_load_dword v64, v67, s[0:3], 0 offen offset:4
	ds_read_b64 v[68:69], v66
	s_waitcnt vmcnt(0) lgkmcnt(0)
	v_mul_f64 v[63:64], v[63:64], v[68:69]
	s_cbranch_execz .LBB30_290
	s_branch .LBB30_291
.LBB30_289:
                                        ; implicit-def: $vgpr63_vgpr64
.LBB30_290:
	ds_read_b64 v[63:64], v66
.LBB30_291:
	s_and_saveexec_b64 s[8:9], s[4:5]
	s_cbranch_execz .LBB30_295
; %bb.292:
	v_add_u32_e32 v68, -1, v0
	s_movk_i32 s12, 0x108
	s_mov_b64 s[4:5], 0
.LBB30_293:                             ; =>This Inner Loop Header: Depth=1
	v_mov_b32_e32 v71, s14
	buffer_load_dword v69, v71, s[0:3], 0 offen
	buffer_load_dword v70, v71, s[0:3], 0 offen offset:4
	v_mov_b32_e32 v71, s12
	ds_read_b64 v[71:72], v71
	v_add_u32_e32 v68, -1, v68
	s_add_i32 s12, s12, 8
	s_add_i32 s14, s14, 8
	v_cmp_eq_u32_e32 vcc, 0, v68
	s_or_b64 s[4:5], vcc, s[4:5]
	s_waitcnt vmcnt(0) lgkmcnt(0)
	v_fma_f64 v[63:64], v[69:70], v[71:72], v[63:64]
	s_andn2_b64 exec, exec, s[4:5]
	s_cbranch_execnz .LBB30_293
; %bb.294:
	s_or_b64 exec, exec, s[4:5]
.LBB30_295:
	s_or_b64 exec, exec, s[8:9]
	v_mov_b32_e32 v68, 0
	ds_read_b64 v[68:69], v68
	s_waitcnt lgkmcnt(0)
	v_mul_f64 v[63:64], v[63:64], v[68:69]
	buffer_store_dword v64, off, s[0:3], 0 offset:4
	buffer_store_dword v63, off, s[0:3], 0
.LBB30_296:
	s_or_b64 exec, exec, s[6:7]
	s_mov_b64 s[4:5], 0
.LBB30_297:
	s_and_b64 vcc, exec, s[4:5]
	s_cbranch_vccz .LBB30_589
; %bb.298:
	buffer_load_dword v63, off, s[0:3], 0 offset:8
	buffer_load_dword v64, off, s[0:3], 0 offset:12
	v_cmp_eq_u32_e64 s[6:7], 0, v0
	s_waitcnt vmcnt(0)
	ds_write_b64 v66, v[63:64]
	s_waitcnt lgkmcnt(0)
	; wave barrier
	s_and_saveexec_b64 s[4:5], s[6:7]
	s_cbranch_execz .LBB30_304
; %bb.299:
	s_and_b64 vcc, exec, s[10:11]
	s_cbranch_vccz .LBB30_301
; %bb.300:
	buffer_load_dword v63, v67, s[0:3], 0 offen
	buffer_load_dword v64, v67, s[0:3], 0 offen offset:4
	ds_read_b64 v[68:69], v66
	s_waitcnt vmcnt(0) lgkmcnt(0)
	v_mul_f64 v[63:64], v[63:64], v[68:69]
	s_cbranch_execz .LBB30_302
	s_branch .LBB30_303
.LBB30_301:
                                        ; implicit-def: $vgpr63_vgpr64
.LBB30_302:
	ds_read_b64 v[63:64], v66
.LBB30_303:
	v_mov_b32_e32 v68, 0
	ds_read_b64 v[68:69], v68 offset:8
	s_waitcnt lgkmcnt(0)
	v_mul_f64 v[63:64], v[63:64], v[68:69]
	buffer_store_dword v64, off, s[0:3], 0 offset:12
	buffer_store_dword v63, off, s[0:3], 0 offset:8
.LBB30_304:
	s_or_b64 exec, exec, s[4:5]
	buffer_load_dword v63, off, s[0:3], 0 offset:16
	buffer_load_dword v64, off, s[0:3], 0 offset:20
	v_cndmask_b32_e64 v68, 0, 1, s[10:11]
	v_cmp_gt_u32_e32 vcc, 2, v0
	v_cmp_ne_u32_e64 s[4:5], 1, v68
	s_waitcnt vmcnt(0)
	ds_write_b64 v66, v[63:64]
	s_waitcnt lgkmcnt(0)
	; wave barrier
	s_and_saveexec_b64 s[8:9], vcc
	s_cbranch_execz .LBB30_310
; %bb.305:
	s_and_b64 vcc, exec, s[4:5]
	s_cbranch_vccnz .LBB30_307
; %bb.306:
	buffer_load_dword v63, v67, s[0:3], 0 offen
	buffer_load_dword v64, v67, s[0:3], 0 offen offset:4
	ds_read_b64 v[68:69], v66
	s_waitcnt vmcnt(0) lgkmcnt(0)
	v_mul_f64 v[63:64], v[63:64], v[68:69]
	s_cbranch_execz .LBB30_308
	s_branch .LBB30_309
.LBB30_307:
                                        ; implicit-def: $vgpr63_vgpr64
.LBB30_308:
	ds_read_b64 v[63:64], v66
.LBB30_309:
	buffer_load_dword v72, off, s[0:3], 0 offset:8
	buffer_load_dword v73, off, s[0:3], 0 offset:12
	v_mov_b32_e32 v68, 0
	ds_read2_b64 v[68:71], v68 offset0:2 offset1:33
	s_waitcnt vmcnt(0) lgkmcnt(0)
	v_fma_f64 v[70:71], v[72:73], v[70:71], v[63:64]
	v_cndmask_b32_e64 v64, v64, v71, s[6:7]
	v_cndmask_b32_e64 v63, v63, v70, s[6:7]
	v_mul_f64 v[63:64], v[63:64], v[68:69]
	buffer_store_dword v64, off, s[0:3], 0 offset:20
	buffer_store_dword v63, off, s[0:3], 0 offset:16
.LBB30_310:
	s_or_b64 exec, exec, s[8:9]
	buffer_load_dword v63, off, s[0:3], 0 offset:24
	buffer_load_dword v64, off, s[0:3], 0 offset:28
	v_cmp_gt_u32_e32 vcc, 3, v0
	s_waitcnt vmcnt(0)
	ds_write_b64 v66, v[63:64]
	s_waitcnt lgkmcnt(0)
	; wave barrier
	s_and_saveexec_b64 s[8:9], vcc
	s_cbranch_execz .LBB30_318
; %bb.311:
	s_and_b64 vcc, exec, s[4:5]
	s_cbranch_vccnz .LBB30_313
; %bb.312:
	buffer_load_dword v63, v67, s[0:3], 0 offen
	buffer_load_dword v64, v67, s[0:3], 0 offen offset:4
	ds_read_b64 v[68:69], v66
	s_waitcnt vmcnt(0) lgkmcnt(0)
	v_mul_f64 v[63:64], v[63:64], v[68:69]
	s_cbranch_execz .LBB30_314
	s_branch .LBB30_315
.LBB30_313:
                                        ; implicit-def: $vgpr63_vgpr64
.LBB30_314:
	ds_read_b64 v[63:64], v66
.LBB30_315:
	v_cmp_ne_u32_e32 vcc, 2, v0
	s_and_saveexec_b64 s[10:11], vcc
	s_cbranch_execz .LBB30_317
; %bb.316:
	buffer_load_dword v68, v67, s[0:3], 0 offen offset:8
	buffer_load_dword v69, v67, s[0:3], 0 offen offset:12
	buffer_load_dword v70, off, s[0:3], 0 offset:16
	buffer_load_dword v71, off, s[0:3], 0 offset:20
	ds_read_b64 v[72:73], v66 offset:8
	v_mov_b32_e32 v74, 0
	ds_read_b64 v[74:75], v74 offset:272
	s_waitcnt vmcnt(2) lgkmcnt(1)
	v_fma_f64 v[63:64], v[68:69], v[72:73], v[63:64]
	s_waitcnt vmcnt(0) lgkmcnt(0)
	v_fma_f64 v[68:69], v[70:71], v[74:75], v[63:64]
	v_cndmask_b32_e64 v64, v64, v69, s[6:7]
	v_cndmask_b32_e64 v63, v63, v68, s[6:7]
.LBB30_317:
	s_or_b64 exec, exec, s[10:11]
	v_mov_b32_e32 v68, 0
	ds_read_b64 v[68:69], v68 offset:24
	s_waitcnt lgkmcnt(0)
	v_mul_f64 v[63:64], v[63:64], v[68:69]
	buffer_store_dword v64, off, s[0:3], 0 offset:28
	buffer_store_dword v63, off, s[0:3], 0 offset:24
.LBB30_318:
	s_or_b64 exec, exec, s[8:9]
	buffer_load_dword v63, off, s[0:3], 0 offset:32
	buffer_load_dword v64, off, s[0:3], 0 offset:36
	v_cmp_gt_u32_e32 vcc, 4, v0
	s_waitcnt vmcnt(0)
	ds_write_b64 v66, v[63:64]
	s_waitcnt lgkmcnt(0)
	; wave barrier
	s_and_saveexec_b64 s[6:7], vcc
	s_cbranch_execz .LBB30_328
; %bb.319:
	s_and_b64 vcc, exec, s[4:5]
	s_cbranch_vccnz .LBB30_321
; %bb.320:
	buffer_load_dword v63, v67, s[0:3], 0 offen
	buffer_load_dword v64, v67, s[0:3], 0 offen offset:4
	ds_read_b64 v[68:69], v66
	s_waitcnt vmcnt(0) lgkmcnt(0)
	v_mul_f64 v[63:64], v[63:64], v[68:69]
	s_cbranch_execz .LBB30_322
	s_branch .LBB30_323
.LBB30_321:
                                        ; implicit-def: $vgpr63_vgpr64
.LBB30_322:
	ds_read_b64 v[63:64], v66
.LBB30_323:
	v_cmp_ne_u32_e32 vcc, 3, v0
	s_and_saveexec_b64 s[8:9], vcc
	s_cbranch_execz .LBB30_327
; %bb.324:
	s_mov_b32 s10, 0
	v_add_u32_e32 v68, 0x108, v65
	v_add3_u32 v69, v65, s10, 8
	s_mov_b64 s[10:11], 0
	v_mov_b32_e32 v70, v0
.LBB30_325:                             ; =>This Inner Loop Header: Depth=1
	buffer_load_dword v71, v69, s[0:3], 0 offen
	buffer_load_dword v72, v69, s[0:3], 0 offen offset:4
	ds_read_b64 v[73:74], v68
	v_add_u32_e32 v70, 1, v70
	v_cmp_lt_u32_e32 vcc, 2, v70
	v_add_u32_e32 v68, 8, v68
	s_or_b64 s[10:11], vcc, s[10:11]
	v_add_u32_e32 v69, 8, v69
	s_waitcnt vmcnt(0) lgkmcnt(0)
	v_fma_f64 v[63:64], v[71:72], v[73:74], v[63:64]
	s_andn2_b64 exec, exec, s[10:11]
	s_cbranch_execnz .LBB30_325
; %bb.326:
	s_or_b64 exec, exec, s[10:11]
.LBB30_327:
	s_or_b64 exec, exec, s[8:9]
	v_mov_b32_e32 v68, 0
	ds_read_b64 v[68:69], v68 offset:32
	s_waitcnt lgkmcnt(0)
	v_mul_f64 v[63:64], v[63:64], v[68:69]
	buffer_store_dword v64, off, s[0:3], 0 offset:36
	buffer_store_dword v63, off, s[0:3], 0 offset:32
.LBB30_328:
	s_or_b64 exec, exec, s[6:7]
	buffer_load_dword v63, off, s[0:3], 0 offset:40
	buffer_load_dword v64, off, s[0:3], 0 offset:44
	v_cmp_gt_u32_e32 vcc, 5, v0
	s_waitcnt vmcnt(0)
	ds_write_b64 v66, v[63:64]
	s_waitcnt lgkmcnt(0)
	; wave barrier
	s_and_saveexec_b64 s[6:7], vcc
	s_cbranch_execz .LBB30_338
; %bb.329:
	s_and_b64 vcc, exec, s[4:5]
	s_cbranch_vccnz .LBB30_331
; %bb.330:
	buffer_load_dword v63, v67, s[0:3], 0 offen
	buffer_load_dword v64, v67, s[0:3], 0 offen offset:4
	ds_read_b64 v[68:69], v66
	s_waitcnt vmcnt(0) lgkmcnt(0)
	v_mul_f64 v[63:64], v[63:64], v[68:69]
	s_cbranch_execz .LBB30_332
	s_branch .LBB30_333
.LBB30_331:
                                        ; implicit-def: $vgpr63_vgpr64
.LBB30_332:
	ds_read_b64 v[63:64], v66
.LBB30_333:
	v_cmp_ne_u32_e32 vcc, 4, v0
	s_and_saveexec_b64 s[8:9], vcc
	s_cbranch_execz .LBB30_337
; %bb.334:
	s_mov_b32 s10, 0
	v_add_u32_e32 v68, 0x108, v65
	v_add3_u32 v69, v65, s10, 8
	s_mov_b64 s[10:11], 0
	v_mov_b32_e32 v70, v0
.LBB30_335:                             ; =>This Inner Loop Header: Depth=1
	buffer_load_dword v71, v69, s[0:3], 0 offen
	buffer_load_dword v72, v69, s[0:3], 0 offen offset:4
	ds_read_b64 v[73:74], v68
	v_add_u32_e32 v70, 1, v70
	v_cmp_lt_u32_e32 vcc, 3, v70
	v_add_u32_e32 v68, 8, v68
	s_or_b64 s[10:11], vcc, s[10:11]
	v_add_u32_e32 v69, 8, v69
	s_waitcnt vmcnt(0) lgkmcnt(0)
	v_fma_f64 v[63:64], v[71:72], v[73:74], v[63:64]
	s_andn2_b64 exec, exec, s[10:11]
	s_cbranch_execnz .LBB30_335
; %bb.336:
	s_or_b64 exec, exec, s[10:11]
.LBB30_337:
	s_or_b64 exec, exec, s[8:9]
	v_mov_b32_e32 v68, 0
	ds_read_b64 v[68:69], v68 offset:40
	s_waitcnt lgkmcnt(0)
	v_mul_f64 v[63:64], v[63:64], v[68:69]
	buffer_store_dword v64, off, s[0:3], 0 offset:44
	buffer_store_dword v63, off, s[0:3], 0 offset:40
.LBB30_338:
	s_or_b64 exec, exec, s[6:7]
	buffer_load_dword v63, off, s[0:3], 0 offset:48
	buffer_load_dword v64, off, s[0:3], 0 offset:52
	v_cmp_gt_u32_e32 vcc, 6, v0
	s_waitcnt vmcnt(0)
	ds_write_b64 v66, v[63:64]
	s_waitcnt lgkmcnt(0)
	; wave barrier
	s_and_saveexec_b64 s[6:7], vcc
	s_cbranch_execz .LBB30_348
; %bb.339:
	s_and_b64 vcc, exec, s[4:5]
	s_cbranch_vccnz .LBB30_341
; %bb.340:
	buffer_load_dword v63, v67, s[0:3], 0 offen
	buffer_load_dword v64, v67, s[0:3], 0 offen offset:4
	ds_read_b64 v[68:69], v66
	s_waitcnt vmcnt(0) lgkmcnt(0)
	v_mul_f64 v[63:64], v[63:64], v[68:69]
	s_cbranch_execz .LBB30_342
	s_branch .LBB30_343
.LBB30_341:
                                        ; implicit-def: $vgpr63_vgpr64
.LBB30_342:
	ds_read_b64 v[63:64], v66
.LBB30_343:
	v_cmp_ne_u32_e32 vcc, 5, v0
	s_and_saveexec_b64 s[8:9], vcc
	s_cbranch_execz .LBB30_347
; %bb.344:
	s_mov_b32 s10, 0
	v_add_u32_e32 v68, 0x108, v65
	v_add3_u32 v69, v65, s10, 8
	s_mov_b64 s[10:11], 0
	v_mov_b32_e32 v70, v0
.LBB30_345:                             ; =>This Inner Loop Header: Depth=1
	buffer_load_dword v71, v69, s[0:3], 0 offen
	buffer_load_dword v72, v69, s[0:3], 0 offen offset:4
	ds_read_b64 v[73:74], v68
	v_add_u32_e32 v70, 1, v70
	v_cmp_lt_u32_e32 vcc, 4, v70
	v_add_u32_e32 v68, 8, v68
	s_or_b64 s[10:11], vcc, s[10:11]
	v_add_u32_e32 v69, 8, v69
	s_waitcnt vmcnt(0) lgkmcnt(0)
	v_fma_f64 v[63:64], v[71:72], v[73:74], v[63:64]
	s_andn2_b64 exec, exec, s[10:11]
	s_cbranch_execnz .LBB30_345
; %bb.346:
	s_or_b64 exec, exec, s[10:11]
.LBB30_347:
	s_or_b64 exec, exec, s[8:9]
	v_mov_b32_e32 v68, 0
	ds_read_b64 v[68:69], v68 offset:48
	s_waitcnt lgkmcnt(0)
	v_mul_f64 v[63:64], v[63:64], v[68:69]
	buffer_store_dword v64, off, s[0:3], 0 offset:52
	buffer_store_dword v63, off, s[0:3], 0 offset:48
.LBB30_348:
	s_or_b64 exec, exec, s[6:7]
	buffer_load_dword v63, off, s[0:3], 0 offset:56
	buffer_load_dword v64, off, s[0:3], 0 offset:60
	v_cmp_gt_u32_e32 vcc, 7, v0
	s_waitcnt vmcnt(0)
	ds_write_b64 v66, v[63:64]
	s_waitcnt lgkmcnt(0)
	; wave barrier
	s_and_saveexec_b64 s[6:7], vcc
	s_cbranch_execz .LBB30_358
; %bb.349:
	s_and_b64 vcc, exec, s[4:5]
	s_cbranch_vccnz .LBB30_351
; %bb.350:
	buffer_load_dword v63, v67, s[0:3], 0 offen
	buffer_load_dword v64, v67, s[0:3], 0 offen offset:4
	ds_read_b64 v[68:69], v66
	s_waitcnt vmcnt(0) lgkmcnt(0)
	v_mul_f64 v[63:64], v[63:64], v[68:69]
	s_cbranch_execz .LBB30_352
	s_branch .LBB30_353
.LBB30_351:
                                        ; implicit-def: $vgpr63_vgpr64
.LBB30_352:
	ds_read_b64 v[63:64], v66
.LBB30_353:
	v_cmp_ne_u32_e32 vcc, 6, v0
	s_and_saveexec_b64 s[8:9], vcc
	s_cbranch_execz .LBB30_357
; %bb.354:
	s_mov_b32 s10, 0
	v_add_u32_e32 v68, 0x108, v65
	v_add3_u32 v69, v65, s10, 8
	s_mov_b64 s[10:11], 0
	v_mov_b32_e32 v70, v0
.LBB30_355:                             ; =>This Inner Loop Header: Depth=1
	buffer_load_dword v71, v69, s[0:3], 0 offen
	buffer_load_dword v72, v69, s[0:3], 0 offen offset:4
	ds_read_b64 v[73:74], v68
	v_add_u32_e32 v70, 1, v70
	v_cmp_lt_u32_e32 vcc, 5, v70
	v_add_u32_e32 v68, 8, v68
	s_or_b64 s[10:11], vcc, s[10:11]
	v_add_u32_e32 v69, 8, v69
	s_waitcnt vmcnt(0) lgkmcnt(0)
	v_fma_f64 v[63:64], v[71:72], v[73:74], v[63:64]
	s_andn2_b64 exec, exec, s[10:11]
	s_cbranch_execnz .LBB30_355
; %bb.356:
	s_or_b64 exec, exec, s[10:11]
.LBB30_357:
	s_or_b64 exec, exec, s[8:9]
	v_mov_b32_e32 v68, 0
	ds_read_b64 v[68:69], v68 offset:56
	s_waitcnt lgkmcnt(0)
	v_mul_f64 v[63:64], v[63:64], v[68:69]
	buffer_store_dword v64, off, s[0:3], 0 offset:60
	buffer_store_dword v63, off, s[0:3], 0 offset:56
.LBB30_358:
	s_or_b64 exec, exec, s[6:7]
	buffer_load_dword v63, off, s[0:3], 0 offset:64
	buffer_load_dword v64, off, s[0:3], 0 offset:68
	v_cmp_gt_u32_e32 vcc, 8, v0
	s_waitcnt vmcnt(0)
	ds_write_b64 v66, v[63:64]
	s_waitcnt lgkmcnt(0)
	; wave barrier
	s_and_saveexec_b64 s[6:7], vcc
	s_cbranch_execz .LBB30_368
; %bb.359:
	s_and_b64 vcc, exec, s[4:5]
	s_cbranch_vccnz .LBB30_361
; %bb.360:
	buffer_load_dword v63, v67, s[0:3], 0 offen
	buffer_load_dword v64, v67, s[0:3], 0 offen offset:4
	ds_read_b64 v[68:69], v66
	s_waitcnt vmcnt(0) lgkmcnt(0)
	v_mul_f64 v[63:64], v[63:64], v[68:69]
	s_cbranch_execz .LBB30_362
	s_branch .LBB30_363
.LBB30_361:
                                        ; implicit-def: $vgpr63_vgpr64
.LBB30_362:
	ds_read_b64 v[63:64], v66
.LBB30_363:
	v_cmp_ne_u32_e32 vcc, 7, v0
	s_and_saveexec_b64 s[8:9], vcc
	s_cbranch_execz .LBB30_367
; %bb.364:
	s_mov_b32 s10, 0
	v_add_u32_e32 v68, 0x108, v65
	v_add3_u32 v69, v65, s10, 8
	s_mov_b64 s[10:11], 0
	v_mov_b32_e32 v70, v0
.LBB30_365:                             ; =>This Inner Loop Header: Depth=1
	buffer_load_dword v71, v69, s[0:3], 0 offen
	buffer_load_dword v72, v69, s[0:3], 0 offen offset:4
	ds_read_b64 v[73:74], v68
	v_add_u32_e32 v70, 1, v70
	v_cmp_lt_u32_e32 vcc, 6, v70
	v_add_u32_e32 v68, 8, v68
	s_or_b64 s[10:11], vcc, s[10:11]
	v_add_u32_e32 v69, 8, v69
	s_waitcnt vmcnt(0) lgkmcnt(0)
	v_fma_f64 v[63:64], v[71:72], v[73:74], v[63:64]
	s_andn2_b64 exec, exec, s[10:11]
	s_cbranch_execnz .LBB30_365
; %bb.366:
	s_or_b64 exec, exec, s[10:11]
.LBB30_367:
	s_or_b64 exec, exec, s[8:9]
	v_mov_b32_e32 v68, 0
	ds_read_b64 v[68:69], v68 offset:64
	s_waitcnt lgkmcnt(0)
	v_mul_f64 v[63:64], v[63:64], v[68:69]
	buffer_store_dword v64, off, s[0:3], 0 offset:68
	buffer_store_dword v63, off, s[0:3], 0 offset:64
.LBB30_368:
	s_or_b64 exec, exec, s[6:7]
	buffer_load_dword v63, off, s[0:3], 0 offset:72
	buffer_load_dword v64, off, s[0:3], 0 offset:76
	v_cmp_gt_u32_e32 vcc, 9, v0
	s_waitcnt vmcnt(0)
	ds_write_b64 v66, v[63:64]
	s_waitcnt lgkmcnt(0)
	; wave barrier
	s_and_saveexec_b64 s[6:7], vcc
	s_cbranch_execz .LBB30_378
; %bb.369:
	s_and_b64 vcc, exec, s[4:5]
	s_cbranch_vccnz .LBB30_371
; %bb.370:
	buffer_load_dword v63, v67, s[0:3], 0 offen
	buffer_load_dword v64, v67, s[0:3], 0 offen offset:4
	ds_read_b64 v[68:69], v66
	s_waitcnt vmcnt(0) lgkmcnt(0)
	v_mul_f64 v[63:64], v[63:64], v[68:69]
	s_cbranch_execz .LBB30_372
	s_branch .LBB30_373
.LBB30_371:
                                        ; implicit-def: $vgpr63_vgpr64
.LBB30_372:
	ds_read_b64 v[63:64], v66
.LBB30_373:
	v_cmp_ne_u32_e32 vcc, 8, v0
	s_and_saveexec_b64 s[8:9], vcc
	s_cbranch_execz .LBB30_377
; %bb.374:
	s_mov_b32 s10, 0
	v_add_u32_e32 v68, 0x108, v65
	v_add3_u32 v69, v65, s10, 8
	s_mov_b64 s[10:11], 0
	v_mov_b32_e32 v70, v0
.LBB30_375:                             ; =>This Inner Loop Header: Depth=1
	buffer_load_dword v71, v69, s[0:3], 0 offen
	buffer_load_dword v72, v69, s[0:3], 0 offen offset:4
	ds_read_b64 v[73:74], v68
	v_add_u32_e32 v70, 1, v70
	v_cmp_lt_u32_e32 vcc, 7, v70
	v_add_u32_e32 v68, 8, v68
	s_or_b64 s[10:11], vcc, s[10:11]
	v_add_u32_e32 v69, 8, v69
	s_waitcnt vmcnt(0) lgkmcnt(0)
	v_fma_f64 v[63:64], v[71:72], v[73:74], v[63:64]
	s_andn2_b64 exec, exec, s[10:11]
	s_cbranch_execnz .LBB30_375
; %bb.376:
	s_or_b64 exec, exec, s[10:11]
.LBB30_377:
	s_or_b64 exec, exec, s[8:9]
	v_mov_b32_e32 v68, 0
	ds_read_b64 v[68:69], v68 offset:72
	s_waitcnt lgkmcnt(0)
	v_mul_f64 v[63:64], v[63:64], v[68:69]
	buffer_store_dword v64, off, s[0:3], 0 offset:76
	buffer_store_dword v63, off, s[0:3], 0 offset:72
.LBB30_378:
	s_or_b64 exec, exec, s[6:7]
	buffer_load_dword v63, off, s[0:3], 0 offset:80
	buffer_load_dword v64, off, s[0:3], 0 offset:84
	v_cmp_gt_u32_e32 vcc, 10, v0
	s_waitcnt vmcnt(0)
	ds_write_b64 v66, v[63:64]
	s_waitcnt lgkmcnt(0)
	; wave barrier
	s_and_saveexec_b64 s[6:7], vcc
	s_cbranch_execz .LBB30_388
; %bb.379:
	s_and_b64 vcc, exec, s[4:5]
	s_cbranch_vccnz .LBB30_381
; %bb.380:
	buffer_load_dword v63, v67, s[0:3], 0 offen
	buffer_load_dword v64, v67, s[0:3], 0 offen offset:4
	ds_read_b64 v[68:69], v66
	s_waitcnt vmcnt(0) lgkmcnt(0)
	v_mul_f64 v[63:64], v[63:64], v[68:69]
	s_cbranch_execz .LBB30_382
	s_branch .LBB30_383
.LBB30_381:
                                        ; implicit-def: $vgpr63_vgpr64
.LBB30_382:
	ds_read_b64 v[63:64], v66
.LBB30_383:
	v_cmp_ne_u32_e32 vcc, 9, v0
	s_and_saveexec_b64 s[8:9], vcc
	s_cbranch_execz .LBB30_387
; %bb.384:
	s_mov_b32 s10, 0
	v_add_u32_e32 v68, 0x108, v65
	v_add3_u32 v69, v65, s10, 8
	s_mov_b64 s[10:11], 0
	v_mov_b32_e32 v70, v0
.LBB30_385:                             ; =>This Inner Loop Header: Depth=1
	buffer_load_dword v71, v69, s[0:3], 0 offen
	buffer_load_dword v72, v69, s[0:3], 0 offen offset:4
	ds_read_b64 v[73:74], v68
	v_add_u32_e32 v70, 1, v70
	v_cmp_lt_u32_e32 vcc, 8, v70
	v_add_u32_e32 v68, 8, v68
	s_or_b64 s[10:11], vcc, s[10:11]
	v_add_u32_e32 v69, 8, v69
	s_waitcnt vmcnt(0) lgkmcnt(0)
	v_fma_f64 v[63:64], v[71:72], v[73:74], v[63:64]
	s_andn2_b64 exec, exec, s[10:11]
	s_cbranch_execnz .LBB30_385
; %bb.386:
	s_or_b64 exec, exec, s[10:11]
.LBB30_387:
	s_or_b64 exec, exec, s[8:9]
	v_mov_b32_e32 v68, 0
	ds_read_b64 v[68:69], v68 offset:80
	s_waitcnt lgkmcnt(0)
	v_mul_f64 v[63:64], v[63:64], v[68:69]
	buffer_store_dword v64, off, s[0:3], 0 offset:84
	buffer_store_dword v63, off, s[0:3], 0 offset:80
.LBB30_388:
	s_or_b64 exec, exec, s[6:7]
	buffer_load_dword v63, off, s[0:3], 0 offset:88
	buffer_load_dword v64, off, s[0:3], 0 offset:92
	v_cmp_gt_u32_e32 vcc, 11, v0
	s_waitcnt vmcnt(0)
	ds_write_b64 v66, v[63:64]
	s_waitcnt lgkmcnt(0)
	; wave barrier
	s_and_saveexec_b64 s[6:7], vcc
	s_cbranch_execz .LBB30_398
; %bb.389:
	s_and_b64 vcc, exec, s[4:5]
	s_cbranch_vccnz .LBB30_391
; %bb.390:
	buffer_load_dword v63, v67, s[0:3], 0 offen
	buffer_load_dword v64, v67, s[0:3], 0 offen offset:4
	ds_read_b64 v[68:69], v66
	s_waitcnt vmcnt(0) lgkmcnt(0)
	v_mul_f64 v[63:64], v[63:64], v[68:69]
	s_cbranch_execz .LBB30_392
	s_branch .LBB30_393
.LBB30_391:
                                        ; implicit-def: $vgpr63_vgpr64
.LBB30_392:
	ds_read_b64 v[63:64], v66
.LBB30_393:
	v_cmp_ne_u32_e32 vcc, 10, v0
	s_and_saveexec_b64 s[8:9], vcc
	s_cbranch_execz .LBB30_397
; %bb.394:
	s_mov_b32 s10, 0
	v_add_u32_e32 v68, 0x108, v65
	v_add3_u32 v69, v65, s10, 8
	s_mov_b64 s[10:11], 0
	v_mov_b32_e32 v70, v0
.LBB30_395:                             ; =>This Inner Loop Header: Depth=1
	buffer_load_dword v71, v69, s[0:3], 0 offen
	buffer_load_dword v72, v69, s[0:3], 0 offen offset:4
	ds_read_b64 v[73:74], v68
	v_add_u32_e32 v70, 1, v70
	v_cmp_lt_u32_e32 vcc, 9, v70
	v_add_u32_e32 v68, 8, v68
	s_or_b64 s[10:11], vcc, s[10:11]
	v_add_u32_e32 v69, 8, v69
	s_waitcnt vmcnt(0) lgkmcnt(0)
	v_fma_f64 v[63:64], v[71:72], v[73:74], v[63:64]
	s_andn2_b64 exec, exec, s[10:11]
	s_cbranch_execnz .LBB30_395
; %bb.396:
	s_or_b64 exec, exec, s[10:11]
.LBB30_397:
	s_or_b64 exec, exec, s[8:9]
	v_mov_b32_e32 v68, 0
	ds_read_b64 v[68:69], v68 offset:88
	s_waitcnt lgkmcnt(0)
	v_mul_f64 v[63:64], v[63:64], v[68:69]
	buffer_store_dword v64, off, s[0:3], 0 offset:92
	buffer_store_dword v63, off, s[0:3], 0 offset:88
.LBB30_398:
	s_or_b64 exec, exec, s[6:7]
	buffer_load_dword v63, off, s[0:3], 0 offset:96
	buffer_load_dword v64, off, s[0:3], 0 offset:100
	v_cmp_gt_u32_e32 vcc, 12, v0
	s_waitcnt vmcnt(0)
	ds_write_b64 v66, v[63:64]
	s_waitcnt lgkmcnt(0)
	; wave barrier
	s_and_saveexec_b64 s[6:7], vcc
	s_cbranch_execz .LBB30_408
; %bb.399:
	s_and_b64 vcc, exec, s[4:5]
	s_cbranch_vccnz .LBB30_401
; %bb.400:
	buffer_load_dword v63, v67, s[0:3], 0 offen
	buffer_load_dword v64, v67, s[0:3], 0 offen offset:4
	ds_read_b64 v[68:69], v66
	s_waitcnt vmcnt(0) lgkmcnt(0)
	v_mul_f64 v[63:64], v[63:64], v[68:69]
	s_cbranch_execz .LBB30_402
	s_branch .LBB30_403
.LBB30_401:
                                        ; implicit-def: $vgpr63_vgpr64
.LBB30_402:
	ds_read_b64 v[63:64], v66
.LBB30_403:
	v_cmp_ne_u32_e32 vcc, 11, v0
	s_and_saveexec_b64 s[8:9], vcc
	s_cbranch_execz .LBB30_407
; %bb.404:
	s_mov_b32 s10, 0
	v_add_u32_e32 v68, 0x108, v65
	v_add3_u32 v69, v65, s10, 8
	s_mov_b64 s[10:11], 0
	v_mov_b32_e32 v70, v0
.LBB30_405:                             ; =>This Inner Loop Header: Depth=1
	buffer_load_dword v71, v69, s[0:3], 0 offen
	buffer_load_dword v72, v69, s[0:3], 0 offen offset:4
	ds_read_b64 v[73:74], v68
	v_add_u32_e32 v70, 1, v70
	v_cmp_lt_u32_e32 vcc, 10, v70
	v_add_u32_e32 v68, 8, v68
	s_or_b64 s[10:11], vcc, s[10:11]
	v_add_u32_e32 v69, 8, v69
	s_waitcnt vmcnt(0) lgkmcnt(0)
	v_fma_f64 v[63:64], v[71:72], v[73:74], v[63:64]
	s_andn2_b64 exec, exec, s[10:11]
	s_cbranch_execnz .LBB30_405
; %bb.406:
	s_or_b64 exec, exec, s[10:11]
.LBB30_407:
	s_or_b64 exec, exec, s[8:9]
	v_mov_b32_e32 v68, 0
	ds_read_b64 v[68:69], v68 offset:96
	s_waitcnt lgkmcnt(0)
	v_mul_f64 v[63:64], v[63:64], v[68:69]
	buffer_store_dword v64, off, s[0:3], 0 offset:100
	buffer_store_dword v63, off, s[0:3], 0 offset:96
.LBB30_408:
	s_or_b64 exec, exec, s[6:7]
	buffer_load_dword v63, off, s[0:3], 0 offset:104
	buffer_load_dword v64, off, s[0:3], 0 offset:108
	v_cmp_gt_u32_e32 vcc, 13, v0
	s_waitcnt vmcnt(0)
	ds_write_b64 v66, v[63:64]
	s_waitcnt lgkmcnt(0)
	; wave barrier
	s_and_saveexec_b64 s[6:7], vcc
	s_cbranch_execz .LBB30_418
; %bb.409:
	s_and_b64 vcc, exec, s[4:5]
	s_cbranch_vccnz .LBB30_411
; %bb.410:
	buffer_load_dword v63, v67, s[0:3], 0 offen
	buffer_load_dword v64, v67, s[0:3], 0 offen offset:4
	ds_read_b64 v[68:69], v66
	s_waitcnt vmcnt(0) lgkmcnt(0)
	v_mul_f64 v[63:64], v[63:64], v[68:69]
	s_cbranch_execz .LBB30_412
	s_branch .LBB30_413
.LBB30_411:
                                        ; implicit-def: $vgpr63_vgpr64
.LBB30_412:
	ds_read_b64 v[63:64], v66
.LBB30_413:
	v_cmp_ne_u32_e32 vcc, 12, v0
	s_and_saveexec_b64 s[8:9], vcc
	s_cbranch_execz .LBB30_417
; %bb.414:
	s_mov_b32 s10, 0
	v_add_u32_e32 v68, 0x108, v65
	v_add3_u32 v69, v65, s10, 8
	s_mov_b64 s[10:11], 0
	v_mov_b32_e32 v70, v0
.LBB30_415:                             ; =>This Inner Loop Header: Depth=1
	buffer_load_dword v71, v69, s[0:3], 0 offen
	buffer_load_dword v72, v69, s[0:3], 0 offen offset:4
	ds_read_b64 v[73:74], v68
	v_add_u32_e32 v70, 1, v70
	v_cmp_lt_u32_e32 vcc, 11, v70
	v_add_u32_e32 v68, 8, v68
	s_or_b64 s[10:11], vcc, s[10:11]
	v_add_u32_e32 v69, 8, v69
	s_waitcnt vmcnt(0) lgkmcnt(0)
	v_fma_f64 v[63:64], v[71:72], v[73:74], v[63:64]
	s_andn2_b64 exec, exec, s[10:11]
	s_cbranch_execnz .LBB30_415
; %bb.416:
	s_or_b64 exec, exec, s[10:11]
.LBB30_417:
	s_or_b64 exec, exec, s[8:9]
	v_mov_b32_e32 v68, 0
	ds_read_b64 v[68:69], v68 offset:104
	s_waitcnt lgkmcnt(0)
	v_mul_f64 v[63:64], v[63:64], v[68:69]
	buffer_store_dword v64, off, s[0:3], 0 offset:108
	buffer_store_dword v63, off, s[0:3], 0 offset:104
.LBB30_418:
	s_or_b64 exec, exec, s[6:7]
	buffer_load_dword v63, off, s[0:3], 0 offset:112
	buffer_load_dword v64, off, s[0:3], 0 offset:116
	v_cmp_gt_u32_e32 vcc, 14, v0
	s_waitcnt vmcnt(0)
	ds_write_b64 v66, v[63:64]
	s_waitcnt lgkmcnt(0)
	; wave barrier
	s_and_saveexec_b64 s[6:7], vcc
	s_cbranch_execz .LBB30_428
; %bb.419:
	s_and_b64 vcc, exec, s[4:5]
	s_cbranch_vccnz .LBB30_421
; %bb.420:
	buffer_load_dword v63, v67, s[0:3], 0 offen
	buffer_load_dword v64, v67, s[0:3], 0 offen offset:4
	ds_read_b64 v[68:69], v66
	s_waitcnt vmcnt(0) lgkmcnt(0)
	v_mul_f64 v[63:64], v[63:64], v[68:69]
	s_cbranch_execz .LBB30_422
	s_branch .LBB30_423
.LBB30_421:
                                        ; implicit-def: $vgpr63_vgpr64
.LBB30_422:
	ds_read_b64 v[63:64], v66
.LBB30_423:
	v_cmp_ne_u32_e32 vcc, 13, v0
	s_and_saveexec_b64 s[8:9], vcc
	s_cbranch_execz .LBB30_427
; %bb.424:
	s_mov_b32 s10, 0
	v_add_u32_e32 v68, 0x108, v65
	v_add3_u32 v69, v65, s10, 8
	s_mov_b64 s[10:11], 0
	v_mov_b32_e32 v70, v0
.LBB30_425:                             ; =>This Inner Loop Header: Depth=1
	buffer_load_dword v71, v69, s[0:3], 0 offen
	buffer_load_dword v72, v69, s[0:3], 0 offen offset:4
	ds_read_b64 v[73:74], v68
	v_add_u32_e32 v70, 1, v70
	v_cmp_lt_u32_e32 vcc, 12, v70
	v_add_u32_e32 v68, 8, v68
	s_or_b64 s[10:11], vcc, s[10:11]
	v_add_u32_e32 v69, 8, v69
	s_waitcnt vmcnt(0) lgkmcnt(0)
	v_fma_f64 v[63:64], v[71:72], v[73:74], v[63:64]
	s_andn2_b64 exec, exec, s[10:11]
	s_cbranch_execnz .LBB30_425
; %bb.426:
	s_or_b64 exec, exec, s[10:11]
.LBB30_427:
	s_or_b64 exec, exec, s[8:9]
	v_mov_b32_e32 v68, 0
	ds_read_b64 v[68:69], v68 offset:112
	s_waitcnt lgkmcnt(0)
	v_mul_f64 v[63:64], v[63:64], v[68:69]
	buffer_store_dword v64, off, s[0:3], 0 offset:116
	buffer_store_dword v63, off, s[0:3], 0 offset:112
.LBB30_428:
	s_or_b64 exec, exec, s[6:7]
	buffer_load_dword v63, off, s[0:3], 0 offset:120
	buffer_load_dword v64, off, s[0:3], 0 offset:124
	v_cmp_gt_u32_e32 vcc, 15, v0
	s_waitcnt vmcnt(0)
	ds_write_b64 v66, v[63:64]
	s_waitcnt lgkmcnt(0)
	; wave barrier
	s_and_saveexec_b64 s[6:7], vcc
	s_cbranch_execz .LBB30_438
; %bb.429:
	s_and_b64 vcc, exec, s[4:5]
	s_cbranch_vccnz .LBB30_431
; %bb.430:
	buffer_load_dword v63, v67, s[0:3], 0 offen
	buffer_load_dword v64, v67, s[0:3], 0 offen offset:4
	ds_read_b64 v[68:69], v66
	s_waitcnt vmcnt(0) lgkmcnt(0)
	v_mul_f64 v[63:64], v[63:64], v[68:69]
	s_cbranch_execz .LBB30_432
	s_branch .LBB30_433
.LBB30_431:
                                        ; implicit-def: $vgpr63_vgpr64
.LBB30_432:
	ds_read_b64 v[63:64], v66
.LBB30_433:
	v_cmp_ne_u32_e32 vcc, 14, v0
	s_and_saveexec_b64 s[8:9], vcc
	s_cbranch_execz .LBB30_437
; %bb.434:
	s_mov_b32 s10, 0
	v_add_u32_e32 v68, 0x108, v65
	v_add3_u32 v69, v65, s10, 8
	s_mov_b64 s[10:11], 0
	v_mov_b32_e32 v70, v0
.LBB30_435:                             ; =>This Inner Loop Header: Depth=1
	buffer_load_dword v71, v69, s[0:3], 0 offen
	buffer_load_dword v72, v69, s[0:3], 0 offen offset:4
	ds_read_b64 v[73:74], v68
	v_add_u32_e32 v70, 1, v70
	v_cmp_lt_u32_e32 vcc, 13, v70
	v_add_u32_e32 v68, 8, v68
	s_or_b64 s[10:11], vcc, s[10:11]
	v_add_u32_e32 v69, 8, v69
	s_waitcnt vmcnt(0) lgkmcnt(0)
	v_fma_f64 v[63:64], v[71:72], v[73:74], v[63:64]
	s_andn2_b64 exec, exec, s[10:11]
	s_cbranch_execnz .LBB30_435
; %bb.436:
	s_or_b64 exec, exec, s[10:11]
.LBB30_437:
	s_or_b64 exec, exec, s[8:9]
	v_mov_b32_e32 v68, 0
	ds_read_b64 v[68:69], v68 offset:120
	s_waitcnt lgkmcnt(0)
	v_mul_f64 v[63:64], v[63:64], v[68:69]
	buffer_store_dword v64, off, s[0:3], 0 offset:124
	buffer_store_dword v63, off, s[0:3], 0 offset:120
.LBB30_438:
	s_or_b64 exec, exec, s[6:7]
	buffer_load_dword v63, off, s[0:3], 0 offset:128
	buffer_load_dword v64, off, s[0:3], 0 offset:132
	v_cmp_gt_u32_e32 vcc, 16, v0
	s_waitcnt vmcnt(0)
	ds_write_b64 v66, v[63:64]
	s_waitcnt lgkmcnt(0)
	; wave barrier
	s_and_saveexec_b64 s[6:7], vcc
	s_cbranch_execz .LBB30_448
; %bb.439:
	s_and_b64 vcc, exec, s[4:5]
	s_cbranch_vccnz .LBB30_441
; %bb.440:
	buffer_load_dword v63, v67, s[0:3], 0 offen
	buffer_load_dword v64, v67, s[0:3], 0 offen offset:4
	ds_read_b64 v[68:69], v66
	s_waitcnt vmcnt(0) lgkmcnt(0)
	v_mul_f64 v[63:64], v[63:64], v[68:69]
	s_cbranch_execz .LBB30_442
	s_branch .LBB30_443
.LBB30_441:
                                        ; implicit-def: $vgpr63_vgpr64
.LBB30_442:
	ds_read_b64 v[63:64], v66
.LBB30_443:
	v_cmp_ne_u32_e32 vcc, 15, v0
	s_and_saveexec_b64 s[8:9], vcc
	s_cbranch_execz .LBB30_447
; %bb.444:
	s_mov_b32 s10, 0
	v_add_u32_e32 v68, 0x108, v65
	v_add3_u32 v69, v65, s10, 8
	s_mov_b64 s[10:11], 0
	v_mov_b32_e32 v70, v0
.LBB30_445:                             ; =>This Inner Loop Header: Depth=1
	buffer_load_dword v71, v69, s[0:3], 0 offen
	buffer_load_dword v72, v69, s[0:3], 0 offen offset:4
	ds_read_b64 v[73:74], v68
	v_add_u32_e32 v70, 1, v70
	v_cmp_lt_u32_e32 vcc, 14, v70
	v_add_u32_e32 v68, 8, v68
	s_or_b64 s[10:11], vcc, s[10:11]
	v_add_u32_e32 v69, 8, v69
	s_waitcnt vmcnt(0) lgkmcnt(0)
	v_fma_f64 v[63:64], v[71:72], v[73:74], v[63:64]
	s_andn2_b64 exec, exec, s[10:11]
	s_cbranch_execnz .LBB30_445
; %bb.446:
	s_or_b64 exec, exec, s[10:11]
.LBB30_447:
	s_or_b64 exec, exec, s[8:9]
	v_mov_b32_e32 v68, 0
	ds_read_b64 v[68:69], v68 offset:128
	s_waitcnt lgkmcnt(0)
	v_mul_f64 v[63:64], v[63:64], v[68:69]
	buffer_store_dword v64, off, s[0:3], 0 offset:132
	buffer_store_dword v63, off, s[0:3], 0 offset:128
.LBB30_448:
	s_or_b64 exec, exec, s[6:7]
	buffer_load_dword v63, off, s[0:3], 0 offset:136
	buffer_load_dword v64, off, s[0:3], 0 offset:140
	v_cmp_gt_u32_e32 vcc, 17, v0
	s_waitcnt vmcnt(0)
	ds_write_b64 v66, v[63:64]
	s_waitcnt lgkmcnt(0)
	; wave barrier
	s_and_saveexec_b64 s[6:7], vcc
	s_cbranch_execz .LBB30_458
; %bb.449:
	s_and_b64 vcc, exec, s[4:5]
	s_cbranch_vccnz .LBB30_451
; %bb.450:
	buffer_load_dword v63, v67, s[0:3], 0 offen
	buffer_load_dword v64, v67, s[0:3], 0 offen offset:4
	ds_read_b64 v[68:69], v66
	s_waitcnt vmcnt(0) lgkmcnt(0)
	v_mul_f64 v[63:64], v[63:64], v[68:69]
	s_cbranch_execz .LBB30_452
	s_branch .LBB30_453
.LBB30_451:
                                        ; implicit-def: $vgpr63_vgpr64
.LBB30_452:
	ds_read_b64 v[63:64], v66
.LBB30_453:
	v_cmp_ne_u32_e32 vcc, 16, v0
	s_and_saveexec_b64 s[8:9], vcc
	s_cbranch_execz .LBB30_457
; %bb.454:
	s_mov_b32 s10, 0
	v_add_u32_e32 v68, 0x108, v65
	v_add3_u32 v69, v65, s10, 8
	s_mov_b64 s[10:11], 0
	v_mov_b32_e32 v70, v0
.LBB30_455:                             ; =>This Inner Loop Header: Depth=1
	buffer_load_dword v71, v69, s[0:3], 0 offen
	buffer_load_dword v72, v69, s[0:3], 0 offen offset:4
	ds_read_b64 v[73:74], v68
	v_add_u32_e32 v70, 1, v70
	v_cmp_lt_u32_e32 vcc, 15, v70
	v_add_u32_e32 v68, 8, v68
	s_or_b64 s[10:11], vcc, s[10:11]
	v_add_u32_e32 v69, 8, v69
	s_waitcnt vmcnt(0) lgkmcnt(0)
	v_fma_f64 v[63:64], v[71:72], v[73:74], v[63:64]
	s_andn2_b64 exec, exec, s[10:11]
	s_cbranch_execnz .LBB30_455
; %bb.456:
	s_or_b64 exec, exec, s[10:11]
.LBB30_457:
	s_or_b64 exec, exec, s[8:9]
	v_mov_b32_e32 v68, 0
	ds_read_b64 v[68:69], v68 offset:136
	s_waitcnt lgkmcnt(0)
	v_mul_f64 v[63:64], v[63:64], v[68:69]
	buffer_store_dword v64, off, s[0:3], 0 offset:140
	buffer_store_dword v63, off, s[0:3], 0 offset:136
.LBB30_458:
	s_or_b64 exec, exec, s[6:7]
	buffer_load_dword v63, off, s[0:3], 0 offset:144
	buffer_load_dword v64, off, s[0:3], 0 offset:148
	v_cmp_gt_u32_e32 vcc, 18, v0
	s_waitcnt vmcnt(0)
	ds_write_b64 v66, v[63:64]
	s_waitcnt lgkmcnt(0)
	; wave barrier
	s_and_saveexec_b64 s[6:7], vcc
	s_cbranch_execz .LBB30_468
; %bb.459:
	s_and_b64 vcc, exec, s[4:5]
	s_cbranch_vccnz .LBB30_461
; %bb.460:
	buffer_load_dword v63, v67, s[0:3], 0 offen
	buffer_load_dword v64, v67, s[0:3], 0 offen offset:4
	ds_read_b64 v[68:69], v66
	s_waitcnt vmcnt(0) lgkmcnt(0)
	v_mul_f64 v[63:64], v[63:64], v[68:69]
	s_cbranch_execz .LBB30_462
	s_branch .LBB30_463
.LBB30_461:
                                        ; implicit-def: $vgpr63_vgpr64
.LBB30_462:
	ds_read_b64 v[63:64], v66
.LBB30_463:
	v_cmp_ne_u32_e32 vcc, 17, v0
	s_and_saveexec_b64 s[8:9], vcc
	s_cbranch_execz .LBB30_467
; %bb.464:
	s_mov_b32 s10, 0
	v_add_u32_e32 v68, 0x108, v65
	v_add3_u32 v69, v65, s10, 8
	s_mov_b64 s[10:11], 0
	v_mov_b32_e32 v70, v0
.LBB30_465:                             ; =>This Inner Loop Header: Depth=1
	buffer_load_dword v71, v69, s[0:3], 0 offen
	buffer_load_dword v72, v69, s[0:3], 0 offen offset:4
	ds_read_b64 v[73:74], v68
	v_add_u32_e32 v70, 1, v70
	v_cmp_lt_u32_e32 vcc, 16, v70
	v_add_u32_e32 v68, 8, v68
	s_or_b64 s[10:11], vcc, s[10:11]
	v_add_u32_e32 v69, 8, v69
	s_waitcnt vmcnt(0) lgkmcnt(0)
	v_fma_f64 v[63:64], v[71:72], v[73:74], v[63:64]
	s_andn2_b64 exec, exec, s[10:11]
	s_cbranch_execnz .LBB30_465
; %bb.466:
	s_or_b64 exec, exec, s[10:11]
.LBB30_467:
	s_or_b64 exec, exec, s[8:9]
	v_mov_b32_e32 v68, 0
	ds_read_b64 v[68:69], v68 offset:144
	s_waitcnt lgkmcnt(0)
	v_mul_f64 v[63:64], v[63:64], v[68:69]
	buffer_store_dword v64, off, s[0:3], 0 offset:148
	buffer_store_dword v63, off, s[0:3], 0 offset:144
.LBB30_468:
	s_or_b64 exec, exec, s[6:7]
	buffer_load_dword v63, off, s[0:3], 0 offset:152
	buffer_load_dword v64, off, s[0:3], 0 offset:156
	v_cmp_gt_u32_e32 vcc, 19, v0
	s_waitcnt vmcnt(0)
	ds_write_b64 v66, v[63:64]
	s_waitcnt lgkmcnt(0)
	; wave barrier
	s_and_saveexec_b64 s[6:7], vcc
	s_cbranch_execz .LBB30_478
; %bb.469:
	s_and_b64 vcc, exec, s[4:5]
	s_cbranch_vccnz .LBB30_471
; %bb.470:
	buffer_load_dword v63, v67, s[0:3], 0 offen
	buffer_load_dword v64, v67, s[0:3], 0 offen offset:4
	ds_read_b64 v[68:69], v66
	s_waitcnt vmcnt(0) lgkmcnt(0)
	v_mul_f64 v[63:64], v[63:64], v[68:69]
	s_cbranch_execz .LBB30_472
	s_branch .LBB30_473
.LBB30_471:
                                        ; implicit-def: $vgpr63_vgpr64
.LBB30_472:
	ds_read_b64 v[63:64], v66
.LBB30_473:
	v_cmp_ne_u32_e32 vcc, 18, v0
	s_and_saveexec_b64 s[8:9], vcc
	s_cbranch_execz .LBB30_477
; %bb.474:
	s_mov_b32 s10, 0
	v_add_u32_e32 v68, 0x108, v65
	v_add3_u32 v69, v65, s10, 8
	s_mov_b64 s[10:11], 0
	v_mov_b32_e32 v70, v0
.LBB30_475:                             ; =>This Inner Loop Header: Depth=1
	buffer_load_dword v71, v69, s[0:3], 0 offen
	buffer_load_dword v72, v69, s[0:3], 0 offen offset:4
	ds_read_b64 v[73:74], v68
	v_add_u32_e32 v70, 1, v70
	v_cmp_lt_u32_e32 vcc, 17, v70
	v_add_u32_e32 v68, 8, v68
	s_or_b64 s[10:11], vcc, s[10:11]
	v_add_u32_e32 v69, 8, v69
	s_waitcnt vmcnt(0) lgkmcnt(0)
	v_fma_f64 v[63:64], v[71:72], v[73:74], v[63:64]
	s_andn2_b64 exec, exec, s[10:11]
	s_cbranch_execnz .LBB30_475
; %bb.476:
	s_or_b64 exec, exec, s[10:11]
.LBB30_477:
	s_or_b64 exec, exec, s[8:9]
	v_mov_b32_e32 v68, 0
	ds_read_b64 v[68:69], v68 offset:152
	s_waitcnt lgkmcnt(0)
	v_mul_f64 v[63:64], v[63:64], v[68:69]
	buffer_store_dword v64, off, s[0:3], 0 offset:156
	buffer_store_dword v63, off, s[0:3], 0 offset:152
.LBB30_478:
	s_or_b64 exec, exec, s[6:7]
	buffer_load_dword v63, off, s[0:3], 0 offset:160
	buffer_load_dword v64, off, s[0:3], 0 offset:164
	v_cmp_gt_u32_e32 vcc, 20, v0
	s_waitcnt vmcnt(0)
	ds_write_b64 v66, v[63:64]
	s_waitcnt lgkmcnt(0)
	; wave barrier
	s_and_saveexec_b64 s[6:7], vcc
	s_cbranch_execz .LBB30_488
; %bb.479:
	s_and_b64 vcc, exec, s[4:5]
	s_cbranch_vccnz .LBB30_481
; %bb.480:
	buffer_load_dword v63, v67, s[0:3], 0 offen
	buffer_load_dword v64, v67, s[0:3], 0 offen offset:4
	ds_read_b64 v[68:69], v66
	s_waitcnt vmcnt(0) lgkmcnt(0)
	v_mul_f64 v[63:64], v[63:64], v[68:69]
	s_cbranch_execz .LBB30_482
	s_branch .LBB30_483
.LBB30_481:
                                        ; implicit-def: $vgpr63_vgpr64
.LBB30_482:
	ds_read_b64 v[63:64], v66
.LBB30_483:
	v_cmp_ne_u32_e32 vcc, 19, v0
	s_and_saveexec_b64 s[8:9], vcc
	s_cbranch_execz .LBB30_487
; %bb.484:
	s_mov_b32 s10, 0
	v_add_u32_e32 v68, 0x108, v65
	v_add3_u32 v69, v65, s10, 8
	s_mov_b64 s[10:11], 0
	v_mov_b32_e32 v70, v0
.LBB30_485:                             ; =>This Inner Loop Header: Depth=1
	buffer_load_dword v71, v69, s[0:3], 0 offen
	buffer_load_dword v72, v69, s[0:3], 0 offen offset:4
	ds_read_b64 v[73:74], v68
	v_add_u32_e32 v70, 1, v70
	v_cmp_lt_u32_e32 vcc, 18, v70
	v_add_u32_e32 v68, 8, v68
	s_or_b64 s[10:11], vcc, s[10:11]
	v_add_u32_e32 v69, 8, v69
	s_waitcnt vmcnt(0) lgkmcnt(0)
	v_fma_f64 v[63:64], v[71:72], v[73:74], v[63:64]
	s_andn2_b64 exec, exec, s[10:11]
	s_cbranch_execnz .LBB30_485
; %bb.486:
	s_or_b64 exec, exec, s[10:11]
.LBB30_487:
	s_or_b64 exec, exec, s[8:9]
	v_mov_b32_e32 v68, 0
	ds_read_b64 v[68:69], v68 offset:160
	s_waitcnt lgkmcnt(0)
	v_mul_f64 v[63:64], v[63:64], v[68:69]
	buffer_store_dword v64, off, s[0:3], 0 offset:164
	buffer_store_dword v63, off, s[0:3], 0 offset:160
.LBB30_488:
	s_or_b64 exec, exec, s[6:7]
	buffer_load_dword v63, off, s[0:3], 0 offset:168
	buffer_load_dword v64, off, s[0:3], 0 offset:172
	v_cmp_gt_u32_e32 vcc, 21, v0
	s_waitcnt vmcnt(0)
	ds_write_b64 v66, v[63:64]
	s_waitcnt lgkmcnt(0)
	; wave barrier
	s_and_saveexec_b64 s[6:7], vcc
	s_cbranch_execz .LBB30_498
; %bb.489:
	s_and_b64 vcc, exec, s[4:5]
	s_cbranch_vccnz .LBB30_491
; %bb.490:
	buffer_load_dword v63, v67, s[0:3], 0 offen
	buffer_load_dword v64, v67, s[0:3], 0 offen offset:4
	ds_read_b64 v[68:69], v66
	s_waitcnt vmcnt(0) lgkmcnt(0)
	v_mul_f64 v[63:64], v[63:64], v[68:69]
	s_cbranch_execz .LBB30_492
	s_branch .LBB30_493
.LBB30_491:
                                        ; implicit-def: $vgpr63_vgpr64
.LBB30_492:
	ds_read_b64 v[63:64], v66
.LBB30_493:
	v_cmp_ne_u32_e32 vcc, 20, v0
	s_and_saveexec_b64 s[8:9], vcc
	s_cbranch_execz .LBB30_497
; %bb.494:
	s_mov_b32 s10, 0
	v_add_u32_e32 v68, 0x108, v65
	v_add3_u32 v69, v65, s10, 8
	s_mov_b64 s[10:11], 0
	v_mov_b32_e32 v70, v0
.LBB30_495:                             ; =>This Inner Loop Header: Depth=1
	buffer_load_dword v71, v69, s[0:3], 0 offen
	buffer_load_dword v72, v69, s[0:3], 0 offen offset:4
	ds_read_b64 v[73:74], v68
	v_add_u32_e32 v70, 1, v70
	v_cmp_lt_u32_e32 vcc, 19, v70
	v_add_u32_e32 v68, 8, v68
	s_or_b64 s[10:11], vcc, s[10:11]
	v_add_u32_e32 v69, 8, v69
	s_waitcnt vmcnt(0) lgkmcnt(0)
	v_fma_f64 v[63:64], v[71:72], v[73:74], v[63:64]
	s_andn2_b64 exec, exec, s[10:11]
	s_cbranch_execnz .LBB30_495
; %bb.496:
	s_or_b64 exec, exec, s[10:11]
.LBB30_497:
	s_or_b64 exec, exec, s[8:9]
	v_mov_b32_e32 v68, 0
	ds_read_b64 v[68:69], v68 offset:168
	s_waitcnt lgkmcnt(0)
	v_mul_f64 v[63:64], v[63:64], v[68:69]
	buffer_store_dword v64, off, s[0:3], 0 offset:172
	buffer_store_dword v63, off, s[0:3], 0 offset:168
.LBB30_498:
	s_or_b64 exec, exec, s[6:7]
	buffer_load_dword v63, off, s[0:3], 0 offset:176
	buffer_load_dword v64, off, s[0:3], 0 offset:180
	v_cmp_gt_u32_e32 vcc, 22, v0
	s_waitcnt vmcnt(0)
	ds_write_b64 v66, v[63:64]
	s_waitcnt lgkmcnt(0)
	; wave barrier
	s_and_saveexec_b64 s[6:7], vcc
	s_cbranch_execz .LBB30_508
; %bb.499:
	s_and_b64 vcc, exec, s[4:5]
	s_cbranch_vccnz .LBB30_501
; %bb.500:
	buffer_load_dword v63, v67, s[0:3], 0 offen
	buffer_load_dword v64, v67, s[0:3], 0 offen offset:4
	ds_read_b64 v[68:69], v66
	s_waitcnt vmcnt(0) lgkmcnt(0)
	v_mul_f64 v[63:64], v[63:64], v[68:69]
	s_cbranch_execz .LBB30_502
	s_branch .LBB30_503
.LBB30_501:
                                        ; implicit-def: $vgpr63_vgpr64
.LBB30_502:
	ds_read_b64 v[63:64], v66
.LBB30_503:
	v_cmp_ne_u32_e32 vcc, 21, v0
	s_and_saveexec_b64 s[8:9], vcc
	s_cbranch_execz .LBB30_507
; %bb.504:
	s_mov_b32 s10, 0
	v_add_u32_e32 v68, 0x108, v65
	v_add3_u32 v69, v65, s10, 8
	s_mov_b64 s[10:11], 0
	v_mov_b32_e32 v70, v0
.LBB30_505:                             ; =>This Inner Loop Header: Depth=1
	buffer_load_dword v71, v69, s[0:3], 0 offen
	buffer_load_dword v72, v69, s[0:3], 0 offen offset:4
	ds_read_b64 v[73:74], v68
	v_add_u32_e32 v70, 1, v70
	v_cmp_lt_u32_e32 vcc, 20, v70
	v_add_u32_e32 v68, 8, v68
	s_or_b64 s[10:11], vcc, s[10:11]
	v_add_u32_e32 v69, 8, v69
	s_waitcnt vmcnt(0) lgkmcnt(0)
	v_fma_f64 v[63:64], v[71:72], v[73:74], v[63:64]
	s_andn2_b64 exec, exec, s[10:11]
	s_cbranch_execnz .LBB30_505
; %bb.506:
	s_or_b64 exec, exec, s[10:11]
.LBB30_507:
	s_or_b64 exec, exec, s[8:9]
	v_mov_b32_e32 v68, 0
	ds_read_b64 v[68:69], v68 offset:176
	s_waitcnt lgkmcnt(0)
	v_mul_f64 v[63:64], v[63:64], v[68:69]
	buffer_store_dword v64, off, s[0:3], 0 offset:180
	buffer_store_dword v63, off, s[0:3], 0 offset:176
.LBB30_508:
	s_or_b64 exec, exec, s[6:7]
	buffer_load_dword v63, off, s[0:3], 0 offset:184
	buffer_load_dword v64, off, s[0:3], 0 offset:188
	v_cmp_gt_u32_e32 vcc, 23, v0
	s_waitcnt vmcnt(0)
	ds_write_b64 v66, v[63:64]
	s_waitcnt lgkmcnt(0)
	; wave barrier
	s_and_saveexec_b64 s[6:7], vcc
	s_cbranch_execz .LBB30_518
; %bb.509:
	s_and_b64 vcc, exec, s[4:5]
	s_cbranch_vccnz .LBB30_511
; %bb.510:
	buffer_load_dword v63, v67, s[0:3], 0 offen
	buffer_load_dword v64, v67, s[0:3], 0 offen offset:4
	ds_read_b64 v[68:69], v66
	s_waitcnt vmcnt(0) lgkmcnt(0)
	v_mul_f64 v[63:64], v[63:64], v[68:69]
	s_cbranch_execz .LBB30_512
	s_branch .LBB30_513
.LBB30_511:
                                        ; implicit-def: $vgpr63_vgpr64
.LBB30_512:
	ds_read_b64 v[63:64], v66
.LBB30_513:
	v_cmp_ne_u32_e32 vcc, 22, v0
	s_and_saveexec_b64 s[8:9], vcc
	s_cbranch_execz .LBB30_517
; %bb.514:
	s_mov_b32 s10, 0
	v_add_u32_e32 v68, 0x108, v65
	v_add3_u32 v69, v65, s10, 8
	s_mov_b64 s[10:11], 0
	v_mov_b32_e32 v70, v0
.LBB30_515:                             ; =>This Inner Loop Header: Depth=1
	buffer_load_dword v71, v69, s[0:3], 0 offen
	buffer_load_dword v72, v69, s[0:3], 0 offen offset:4
	ds_read_b64 v[73:74], v68
	v_add_u32_e32 v70, 1, v70
	v_cmp_lt_u32_e32 vcc, 21, v70
	v_add_u32_e32 v68, 8, v68
	s_or_b64 s[10:11], vcc, s[10:11]
	v_add_u32_e32 v69, 8, v69
	s_waitcnt vmcnt(0) lgkmcnt(0)
	v_fma_f64 v[63:64], v[71:72], v[73:74], v[63:64]
	s_andn2_b64 exec, exec, s[10:11]
	s_cbranch_execnz .LBB30_515
; %bb.516:
	s_or_b64 exec, exec, s[10:11]
.LBB30_517:
	s_or_b64 exec, exec, s[8:9]
	v_mov_b32_e32 v68, 0
	ds_read_b64 v[68:69], v68 offset:184
	s_waitcnt lgkmcnt(0)
	v_mul_f64 v[63:64], v[63:64], v[68:69]
	buffer_store_dword v64, off, s[0:3], 0 offset:188
	buffer_store_dword v63, off, s[0:3], 0 offset:184
.LBB30_518:
	s_or_b64 exec, exec, s[6:7]
	buffer_load_dword v63, off, s[0:3], 0 offset:192
	buffer_load_dword v64, off, s[0:3], 0 offset:196
	v_cmp_gt_u32_e32 vcc, 24, v0
	s_waitcnt vmcnt(0)
	ds_write_b64 v66, v[63:64]
	s_waitcnt lgkmcnt(0)
	; wave barrier
	s_and_saveexec_b64 s[6:7], vcc
	s_cbranch_execz .LBB30_528
; %bb.519:
	s_and_b64 vcc, exec, s[4:5]
	s_cbranch_vccnz .LBB30_521
; %bb.520:
	buffer_load_dword v63, v67, s[0:3], 0 offen
	buffer_load_dword v64, v67, s[0:3], 0 offen offset:4
	ds_read_b64 v[68:69], v66
	s_waitcnt vmcnt(0) lgkmcnt(0)
	v_mul_f64 v[63:64], v[63:64], v[68:69]
	s_cbranch_execz .LBB30_522
	s_branch .LBB30_523
.LBB30_521:
                                        ; implicit-def: $vgpr63_vgpr64
.LBB30_522:
	ds_read_b64 v[63:64], v66
.LBB30_523:
	v_cmp_ne_u32_e32 vcc, 23, v0
	s_and_saveexec_b64 s[8:9], vcc
	s_cbranch_execz .LBB30_527
; %bb.524:
	s_mov_b32 s10, 0
	v_add_u32_e32 v68, 0x108, v65
	v_add3_u32 v69, v65, s10, 8
	s_mov_b64 s[10:11], 0
	v_mov_b32_e32 v70, v0
.LBB30_525:                             ; =>This Inner Loop Header: Depth=1
	buffer_load_dword v71, v69, s[0:3], 0 offen
	buffer_load_dword v72, v69, s[0:3], 0 offen offset:4
	ds_read_b64 v[73:74], v68
	v_add_u32_e32 v70, 1, v70
	v_cmp_lt_u32_e32 vcc, 22, v70
	v_add_u32_e32 v68, 8, v68
	s_or_b64 s[10:11], vcc, s[10:11]
	v_add_u32_e32 v69, 8, v69
	s_waitcnt vmcnt(0) lgkmcnt(0)
	v_fma_f64 v[63:64], v[71:72], v[73:74], v[63:64]
	s_andn2_b64 exec, exec, s[10:11]
	s_cbranch_execnz .LBB30_525
; %bb.526:
	s_or_b64 exec, exec, s[10:11]
.LBB30_527:
	s_or_b64 exec, exec, s[8:9]
	v_mov_b32_e32 v68, 0
	ds_read_b64 v[68:69], v68 offset:192
	s_waitcnt lgkmcnt(0)
	v_mul_f64 v[63:64], v[63:64], v[68:69]
	buffer_store_dword v64, off, s[0:3], 0 offset:196
	buffer_store_dword v63, off, s[0:3], 0 offset:192
.LBB30_528:
	s_or_b64 exec, exec, s[6:7]
	buffer_load_dword v63, off, s[0:3], 0 offset:200
	buffer_load_dword v64, off, s[0:3], 0 offset:204
	v_cmp_gt_u32_e32 vcc, 25, v0
	s_waitcnt vmcnt(0)
	ds_write_b64 v66, v[63:64]
	s_waitcnt lgkmcnt(0)
	; wave barrier
	s_and_saveexec_b64 s[6:7], vcc
	s_cbranch_execz .LBB30_538
; %bb.529:
	s_and_b64 vcc, exec, s[4:5]
	s_cbranch_vccnz .LBB30_531
; %bb.530:
	buffer_load_dword v63, v67, s[0:3], 0 offen
	buffer_load_dword v64, v67, s[0:3], 0 offen offset:4
	ds_read_b64 v[68:69], v66
	s_waitcnt vmcnt(0) lgkmcnt(0)
	v_mul_f64 v[63:64], v[63:64], v[68:69]
	s_cbranch_execz .LBB30_532
	s_branch .LBB30_533
.LBB30_531:
                                        ; implicit-def: $vgpr63_vgpr64
.LBB30_532:
	ds_read_b64 v[63:64], v66
.LBB30_533:
	v_cmp_ne_u32_e32 vcc, 24, v0
	s_and_saveexec_b64 s[8:9], vcc
	s_cbranch_execz .LBB30_537
; %bb.534:
	s_mov_b32 s10, 0
	v_add_u32_e32 v68, 0x108, v65
	v_add3_u32 v69, v65, s10, 8
	s_mov_b64 s[10:11], 0
	v_mov_b32_e32 v70, v0
.LBB30_535:                             ; =>This Inner Loop Header: Depth=1
	buffer_load_dword v71, v69, s[0:3], 0 offen
	buffer_load_dword v72, v69, s[0:3], 0 offen offset:4
	ds_read_b64 v[73:74], v68
	v_add_u32_e32 v70, 1, v70
	v_cmp_lt_u32_e32 vcc, 23, v70
	v_add_u32_e32 v68, 8, v68
	s_or_b64 s[10:11], vcc, s[10:11]
	v_add_u32_e32 v69, 8, v69
	s_waitcnt vmcnt(0) lgkmcnt(0)
	v_fma_f64 v[63:64], v[71:72], v[73:74], v[63:64]
	s_andn2_b64 exec, exec, s[10:11]
	s_cbranch_execnz .LBB30_535
; %bb.536:
	s_or_b64 exec, exec, s[10:11]
.LBB30_537:
	s_or_b64 exec, exec, s[8:9]
	v_mov_b32_e32 v68, 0
	ds_read_b64 v[68:69], v68 offset:200
	s_waitcnt lgkmcnt(0)
	v_mul_f64 v[63:64], v[63:64], v[68:69]
	buffer_store_dword v64, off, s[0:3], 0 offset:204
	buffer_store_dword v63, off, s[0:3], 0 offset:200
.LBB30_538:
	s_or_b64 exec, exec, s[6:7]
	buffer_load_dword v63, off, s[0:3], 0 offset:208
	buffer_load_dword v64, off, s[0:3], 0 offset:212
	v_cmp_gt_u32_e32 vcc, 26, v0
	s_waitcnt vmcnt(0)
	ds_write_b64 v66, v[63:64]
	s_waitcnt lgkmcnt(0)
	; wave barrier
	s_and_saveexec_b64 s[6:7], vcc
	s_cbranch_execz .LBB30_548
; %bb.539:
	s_and_b64 vcc, exec, s[4:5]
	s_cbranch_vccnz .LBB30_541
; %bb.540:
	buffer_load_dword v63, v67, s[0:3], 0 offen
	buffer_load_dword v64, v67, s[0:3], 0 offen offset:4
	ds_read_b64 v[68:69], v66
	s_waitcnt vmcnt(0) lgkmcnt(0)
	v_mul_f64 v[63:64], v[63:64], v[68:69]
	s_cbranch_execz .LBB30_542
	s_branch .LBB30_543
.LBB30_541:
                                        ; implicit-def: $vgpr63_vgpr64
.LBB30_542:
	ds_read_b64 v[63:64], v66
.LBB30_543:
	v_cmp_ne_u32_e32 vcc, 25, v0
	s_and_saveexec_b64 s[8:9], vcc
	s_cbranch_execz .LBB30_547
; %bb.544:
	s_mov_b32 s10, 0
	v_add_u32_e32 v68, 0x108, v65
	v_add3_u32 v69, v65, s10, 8
	s_mov_b64 s[10:11], 0
	v_mov_b32_e32 v70, v0
.LBB30_545:                             ; =>This Inner Loop Header: Depth=1
	buffer_load_dword v71, v69, s[0:3], 0 offen
	buffer_load_dword v72, v69, s[0:3], 0 offen offset:4
	ds_read_b64 v[73:74], v68
	v_add_u32_e32 v70, 1, v70
	v_cmp_lt_u32_e32 vcc, 24, v70
	v_add_u32_e32 v68, 8, v68
	s_or_b64 s[10:11], vcc, s[10:11]
	v_add_u32_e32 v69, 8, v69
	s_waitcnt vmcnt(0) lgkmcnt(0)
	v_fma_f64 v[63:64], v[71:72], v[73:74], v[63:64]
	s_andn2_b64 exec, exec, s[10:11]
	s_cbranch_execnz .LBB30_545
; %bb.546:
	s_or_b64 exec, exec, s[10:11]
.LBB30_547:
	s_or_b64 exec, exec, s[8:9]
	v_mov_b32_e32 v68, 0
	ds_read_b64 v[68:69], v68 offset:208
	s_waitcnt lgkmcnt(0)
	v_mul_f64 v[63:64], v[63:64], v[68:69]
	buffer_store_dword v64, off, s[0:3], 0 offset:212
	buffer_store_dword v63, off, s[0:3], 0 offset:208
.LBB30_548:
	s_or_b64 exec, exec, s[6:7]
	buffer_load_dword v63, off, s[0:3], 0 offset:216
	buffer_load_dword v64, off, s[0:3], 0 offset:220
	v_cmp_gt_u32_e32 vcc, 27, v0
	s_waitcnt vmcnt(0)
	ds_write_b64 v66, v[63:64]
	s_waitcnt lgkmcnt(0)
	; wave barrier
	s_and_saveexec_b64 s[6:7], vcc
	s_cbranch_execz .LBB30_558
; %bb.549:
	s_and_b64 vcc, exec, s[4:5]
	s_cbranch_vccnz .LBB30_551
; %bb.550:
	buffer_load_dword v63, v67, s[0:3], 0 offen
	buffer_load_dword v64, v67, s[0:3], 0 offen offset:4
	ds_read_b64 v[68:69], v66
	s_waitcnt vmcnt(0) lgkmcnt(0)
	v_mul_f64 v[63:64], v[63:64], v[68:69]
	s_cbranch_execz .LBB30_552
	s_branch .LBB30_553
.LBB30_551:
                                        ; implicit-def: $vgpr63_vgpr64
.LBB30_552:
	ds_read_b64 v[63:64], v66
.LBB30_553:
	v_cmp_ne_u32_e32 vcc, 26, v0
	s_and_saveexec_b64 s[8:9], vcc
	s_cbranch_execz .LBB30_557
; %bb.554:
	s_mov_b32 s10, 0
	v_add_u32_e32 v68, 0x108, v65
	v_add3_u32 v69, v65, s10, 8
	s_mov_b64 s[10:11], 0
	v_mov_b32_e32 v70, v0
.LBB30_555:                             ; =>This Inner Loop Header: Depth=1
	buffer_load_dword v71, v69, s[0:3], 0 offen
	buffer_load_dword v72, v69, s[0:3], 0 offen offset:4
	ds_read_b64 v[73:74], v68
	v_add_u32_e32 v70, 1, v70
	v_cmp_lt_u32_e32 vcc, 25, v70
	v_add_u32_e32 v68, 8, v68
	s_or_b64 s[10:11], vcc, s[10:11]
	v_add_u32_e32 v69, 8, v69
	s_waitcnt vmcnt(0) lgkmcnt(0)
	v_fma_f64 v[63:64], v[71:72], v[73:74], v[63:64]
	s_andn2_b64 exec, exec, s[10:11]
	s_cbranch_execnz .LBB30_555
; %bb.556:
	s_or_b64 exec, exec, s[10:11]
.LBB30_557:
	s_or_b64 exec, exec, s[8:9]
	v_mov_b32_e32 v68, 0
	ds_read_b64 v[68:69], v68 offset:216
	s_waitcnt lgkmcnt(0)
	v_mul_f64 v[63:64], v[63:64], v[68:69]
	buffer_store_dword v64, off, s[0:3], 0 offset:220
	buffer_store_dword v63, off, s[0:3], 0 offset:216
.LBB30_558:
	s_or_b64 exec, exec, s[6:7]
	buffer_load_dword v63, off, s[0:3], 0 offset:224
	buffer_load_dword v64, off, s[0:3], 0 offset:228
	v_cmp_gt_u32_e32 vcc, 28, v0
	s_waitcnt vmcnt(0)
	ds_write_b64 v66, v[63:64]
	s_waitcnt lgkmcnt(0)
	; wave barrier
	s_and_saveexec_b64 s[6:7], vcc
	s_cbranch_execz .LBB30_568
; %bb.559:
	s_and_b64 vcc, exec, s[4:5]
	s_cbranch_vccnz .LBB30_561
; %bb.560:
	buffer_load_dword v63, v67, s[0:3], 0 offen
	buffer_load_dword v64, v67, s[0:3], 0 offen offset:4
	ds_read_b64 v[68:69], v66
	s_waitcnt vmcnt(0) lgkmcnt(0)
	v_mul_f64 v[63:64], v[63:64], v[68:69]
	s_cbranch_execz .LBB30_562
	s_branch .LBB30_563
.LBB30_561:
                                        ; implicit-def: $vgpr63_vgpr64
.LBB30_562:
	ds_read_b64 v[63:64], v66
.LBB30_563:
	v_cmp_ne_u32_e32 vcc, 27, v0
	s_and_saveexec_b64 s[8:9], vcc
	s_cbranch_execz .LBB30_567
; %bb.564:
	s_mov_b32 s10, 0
	v_add_u32_e32 v68, 0x108, v65
	v_add3_u32 v69, v65, s10, 8
	s_mov_b64 s[10:11], 0
	v_mov_b32_e32 v70, v0
.LBB30_565:                             ; =>This Inner Loop Header: Depth=1
	buffer_load_dword v71, v69, s[0:3], 0 offen
	buffer_load_dword v72, v69, s[0:3], 0 offen offset:4
	ds_read_b64 v[73:74], v68
	v_add_u32_e32 v70, 1, v70
	v_cmp_lt_u32_e32 vcc, 26, v70
	v_add_u32_e32 v68, 8, v68
	s_or_b64 s[10:11], vcc, s[10:11]
	v_add_u32_e32 v69, 8, v69
	s_waitcnt vmcnt(0) lgkmcnt(0)
	v_fma_f64 v[63:64], v[71:72], v[73:74], v[63:64]
	s_andn2_b64 exec, exec, s[10:11]
	s_cbranch_execnz .LBB30_565
; %bb.566:
	s_or_b64 exec, exec, s[10:11]
.LBB30_567:
	s_or_b64 exec, exec, s[8:9]
	v_mov_b32_e32 v68, 0
	ds_read_b64 v[68:69], v68 offset:224
	s_waitcnt lgkmcnt(0)
	v_mul_f64 v[63:64], v[63:64], v[68:69]
	buffer_store_dword v64, off, s[0:3], 0 offset:228
	buffer_store_dword v63, off, s[0:3], 0 offset:224
.LBB30_568:
	s_or_b64 exec, exec, s[6:7]
	buffer_load_dword v63, off, s[0:3], 0 offset:232
	buffer_load_dword v64, off, s[0:3], 0 offset:236
	v_cmp_gt_u32_e64 s[6:7], 29, v0
	s_waitcnt vmcnt(0)
	ds_write_b64 v66, v[63:64]
	s_waitcnt lgkmcnt(0)
	; wave barrier
	s_and_saveexec_b64 s[8:9], s[6:7]
	s_cbranch_execz .LBB30_578
; %bb.569:
	s_and_b64 vcc, exec, s[4:5]
	s_cbranch_vccnz .LBB30_571
; %bb.570:
	buffer_load_dword v63, v67, s[0:3], 0 offen
	buffer_load_dword v64, v67, s[0:3], 0 offen offset:4
	ds_read_b64 v[68:69], v66
	s_waitcnt vmcnt(0) lgkmcnt(0)
	v_mul_f64 v[63:64], v[63:64], v[68:69]
	s_cbranch_execz .LBB30_572
	s_branch .LBB30_573
.LBB30_571:
                                        ; implicit-def: $vgpr63_vgpr64
.LBB30_572:
	ds_read_b64 v[63:64], v66
.LBB30_573:
	v_cmp_ne_u32_e32 vcc, 28, v0
	s_and_saveexec_b64 s[10:11], vcc
	s_cbranch_execz .LBB30_577
; %bb.574:
	s_mov_b32 s12, 0
	v_add_u32_e32 v68, 0x108, v65
	v_add3_u32 v69, v65, s12, 8
	s_mov_b64 s[12:13], 0
	v_mov_b32_e32 v70, v0
.LBB30_575:                             ; =>This Inner Loop Header: Depth=1
	buffer_load_dword v71, v69, s[0:3], 0 offen
	buffer_load_dword v72, v69, s[0:3], 0 offen offset:4
	ds_read_b64 v[73:74], v68
	v_add_u32_e32 v70, 1, v70
	v_cmp_lt_u32_e32 vcc, 27, v70
	v_add_u32_e32 v68, 8, v68
	s_or_b64 s[12:13], vcc, s[12:13]
	v_add_u32_e32 v69, 8, v69
	s_waitcnt vmcnt(0) lgkmcnt(0)
	v_fma_f64 v[63:64], v[71:72], v[73:74], v[63:64]
	s_andn2_b64 exec, exec, s[12:13]
	s_cbranch_execnz .LBB30_575
; %bb.576:
	s_or_b64 exec, exec, s[12:13]
.LBB30_577:
	s_or_b64 exec, exec, s[10:11]
	v_mov_b32_e32 v68, 0
	ds_read_b64 v[68:69], v68 offset:232
	s_waitcnt lgkmcnt(0)
	v_mul_f64 v[63:64], v[63:64], v[68:69]
	buffer_store_dword v64, off, s[0:3], 0 offset:236
	buffer_store_dword v63, off, s[0:3], 0 offset:232
.LBB30_578:
	s_or_b64 exec, exec, s[8:9]
	buffer_load_dword v63, off, s[0:3], 0 offset:240
	buffer_load_dword v64, off, s[0:3], 0 offset:244
	v_cmp_ne_u32_e32 vcc, 30, v0
	s_waitcnt vmcnt(0)
	ds_write_b64 v66, v[63:64]
	s_waitcnt lgkmcnt(0)
	; wave barrier
	s_and_saveexec_b64 s[8:9], vcc
	s_cbranch_execz .LBB30_588
; %bb.579:
	s_and_b64 vcc, exec, s[4:5]
	s_cbranch_vccnz .LBB30_581
; %bb.580:
	buffer_load_dword v63, v67, s[0:3], 0 offen
	buffer_load_dword v64, v67, s[0:3], 0 offen offset:4
	ds_read_b64 v[67:68], v66
	s_waitcnt vmcnt(0) lgkmcnt(0)
	v_mul_f64 v[63:64], v[63:64], v[67:68]
	s_cbranch_execz .LBB30_582
	s_branch .LBB30_583
.LBB30_581:
                                        ; implicit-def: $vgpr63_vgpr64
.LBB30_582:
	ds_read_b64 v[63:64], v66
.LBB30_583:
	s_and_saveexec_b64 s[4:5], s[6:7]
	s_cbranch_execz .LBB30_587
; %bb.584:
	s_mov_b32 s6, 0
	v_add_u32_e32 v66, 0x108, v65
	v_add3_u32 v65, v65, s6, 8
	s_mov_b64 s[6:7], 0
.LBB30_585:                             ; =>This Inner Loop Header: Depth=1
	buffer_load_dword v67, v65, s[0:3], 0 offen
	buffer_load_dword v68, v65, s[0:3], 0 offen offset:4
	ds_read_b64 v[69:70], v66
	v_add_u32_e32 v0, 1, v0
	v_cmp_lt_u32_e32 vcc, 28, v0
	v_add_u32_e32 v66, 8, v66
	s_or_b64 s[6:7], vcc, s[6:7]
	v_add_u32_e32 v65, 8, v65
	s_waitcnt vmcnt(0) lgkmcnt(0)
	v_fma_f64 v[63:64], v[67:68], v[69:70], v[63:64]
	s_andn2_b64 exec, exec, s[6:7]
	s_cbranch_execnz .LBB30_585
; %bb.586:
	s_or_b64 exec, exec, s[6:7]
.LBB30_587:
	s_or_b64 exec, exec, s[4:5]
	v_mov_b32_e32 v0, 0
	ds_read_b64 v[65:66], v0 offset:240
	s_waitcnt lgkmcnt(0)
	v_mul_f64 v[63:64], v[63:64], v[65:66]
	buffer_store_dword v64, off, s[0:3], 0 offset:244
	buffer_store_dword v63, off, s[0:3], 0 offset:240
.LBB30_588:
	s_or_b64 exec, exec, s[8:9]
.LBB30_589:
	buffer_load_dword v63, off, s[0:3], 0
	buffer_load_dword v64, off, s[0:3], 0 offset:4
	buffer_load_dword v65, off, s[0:3], 0 offset:8
	;; [unrolled: 1-line block ×15, first 2 shown]
	s_waitcnt vmcnt(14)
	global_store_dwordx2 v[59:60], v[63:64], off
	s_waitcnt vmcnt(13)
	global_store_dwordx2 v[61:62], v[65:66], off
	buffer_load_dword v60, off, s[0:3], 0 offset:68
	s_nop 0
	buffer_load_dword v61, off, s[0:3], 0 offset:72
	buffer_load_dword v62, off, s[0:3], 0 offset:76
	;; [unrolled: 1-line block ×7, first 2 shown]
	s_waitcnt vmcnt(20)
	global_store_dwordx2 v[1:2], v[67:68], off
	s_waitcnt vmcnt(19)
	global_store_dwordx2 v[7:8], v[69:70], off
	buffer_load_dword v0, off, s[0:3], 0 offset:96
	buffer_load_dword v1, off, s[0:3], 0 offset:100
	s_nop 0
	buffer_load_dword v7, off, s[0:3], 0 offset:104
	buffer_load_dword v8, off, s[0:3], 0 offset:108
	buffer_load_dword v67, off, s[0:3], 0 offset:112
	buffer_load_dword v68, off, s[0:3], 0 offset:116
	buffer_load_dword v69, off, s[0:3], 0 offset:120
	buffer_load_dword v70, off, s[0:3], 0 offset:124
	s_waitcnt vmcnt(26)
	global_store_dwordx2 v[3:4], v[71:72], off
	s_waitcnt vmcnt(25)
	global_store_dwordx2 v[11:12], v[73:74], off
	buffer_load_dword v2, off, s[0:3], 0 offset:128
	buffer_load_dword v3, off, s[0:3], 0 offset:132
	s_nop 0
	buffer_load_dword v11, off, s[0:3], 0 offset:136
	buffer_load_dword v12, off, s[0:3], 0 offset:140
	buffer_load_dword v71, off, s[0:3], 0 offset:144
	buffer_load_dword v72, off, s[0:3], 0 offset:148
	buffer_load_dword v73, off, s[0:3], 0 offset:152
	buffer_load_dword v74, off, s[0:3], 0 offset:156
	;; [unrolled: 13-line block ×3, first 2 shown]
	s_waitcnt vmcnt(30)
	global_store_dwordx2 v[9:10], v[59:60], off
	global_store_dwordx2 v[19:20], v[61:62], off
	buffer_load_dword v9, off, s[0:3], 0 offset:192
	s_nop 0
	buffer_load_dword v10, off, s[0:3], 0 offset:196
	buffer_load_dword v19, off, s[0:3], 0 offset:200
	;; [unrolled: 1-line block ×7, first 2 shown]
	s_nop 0
	global_store_dwordx2 v[17:18], v[63:64], off
	buffer_load_dword v17, off, s[0:3], 0 offset:224
	s_nop 0
	buffer_load_dword v18, off, s[0:3], 0 offset:228
	buffer_load_dword v63, off, s[0:3], 0 offset:232
	;; [unrolled: 1-line block ×5, first 2 shown]
	s_nop 0
	global_store_dwordx2 v[13:14], v[65:66], off
	s_waitcnt vmcnt(44)
	global_store_dwordx2 v[21:22], v[0:1], off
	s_waitcnt vmcnt(43)
	global_store_dwordx2 v[23:24], v[7:8], off
	s_waitcnt vmcnt(42)
	global_store_dwordx2 v[25:26], v[67:68], off
	s_waitcnt vmcnt(41)
	global_store_dwordx2 v[27:28], v[69:70], off
	s_waitcnt vmcnt(38)
	global_store_dwordx2 v[29:30], v[2:3], off
	s_waitcnt vmcnt(37)
	global_store_dwordx2 v[31:32], v[11:12], off
	s_waitcnt vmcnt(36)
	global_store_dwordx2 v[33:34], v[71:72], off
	s_waitcnt vmcnt(35)
	global_store_dwordx2 v[35:36], v[73:74], off
	s_waitcnt vmcnt(32)
	global_store_dwordx2 v[37:38], v[4:5], off
	s_waitcnt vmcnt(31)
	global_store_dwordx2 v[39:40], v[15:16], off
	s_waitcnt vmcnt(30)
	global_store_dwordx2 v[41:42], v[75:76], off
	s_waitcnt vmcnt(29)
	global_store_dwordx2 v[43:44], v[77:78], off
	s_waitcnt vmcnt(26)
	global_store_dwordx2 v[45:46], v[9:10], off
	s_waitcnt vmcnt(25)
	global_store_dwordx2 v[47:48], v[19:20], off
	s_waitcnt vmcnt(24)
	global_store_dwordx2 v[49:50], v[59:60], off
	s_waitcnt vmcnt(23)
	global_store_dwordx2 v[51:52], v[61:62], off
	s_waitcnt vmcnt(21)
	global_store_dwordx2 v[53:54], v[17:18], off
	s_waitcnt vmcnt(20)
	global_store_dwordx2 v[55:56], v[63:64], off
	s_waitcnt vmcnt(19)
	global_store_dwordx2 v[57:58], v[79:80], off
.LBB30_590:
	s_endpgm
	.section	.rodata,"a",@progbits
	.p2align	6, 0x0
	.amdhsa_kernel _ZN9rocsolver6v33100L18trti2_kernel_smallILi31EdPdEEv13rocblas_fill_17rocblas_diagonal_T1_iil
		.amdhsa_group_segment_fixed_size 504
		.amdhsa_private_segment_fixed_size 256
		.amdhsa_kernarg_size 32
		.amdhsa_user_sgpr_count 6
		.amdhsa_user_sgpr_private_segment_buffer 1
		.amdhsa_user_sgpr_dispatch_ptr 0
		.amdhsa_user_sgpr_queue_ptr 0
		.amdhsa_user_sgpr_kernarg_segment_ptr 1
		.amdhsa_user_sgpr_dispatch_id 0
		.amdhsa_user_sgpr_flat_scratch_init 0
		.amdhsa_user_sgpr_private_segment_size 0
		.amdhsa_uses_dynamic_stack 0
		.amdhsa_system_sgpr_private_segment_wavefront_offset 1
		.amdhsa_system_sgpr_workgroup_id_x 1
		.amdhsa_system_sgpr_workgroup_id_y 0
		.amdhsa_system_sgpr_workgroup_id_z 0
		.amdhsa_system_sgpr_workgroup_info 0
		.amdhsa_system_vgpr_workitem_id 0
		.amdhsa_next_free_vgpr 81
		.amdhsa_next_free_sgpr 44
		.amdhsa_reserve_vcc 1
		.amdhsa_reserve_flat_scratch 0
		.amdhsa_float_round_mode_32 0
		.amdhsa_float_round_mode_16_64 0
		.amdhsa_float_denorm_mode_32 3
		.amdhsa_float_denorm_mode_16_64 3
		.amdhsa_dx10_clamp 1
		.amdhsa_ieee_mode 1
		.amdhsa_fp16_overflow 0
		.amdhsa_exception_fp_ieee_invalid_op 0
		.amdhsa_exception_fp_denorm_src 0
		.amdhsa_exception_fp_ieee_div_zero 0
		.amdhsa_exception_fp_ieee_overflow 0
		.amdhsa_exception_fp_ieee_underflow 0
		.amdhsa_exception_fp_ieee_inexact 0
		.amdhsa_exception_int_div_zero 0
	.end_amdhsa_kernel
	.section	.text._ZN9rocsolver6v33100L18trti2_kernel_smallILi31EdPdEEv13rocblas_fill_17rocblas_diagonal_T1_iil,"axG",@progbits,_ZN9rocsolver6v33100L18trti2_kernel_smallILi31EdPdEEv13rocblas_fill_17rocblas_diagonal_T1_iil,comdat
.Lfunc_end30:
	.size	_ZN9rocsolver6v33100L18trti2_kernel_smallILi31EdPdEEv13rocblas_fill_17rocblas_diagonal_T1_iil, .Lfunc_end30-_ZN9rocsolver6v33100L18trti2_kernel_smallILi31EdPdEEv13rocblas_fill_17rocblas_diagonal_T1_iil
                                        ; -- End function
	.set _ZN9rocsolver6v33100L18trti2_kernel_smallILi31EdPdEEv13rocblas_fill_17rocblas_diagonal_T1_iil.num_vgpr, 81
	.set _ZN9rocsolver6v33100L18trti2_kernel_smallILi31EdPdEEv13rocblas_fill_17rocblas_diagonal_T1_iil.num_agpr, 0
	.set _ZN9rocsolver6v33100L18trti2_kernel_smallILi31EdPdEEv13rocblas_fill_17rocblas_diagonal_T1_iil.numbered_sgpr, 44
	.set _ZN9rocsolver6v33100L18trti2_kernel_smallILi31EdPdEEv13rocblas_fill_17rocblas_diagonal_T1_iil.num_named_barrier, 0
	.set _ZN9rocsolver6v33100L18trti2_kernel_smallILi31EdPdEEv13rocblas_fill_17rocblas_diagonal_T1_iil.private_seg_size, 256
	.set _ZN9rocsolver6v33100L18trti2_kernel_smallILi31EdPdEEv13rocblas_fill_17rocblas_diagonal_T1_iil.uses_vcc, 1
	.set _ZN9rocsolver6v33100L18trti2_kernel_smallILi31EdPdEEv13rocblas_fill_17rocblas_diagonal_T1_iil.uses_flat_scratch, 0
	.set _ZN9rocsolver6v33100L18trti2_kernel_smallILi31EdPdEEv13rocblas_fill_17rocblas_diagonal_T1_iil.has_dyn_sized_stack, 0
	.set _ZN9rocsolver6v33100L18trti2_kernel_smallILi31EdPdEEv13rocblas_fill_17rocblas_diagonal_T1_iil.has_recursion, 0
	.set _ZN9rocsolver6v33100L18trti2_kernel_smallILi31EdPdEEv13rocblas_fill_17rocblas_diagonal_T1_iil.has_indirect_call, 0
	.section	.AMDGPU.csdata,"",@progbits
; Kernel info:
; codeLenInByte = 18068
; TotalNumSgprs: 48
; NumVgprs: 81
; ScratchSize: 256
; MemoryBound: 0
; FloatMode: 240
; IeeeMode: 1
; LDSByteSize: 504 bytes/workgroup (compile time only)
; SGPRBlocks: 5
; VGPRBlocks: 20
; NumSGPRsForWavesPerEU: 48
; NumVGPRsForWavesPerEU: 81
; Occupancy: 3
; WaveLimiterHint : 0
; COMPUTE_PGM_RSRC2:SCRATCH_EN: 1
; COMPUTE_PGM_RSRC2:USER_SGPR: 6
; COMPUTE_PGM_RSRC2:TRAP_HANDLER: 0
; COMPUTE_PGM_RSRC2:TGID_X_EN: 1
; COMPUTE_PGM_RSRC2:TGID_Y_EN: 0
; COMPUTE_PGM_RSRC2:TGID_Z_EN: 0
; COMPUTE_PGM_RSRC2:TIDIG_COMP_CNT: 0
	.section	.text._ZN9rocsolver6v33100L18trti2_kernel_smallILi32EdPdEEv13rocblas_fill_17rocblas_diagonal_T1_iil,"axG",@progbits,_ZN9rocsolver6v33100L18trti2_kernel_smallILi32EdPdEEv13rocblas_fill_17rocblas_diagonal_T1_iil,comdat
	.globl	_ZN9rocsolver6v33100L18trti2_kernel_smallILi32EdPdEEv13rocblas_fill_17rocblas_diagonal_T1_iil ; -- Begin function _ZN9rocsolver6v33100L18trti2_kernel_smallILi32EdPdEEv13rocblas_fill_17rocblas_diagonal_T1_iil
	.p2align	8
	.type	_ZN9rocsolver6v33100L18trti2_kernel_smallILi32EdPdEEv13rocblas_fill_17rocblas_diagonal_T1_iil,@function
_ZN9rocsolver6v33100L18trti2_kernel_smallILi32EdPdEEv13rocblas_fill_17rocblas_diagonal_T1_iil: ; @_ZN9rocsolver6v33100L18trti2_kernel_smallILi32EdPdEEv13rocblas_fill_17rocblas_diagonal_T1_iil
; %bb.0:
	s_add_u32 s0, s0, s7
	s_addc_u32 s1, s1, 0
	v_cmp_gt_u32_e32 vcc, 32, v0
	s_and_saveexec_b64 s[8:9], vcc
	s_cbranch_execz .LBB31_610
; %bb.1:
	s_load_dwordx8 s[8:15], s[4:5], 0x0
	s_ashr_i32 s7, s6, 31
	v_lshlrev_b32_e32 v67, 3, v0
	s_waitcnt lgkmcnt(0)
	s_ashr_i32 s5, s12, 31
	s_mov_b32 s4, s12
	s_mul_hi_u32 s12, s14, s6
	s_mul_i32 s7, s14, s7
	s_add_i32 s7, s12, s7
	s_mul_i32 s12, s15, s6
	s_add_i32 s7, s7, s12
	s_mul_i32 s6, s14, s6
	s_lshl_b64 s[6:7], s[6:7], 3
	s_add_u32 s6, s10, s6
	s_addc_u32 s7, s11, s7
	s_lshl_b64 s[4:5], s[4:5], 3
	s_add_u32 s4, s6, s4
	s_addc_u32 s5, s7, s5
	s_add_i32 s6, s13, s13
	v_add_u32_e32 v3, s6, v0
	v_ashrrev_i32_e32 v4, 31, v3
	v_lshlrev_b64 v[1:2], 3, v[3:4]
	v_mov_b32_e32 v4, s5
	v_add_co_u32_e32 v1, vcc, s4, v1
	v_add_u32_e32 v3, s13, v3
	v_addc_co_u32_e32 v2, vcc, v4, v2, vcc
	v_ashrrev_i32_e32 v4, 31, v3
	v_lshlrev_b64 v[4:5], 3, v[3:4]
	v_mov_b32_e32 v6, s5
	v_add_co_u32_e32 v7, vcc, s4, v4
	v_addc_co_u32_e32 v8, vcc, v6, v5, vcc
	v_add_u32_e32 v5, s13, v3
	v_ashrrev_i32_e32 v6, 31, v5
	v_lshlrev_b64 v[3:4], 3, v[5:6]
	v_mov_b32_e32 v6, s5
	v_add_co_u32_e32 v3, vcc, s4, v3
	v_add_u32_e32 v5, s13, v5
	v_addc_co_u32_e32 v4, vcc, v6, v4, vcc
	v_ashrrev_i32_e32 v6, 31, v5
	v_lshlrev_b64 v[9:10], 3, v[5:6]
	v_mov_b32_e32 v6, s5
	v_add_co_u32_e32 v11, vcc, s4, v9
	v_add_u32_e32 v9, s13, v5
	v_addc_co_u32_e32 v12, vcc, v6, v10, vcc
	;; [unrolled: 6-line block ×3, first 2 shown]
	v_ashrrev_i32_e32 v10, 31, v9
	v_lshlrev_b64 v[13:14], 3, v[9:10]
	v_add_u32_e32 v15, s13, v9
	v_mov_b32_e32 v10, s5
	v_add_co_u32_e32 v13, vcc, s4, v13
	v_ashrrev_i32_e32 v16, 31, v15
	v_addc_co_u32_e32 v14, vcc, v10, v14, vcc
	v_lshlrev_b64 v[9:10], 3, v[15:16]
	v_mov_b32_e32 v16, s5
	v_add_co_u32_e32 v9, vcc, s4, v9
	v_add_u32_e32 v15, s13, v15
	v_addc_co_u32_e32 v10, vcc, v16, v10, vcc
	v_ashrrev_i32_e32 v16, 31, v15
	v_lshlrev_b64 v[17:18], 3, v[15:16]
	v_add_u32_e32 v19, s13, v15
	v_mov_b32_e32 v16, s5
	v_add_co_u32_e32 v17, vcc, s4, v17
	v_ashrrev_i32_e32 v20, 31, v19
	v_addc_co_u32_e32 v18, vcc, v16, v18, vcc
	v_lshlrev_b64 v[15:16], 3, v[19:20]
	v_add_u32_e32 v19, s13, v19
	v_mov_b32_e32 v21, s5
	v_add_co_u32_e32 v15, vcc, s4, v15
	v_ashrrev_i32_e32 v20, 31, v19
	v_addc_co_u32_e32 v16, vcc, v21, v16, vcc
	v_lshlrev_b64 v[21:22], 3, v[19:20]
	v_mov_b32_e32 v23, s5
	v_add_co_u32_e32 v21, vcc, s4, v21
	v_addc_co_u32_e32 v22, vcc, v23, v22, vcc
	v_add_u32_e32 v23, s13, v19
	v_ashrrev_i32_e32 v24, 31, v23
	v_lshlrev_b64 v[19:20], 3, v[23:24]
	v_mov_b32_e32 v25, s5
	v_add_co_u32_e32 v19, vcc, s4, v19
	v_addc_co_u32_e32 v20, vcc, v25, v20, vcc
	v_add_u32_e32 v25, s13, v23
	v_ashrrev_i32_e32 v26, 31, v25
	;; [unrolled: 6-line block ×6, first 2 shown]
	global_load_dwordx2 v[65:66], v67, s[4:5]
	v_lshlrev_b64 v[31:32], 3, v[33:34]
	v_mov_b32_e32 v35, s5
	v_add_co_u32_e32 v31, vcc, s4, v31
	v_addc_co_u32_e32 v32, vcc, v35, v32, vcc
	v_add_u32_e32 v35, s13, v33
	v_ashrrev_i32_e32 v36, 31, v35
	v_lshlrev_b64 v[33:34], 3, v[35:36]
	v_mov_b32_e32 v37, s5
	v_add_co_u32_e32 v33, vcc, s4, v33
	v_addc_co_u32_e32 v34, vcc, v37, v34, vcc
	v_add_u32_e32 v37, s13, v35
	v_ashrrev_i32_e32 v38, 31, v37
	;; [unrolled: 6-line block ×13, first 2 shown]
	v_lshlrev_b64 v[57:58], 3, v[59:60]
	v_mov_b32_e32 v60, s5
	v_add_co_u32_e32 v61, vcc, s4, v67
	s_ashr_i32 s7, s13, 31
	s_mov_b32 s6, s13
	v_addc_co_u32_e32 v62, vcc, 0, v60, vcc
	s_lshl_b64 s[6:7], s[6:7], 3
	v_mov_b32_e32 v60, s7
	v_add_co_u32_e32 v63, vcc, s6, v61
	v_addc_co_u32_e32 v64, vcc, v62, v60, vcc
	global_load_dwordx2 v[68:69], v[63:64], off
	global_load_dwordx2 v[70:71], v[1:2], off
	v_mov_b32_e32 v72, s5
	v_add_co_u32_e32 v57, vcc, s4, v57
	v_addc_co_u32_e32 v58, vcc, v72, v58, vcc
	global_load_dwordx2 v[72:73], v[7:8], off
	global_load_dwordx2 v[74:75], v[3:4], off
	v_add_u32_e32 v59, s13, v59
	v_ashrrev_i32_e32 v60, 31, v59
	v_lshlrev_b64 v[59:60], 3, v[59:60]
	v_mov_b32_e32 v76, s5
	v_add_co_u32_e32 v59, vcc, s4, v59
	v_addc_co_u32_e32 v60, vcc, v76, v60, vcc
	global_load_dwordx2 v[76:77], v[11:12], off
	global_load_dwordx2 v[78:79], v[59:60], off
	s_waitcnt vmcnt(6)
	buffer_store_dword v66, off, s[0:3], 0 offset:4
	buffer_store_dword v65, off, s[0:3], 0
	global_load_dwordx2 v[65:66], v[5:6], off
	s_waitcnt vmcnt(8)
	buffer_store_dword v69, off, s[0:3], 0 offset:12
	buffer_store_dword v68, off, s[0:3], 0 offset:8
	s_waitcnt vmcnt(9)
	buffer_store_dword v71, off, s[0:3], 0 offset:20
	global_load_dwordx2 v[68:69], v[13:14], off
	s_cmpk_lg_i32 s9, 0x84
	buffer_store_dword v70, off, s[0:3], 0 offset:16
	global_load_dwordx2 v[70:71], v[9:10], off
	s_waitcnt vmcnt(12)
	buffer_store_dword v73, off, s[0:3], 0 offset:28
	buffer_store_dword v72, off, s[0:3], 0 offset:24
	global_load_dwordx2 v[72:73], v[17:18], off
	s_waitcnt vmcnt(14)
	buffer_store_dword v75, off, s[0:3], 0 offset:36
	;; [unrolled: 4-line block ×5, first 2 shown]
	buffer_store_dword v68, off, s[0:3], 0 offset:56
	s_waitcnt vmcnt(14)
	buffer_store_dword v71, off, s[0:3], 0 offset:68
	buffer_store_dword v70, off, s[0:3], 0 offset:64
	global_load_dwordx2 v[68:69], v[23:24], off
	s_nop 0
	global_load_dwordx2 v[70:71], v[25:26], off
	s_cselect_b64 s[10:11], -1, 0
	s_cmpk_eq_i32 s9, 0x84
	s_waitcnt vmcnt(15)
	buffer_store_dword v72, off, s[0:3], 0 offset:72
	buffer_store_dword v73, off, s[0:3], 0 offset:76
	global_load_dwordx2 v[72:73], v[27:28], off
	s_waitcnt vmcnt(15)
	buffer_store_dword v74, off, s[0:3], 0 offset:80
	buffer_store_dword v75, off, s[0:3], 0 offset:84
	global_load_dwordx2 v[74:75], v[29:30], off
	;; [unrolled: 4-line block ×4, first 2 shown]
	s_waitcnt vmcnt(13)
	buffer_store_dword v68, off, s[0:3], 0 offset:104
	buffer_store_dword v69, off, s[0:3], 0 offset:108
	s_waitcnt vmcnt(14)
	buffer_store_dword v71, off, s[0:3], 0 offset:116
	buffer_store_dword v70, off, s[0:3], 0 offset:112
	s_waitcnt vmcnt(13)
	buffer_store_dword v72, off, s[0:3], 0 offset:120
	global_load_dwordx2 v[68:69], v[35:36], off
	global_load_dwordx2 v[70:71], v[37:38], off
	s_nop 0
	buffer_store_dword v73, off, s[0:3], 0 offset:124
	global_load_dwordx2 v[72:73], v[39:40], off
	s_waitcnt vmcnt(15)
	buffer_store_dword v74, off, s[0:3], 0 offset:128
	buffer_store_dword v75, off, s[0:3], 0 offset:132
	global_load_dwordx2 v[74:75], v[41:42], off
	s_waitcnt vmcnt(15)
	buffer_store_dword v76, off, s[0:3], 0 offset:136
	;; [unrolled: 4-line block ×4, first 2 shown]
	buffer_store_dword v68, off, s[0:3], 0 offset:152
	s_waitcnt vmcnt(13)
	buffer_store_dword v71, off, s[0:3], 0 offset:164
	buffer_store_dword v70, off, s[0:3], 0 offset:160
	s_waitcnt vmcnt(13)
	buffer_store_dword v72, off, s[0:3], 0 offset:168
	;; [unrolled: 3-line block ×3, first 2 shown]
	global_load_dwordx2 v[68:69], v[47:48], off
	global_load_dwordx2 v[70:71], v[49:50], off
	;; [unrolled: 1-line block ×3, first 2 shown]
	s_nop 0
	buffer_store_dword v75, off, s[0:3], 0 offset:180
	global_load_dwordx2 v[74:75], v[53:54], off
	s_waitcnt vmcnt(15)
	buffer_store_dword v76, off, s[0:3], 0 offset:184
	buffer_store_dword v77, off, s[0:3], 0 offset:188
	global_load_dwordx2 v[76:77], v[55:56], off
	s_waitcnt vmcnt(15)
	buffer_store_dword v65, off, s[0:3], 0 offset:192
	;; [unrolled: 4-line block ×3, first 2 shown]
	buffer_store_dword v68, off, s[0:3], 0 offset:200
	s_waitcnt vmcnt(11)
	buffer_store_dword v71, off, s[0:3], 0 offset:212
	buffer_store_dword v70, off, s[0:3], 0 offset:208
	s_waitcnt vmcnt(12)
	buffer_store_dword v72, off, s[0:3], 0 offset:216
	;; [unrolled: 3-line block ×5, first 2 shown]
	buffer_store_dword v66, off, s[0:3], 0 offset:244
	buffer_store_dword v79, off, s[0:3], 0 offset:252
	v_mov_b32_e32 v65, 0
	v_mov_b32_e32 v66, 0xbff00000
	buffer_store_dword v78, off, s[0:3], 0 offset:248
	s_cbranch_scc1 .LBB31_3
; %bb.2:
	v_mov_b32_e32 v65, 0
	v_lshl_add_u32 v76, v0, 3, v65
	buffer_load_dword v65, v76, s[0:3], 0 offen
	buffer_load_dword v66, v76, s[0:3], 0 offen offset:4
	s_waitcnt vmcnt(0)
	v_div_scale_f64 v[68:69], s[4:5], v[65:66], v[65:66], 1.0
	v_rcp_f64_e32 v[70:71], v[68:69]
	v_fma_f64 v[72:73], -v[68:69], v[70:71], 1.0
	v_fma_f64 v[70:71], v[70:71], v[72:73], v[70:71]
	v_div_scale_f64 v[72:73], vcc, 1.0, v[65:66], 1.0
	v_fma_f64 v[74:75], -v[68:69], v[70:71], 1.0
	v_fma_f64 v[70:71], v[70:71], v[74:75], v[70:71]
	v_mul_f64 v[74:75], v[72:73], v[70:71]
	v_fma_f64 v[68:69], -v[68:69], v[74:75], v[72:73]
	v_div_fmas_f64 v[68:69], v[68:69], v[70:71], v[74:75]
	v_div_fixup_f64 v[65:66], v[68:69], v[65:66], 1.0
	buffer_store_dword v65, v76, s[0:3], 0 offen
	buffer_store_dword v66, v76, s[0:3], 0 offen offset:4
	v_xor_b32_e32 v66, 0x80000000, v66
.LBB31_3:
	s_cmpk_eq_i32 s8, 0x79
	v_add_u32_e32 v68, 0x100, v67
	v_mov_b32_e32 v69, v67
	s_mov_b64 s[4:5], -1
	ds_write_b64 v67, v[65:66]
	s_cbranch_scc1 .LBB31_307
; %bb.4:
	buffer_load_dword v65, off, s[0:3], 0 offset:240
	buffer_load_dword v66, off, s[0:3], 0 offset:244
	s_movk_i32 s12, 0x48
	s_movk_i32 s13, 0x50
	;; [unrolled: 1-line block ×21, first 2 shown]
	v_cmp_eq_u32_e64 s[4:5], 31, v0
	s_waitcnt vmcnt(0)
	ds_write_b64 v68, v[65:66]
	s_waitcnt lgkmcnt(0)
	; wave barrier
	s_and_saveexec_b64 s[6:7], s[4:5]
	s_cbranch_execz .LBB31_10
; %bb.5:
	s_and_b64 vcc, exec, s[10:11]
	s_cbranch_vccz .LBB31_7
; %bb.6:
	buffer_load_dword v65, v69, s[0:3], 0 offen
	buffer_load_dword v66, v69, s[0:3], 0 offen offset:4
	ds_read_b64 v[70:71], v68
	s_waitcnt vmcnt(0) lgkmcnt(0)
	v_mul_f64 v[65:66], v[65:66], v[70:71]
	s_cbranch_execz .LBB31_8
	s_branch .LBB31_9
.LBB31_7:
                                        ; implicit-def: $vgpr65_vgpr66
.LBB31_8:
	ds_read_b64 v[65:66], v68
.LBB31_9:
	v_mov_b32_e32 v70, 0
	ds_read_b64 v[70:71], v70 offset:240
	s_waitcnt lgkmcnt(0)
	v_mul_f64 v[65:66], v[65:66], v[70:71]
	buffer_store_dword v66, off, s[0:3], 0 offset:244
	buffer_store_dword v65, off, s[0:3], 0 offset:240
.LBB31_10:
	s_or_b64 exec, exec, s[6:7]
	buffer_load_dword v65, off, s[0:3], 0 offset:232
	buffer_load_dword v66, off, s[0:3], 0 offset:236
	s_or_b32 s14, 0, 8
	s_mov_b32 s15, 16
	s_mov_b32 s16, 24
	;; [unrolled: 1-line block ×9, first 2 shown]
	v_cmp_lt_u32_e64 s[6:7], 29, v0
	s_waitcnt vmcnt(0)
	ds_write_b64 v68, v[65:66]
	s_waitcnt lgkmcnt(0)
	; wave barrier
	s_and_saveexec_b64 s[8:9], s[6:7]
	s_cbranch_execz .LBB31_16
; %bb.11:
	s_andn2_b64 vcc, exec, s[10:11]
	s_cbranch_vccnz .LBB31_13
; %bb.12:
	buffer_load_dword v65, v69, s[0:3], 0 offen
	buffer_load_dword v66, v69, s[0:3], 0 offen offset:4
	ds_read_b64 v[70:71], v68
	s_waitcnt vmcnt(0) lgkmcnt(0)
	v_mul_f64 v[65:66], v[65:66], v[70:71]
	s_cbranch_execz .LBB31_14
	s_branch .LBB31_15
.LBB31_13:
                                        ; implicit-def: $vgpr65_vgpr66
.LBB31_14:
	ds_read_b64 v[65:66], v68
.LBB31_15:
	buffer_load_dword v74, off, s[0:3], 0 offset:240
	buffer_load_dword v75, off, s[0:3], 0 offset:244
	v_mov_b32_e32 v70, 0
	ds_read2_b64 v[70:73], v70 offset0:29 offset1:62
	s_waitcnt vmcnt(0) lgkmcnt(0)
	v_fma_f64 v[72:73], v[74:75], v[72:73], v[65:66]
	v_cndmask_b32_e64 v66, v66, v73, s[4:5]
	v_cndmask_b32_e64 v65, v65, v72, s[4:5]
	v_mul_f64 v[65:66], v[65:66], v[70:71]
	buffer_store_dword v66, off, s[0:3], 0 offset:236
	buffer_store_dword v65, off, s[0:3], 0 offset:232
.LBB31_16:
	s_or_b64 exec, exec, s[8:9]
	buffer_load_dword v65, off, s[0:3], 0 offset:224
	buffer_load_dword v66, off, s[0:3], 0 offset:228
	v_cmp_lt_u32_e64 s[4:5], 28, v0
	s_waitcnt vmcnt(0)
	ds_write_b64 v68, v[65:66]
	s_waitcnt lgkmcnt(0)
	; wave barrier
	s_and_saveexec_b64 s[8:9], s[4:5]
	s_cbranch_execz .LBB31_26
; %bb.17:
	s_andn2_b64 vcc, exec, s[10:11]
	s_cbranch_vccnz .LBB31_19
; %bb.18:
	buffer_load_dword v65, v69, s[0:3], 0 offen
	buffer_load_dword v66, v69, s[0:3], 0 offen offset:4
	ds_read_b64 v[70:71], v68
	s_waitcnt vmcnt(0) lgkmcnt(0)
	v_mul_f64 v[65:66], v[65:66], v[70:71]
	s_cbranch_execz .LBB31_20
	s_branch .LBB31_21
.LBB31_19:
                                        ; implicit-def: $vgpr65_vgpr66
.LBB31_20:
	ds_read_b64 v[65:66], v68
.LBB31_21:
	s_and_saveexec_b64 s[12:13], s[6:7]
	s_cbranch_execz .LBB31_25
; %bb.22:
	v_subrev_u32_e32 v70, 29, v0
	s_movk_i32 s44, 0x1e8
	s_mov_b64 s[6:7], 0
.LBB31_23:                              ; =>This Inner Loop Header: Depth=1
	v_mov_b32_e32 v73, s43
	buffer_load_dword v71, v73, s[0:3], 0 offen
	buffer_load_dword v72, v73, s[0:3], 0 offen offset:4
	v_mov_b32_e32 v73, s44
	ds_read_b64 v[73:74], v73
	v_add_u32_e32 v70, -1, v70
	s_add_i32 s44, s44, 8
	s_add_i32 s43, s43, 8
	v_cmp_eq_u32_e32 vcc, 0, v70
	s_or_b64 s[6:7], vcc, s[6:7]
	s_waitcnt vmcnt(0) lgkmcnt(0)
	v_fma_f64 v[65:66], v[71:72], v[73:74], v[65:66]
	s_andn2_b64 exec, exec, s[6:7]
	s_cbranch_execnz .LBB31_23
; %bb.24:
	s_or_b64 exec, exec, s[6:7]
.LBB31_25:
	s_or_b64 exec, exec, s[12:13]
	v_mov_b32_e32 v70, 0
	ds_read_b64 v[70:71], v70 offset:224
	s_waitcnt lgkmcnt(0)
	v_mul_f64 v[65:66], v[65:66], v[70:71]
	buffer_store_dword v66, off, s[0:3], 0 offset:228
	buffer_store_dword v65, off, s[0:3], 0 offset:224
.LBB31_26:
	s_or_b64 exec, exec, s[8:9]
	buffer_load_dword v65, off, s[0:3], 0 offset:216
	buffer_load_dword v66, off, s[0:3], 0 offset:220
	v_cmp_lt_u32_e64 s[6:7], 27, v0
	s_waitcnt vmcnt(0)
	ds_write_b64 v68, v[65:66]
	s_waitcnt lgkmcnt(0)
	; wave barrier
	s_and_saveexec_b64 s[8:9], s[6:7]
	s_cbranch_execz .LBB31_36
; %bb.27:
	s_andn2_b64 vcc, exec, s[10:11]
	s_cbranch_vccnz .LBB31_29
; %bb.28:
	buffer_load_dword v65, v69, s[0:3], 0 offen
	buffer_load_dword v66, v69, s[0:3], 0 offen offset:4
	ds_read_b64 v[70:71], v68
	s_waitcnt vmcnt(0) lgkmcnt(0)
	v_mul_f64 v[65:66], v[65:66], v[70:71]
	s_cbranch_execz .LBB31_30
	s_branch .LBB31_31
.LBB31_29:
                                        ; implicit-def: $vgpr65_vgpr66
.LBB31_30:
	ds_read_b64 v[65:66], v68
.LBB31_31:
	s_and_saveexec_b64 s[12:13], s[4:5]
	s_cbranch_execz .LBB31_35
; %bb.32:
	v_subrev_u32_e32 v70, 28, v0
	s_movk_i32 s43, 0x1e0
	s_mov_b64 s[4:5], 0
.LBB31_33:                              ; =>This Inner Loop Header: Depth=1
	v_mov_b32_e32 v73, s42
	buffer_load_dword v71, v73, s[0:3], 0 offen
	buffer_load_dword v72, v73, s[0:3], 0 offen offset:4
	v_mov_b32_e32 v73, s43
	ds_read_b64 v[73:74], v73
	v_add_u32_e32 v70, -1, v70
	s_add_i32 s43, s43, 8
	s_add_i32 s42, s42, 8
	v_cmp_eq_u32_e32 vcc, 0, v70
	s_or_b64 s[4:5], vcc, s[4:5]
	s_waitcnt vmcnt(0) lgkmcnt(0)
	v_fma_f64 v[65:66], v[71:72], v[73:74], v[65:66]
	s_andn2_b64 exec, exec, s[4:5]
	s_cbranch_execnz .LBB31_33
; %bb.34:
	s_or_b64 exec, exec, s[4:5]
.LBB31_35:
	s_or_b64 exec, exec, s[12:13]
	v_mov_b32_e32 v70, 0
	ds_read_b64 v[70:71], v70 offset:216
	s_waitcnt lgkmcnt(0)
	v_mul_f64 v[65:66], v[65:66], v[70:71]
	buffer_store_dword v66, off, s[0:3], 0 offset:220
	buffer_store_dword v65, off, s[0:3], 0 offset:216
.LBB31_36:
	;; [unrolled: 58-line block ×8, first 2 shown]
	s_or_b64 exec, exec, s[8:9]
	buffer_load_dword v65, off, s[0:3], 0 offset:160
	buffer_load_dword v66, off, s[0:3], 0 offset:164
	v_cmp_lt_u32_e64 s[4:5], 20, v0
	s_waitcnt vmcnt(0)
	ds_write_b64 v68, v[65:66]
	s_waitcnt lgkmcnt(0)
	; wave barrier
	s_and_saveexec_b64 s[8:9], s[4:5]
	s_cbranch_execz .LBB31_106
; %bb.97:
	s_andn2_b64 vcc, exec, s[10:11]
	s_cbranch_vccnz .LBB31_99
; %bb.98:
	buffer_load_dword v65, v69, s[0:3], 0 offen
	buffer_load_dword v66, v69, s[0:3], 0 offen offset:4
	ds_read_b64 v[70:71], v68
	s_waitcnt vmcnt(0) lgkmcnt(0)
	v_mul_f64 v[65:66], v[65:66], v[70:71]
	s_cbranch_execz .LBB31_100
	s_branch .LBB31_101
.LBB31_99:
                                        ; implicit-def: $vgpr65_vgpr66
.LBB31_100:
	ds_read_b64 v[65:66], v68
.LBB31_101:
	s_and_saveexec_b64 s[12:13], s[6:7]
	s_cbranch_execz .LBB31_105
; %bb.102:
	v_subrev_u32_e32 v70, 21, v0
	s_movk_i32 s36, 0x1a8
	s_mov_b64 s[6:7], 0
.LBB31_103:                             ; =>This Inner Loop Header: Depth=1
	v_mov_b32_e32 v73, s35
	buffer_load_dword v71, v73, s[0:3], 0 offen
	buffer_load_dword v72, v73, s[0:3], 0 offen offset:4
	v_mov_b32_e32 v73, s36
	ds_read_b64 v[73:74], v73
	v_add_u32_e32 v70, -1, v70
	s_add_i32 s36, s36, 8
	s_add_i32 s35, s35, 8
	v_cmp_eq_u32_e32 vcc, 0, v70
	s_or_b64 s[6:7], vcc, s[6:7]
	s_waitcnt vmcnt(0) lgkmcnt(0)
	v_fma_f64 v[65:66], v[71:72], v[73:74], v[65:66]
	s_andn2_b64 exec, exec, s[6:7]
	s_cbranch_execnz .LBB31_103
; %bb.104:
	s_or_b64 exec, exec, s[6:7]
.LBB31_105:
	s_or_b64 exec, exec, s[12:13]
	v_mov_b32_e32 v70, 0
	ds_read_b64 v[70:71], v70 offset:160
	s_waitcnt lgkmcnt(0)
	v_mul_f64 v[65:66], v[65:66], v[70:71]
	buffer_store_dword v66, off, s[0:3], 0 offset:164
	buffer_store_dword v65, off, s[0:3], 0 offset:160
.LBB31_106:
	s_or_b64 exec, exec, s[8:9]
	buffer_load_dword v65, off, s[0:3], 0 offset:152
	buffer_load_dword v66, off, s[0:3], 0 offset:156
	v_cmp_lt_u32_e64 s[6:7], 19, v0
	s_waitcnt vmcnt(0)
	ds_write_b64 v68, v[65:66]
	s_waitcnt lgkmcnt(0)
	; wave barrier
	s_and_saveexec_b64 s[8:9], s[6:7]
	s_cbranch_execz .LBB31_116
; %bb.107:
	s_andn2_b64 vcc, exec, s[10:11]
	s_cbranch_vccnz .LBB31_109
; %bb.108:
	buffer_load_dword v65, v69, s[0:3], 0 offen
	buffer_load_dword v66, v69, s[0:3], 0 offen offset:4
	ds_read_b64 v[70:71], v68
	s_waitcnt vmcnt(0) lgkmcnt(0)
	v_mul_f64 v[65:66], v[65:66], v[70:71]
	s_cbranch_execz .LBB31_110
	s_branch .LBB31_111
.LBB31_109:
                                        ; implicit-def: $vgpr65_vgpr66
.LBB31_110:
	ds_read_b64 v[65:66], v68
.LBB31_111:
	s_and_saveexec_b64 s[12:13], s[4:5]
	s_cbranch_execz .LBB31_115
; %bb.112:
	v_subrev_u32_e32 v70, 20, v0
	s_movk_i32 s35, 0x1a0
	s_mov_b64 s[4:5], 0
.LBB31_113:                             ; =>This Inner Loop Header: Depth=1
	v_mov_b32_e32 v73, s34
	buffer_load_dword v71, v73, s[0:3], 0 offen
	buffer_load_dword v72, v73, s[0:3], 0 offen offset:4
	v_mov_b32_e32 v73, s35
	ds_read_b64 v[73:74], v73
	v_add_u32_e32 v70, -1, v70
	s_add_i32 s35, s35, 8
	s_add_i32 s34, s34, 8
	v_cmp_eq_u32_e32 vcc, 0, v70
	s_or_b64 s[4:5], vcc, s[4:5]
	s_waitcnt vmcnt(0) lgkmcnt(0)
	v_fma_f64 v[65:66], v[71:72], v[73:74], v[65:66]
	s_andn2_b64 exec, exec, s[4:5]
	s_cbranch_execnz .LBB31_113
; %bb.114:
	s_or_b64 exec, exec, s[4:5]
.LBB31_115:
	s_or_b64 exec, exec, s[12:13]
	v_mov_b32_e32 v70, 0
	ds_read_b64 v[70:71], v70 offset:152
	s_waitcnt lgkmcnt(0)
	v_mul_f64 v[65:66], v[65:66], v[70:71]
	buffer_store_dword v66, off, s[0:3], 0 offset:156
	buffer_store_dword v65, off, s[0:3], 0 offset:152
.LBB31_116:
	;; [unrolled: 58-line block ×5, first 2 shown]
	s_or_b64 exec, exec, s[8:9]
	buffer_load_dword v65, off, s[0:3], 0 offset:120
	buffer_load_dword v66, off, s[0:3], 0 offset:124
	v_cmp_lt_u32_e64 s[6:7], 15, v0
	s_waitcnt vmcnt(0)
	ds_write_b64 v68, v[65:66]
	s_waitcnt lgkmcnt(0)
	; wave barrier
	s_and_saveexec_b64 s[8:9], s[6:7]
	s_cbranch_execz .LBB31_156
; %bb.147:
	s_andn2_b64 vcc, exec, s[10:11]
	s_cbranch_vccnz .LBB31_149
; %bb.148:
	buffer_load_dword v65, v69, s[0:3], 0 offen
	buffer_load_dword v66, v69, s[0:3], 0 offen offset:4
	ds_read_b64 v[70:71], v68
	s_waitcnt vmcnt(0) lgkmcnt(0)
	v_mul_f64 v[65:66], v[65:66], v[70:71]
	s_cbranch_execz .LBB31_150
	s_branch .LBB31_151
.LBB31_149:
                                        ; implicit-def: $vgpr65_vgpr66
.LBB31_150:
	ds_read_b64 v[65:66], v68
.LBB31_151:
	s_and_saveexec_b64 s[12:13], s[4:5]
	s_cbranch_execz .LBB31_155
; %bb.152:
	v_add_u32_e32 v70, -16, v0
	s_movk_i32 s30, 0x180
	s_mov_b64 s[4:5], 0
.LBB31_153:                             ; =>This Inner Loop Header: Depth=1
	v_mov_b32_e32 v73, s29
	buffer_load_dword v71, v73, s[0:3], 0 offen
	buffer_load_dword v72, v73, s[0:3], 0 offen offset:4
	v_mov_b32_e32 v73, s30
	ds_read_b64 v[73:74], v73
	v_add_u32_e32 v70, -1, v70
	s_add_i32 s30, s30, 8
	s_add_i32 s29, s29, 8
	v_cmp_eq_u32_e32 vcc, 0, v70
	s_or_b64 s[4:5], vcc, s[4:5]
	s_waitcnt vmcnt(0) lgkmcnt(0)
	v_fma_f64 v[65:66], v[71:72], v[73:74], v[65:66]
	s_andn2_b64 exec, exec, s[4:5]
	s_cbranch_execnz .LBB31_153
; %bb.154:
	s_or_b64 exec, exec, s[4:5]
.LBB31_155:
	s_or_b64 exec, exec, s[12:13]
	v_mov_b32_e32 v70, 0
	ds_read_b64 v[70:71], v70 offset:120
	s_waitcnt lgkmcnt(0)
	v_mul_f64 v[65:66], v[65:66], v[70:71]
	buffer_store_dword v66, off, s[0:3], 0 offset:124
	buffer_store_dword v65, off, s[0:3], 0 offset:120
.LBB31_156:
	s_or_b64 exec, exec, s[8:9]
	buffer_load_dword v65, off, s[0:3], 0 offset:112
	buffer_load_dword v66, off, s[0:3], 0 offset:116
	v_cmp_lt_u32_e64 s[4:5], 14, v0
	s_waitcnt vmcnt(0)
	ds_write_b64 v68, v[65:66]
	s_waitcnt lgkmcnt(0)
	; wave barrier
	s_and_saveexec_b64 s[8:9], s[4:5]
	s_cbranch_execz .LBB31_166
; %bb.157:
	s_andn2_b64 vcc, exec, s[10:11]
	s_cbranch_vccnz .LBB31_159
; %bb.158:
	buffer_load_dword v65, v69, s[0:3], 0 offen
	buffer_load_dword v66, v69, s[0:3], 0 offen offset:4
	ds_read_b64 v[70:71], v68
	s_waitcnt vmcnt(0) lgkmcnt(0)
	v_mul_f64 v[65:66], v[65:66], v[70:71]
	s_cbranch_execz .LBB31_160
	s_branch .LBB31_161
.LBB31_159:
                                        ; implicit-def: $vgpr65_vgpr66
.LBB31_160:
	ds_read_b64 v[65:66], v68
.LBB31_161:
	s_and_saveexec_b64 s[12:13], s[6:7]
	s_cbranch_execz .LBB31_165
; %bb.162:
	v_add_u32_e32 v70, -15, v0
	s_movk_i32 s29, 0x178
	s_mov_b64 s[6:7], 0
.LBB31_163:                             ; =>This Inner Loop Header: Depth=1
	v_mov_b32_e32 v73, s28
	buffer_load_dword v71, v73, s[0:3], 0 offen
	buffer_load_dword v72, v73, s[0:3], 0 offen offset:4
	v_mov_b32_e32 v73, s29
	ds_read_b64 v[73:74], v73
	v_add_u32_e32 v70, -1, v70
	s_add_i32 s29, s29, 8
	s_add_i32 s28, s28, 8
	v_cmp_eq_u32_e32 vcc, 0, v70
	s_or_b64 s[6:7], vcc, s[6:7]
	s_waitcnt vmcnt(0) lgkmcnt(0)
	v_fma_f64 v[65:66], v[71:72], v[73:74], v[65:66]
	s_andn2_b64 exec, exec, s[6:7]
	s_cbranch_execnz .LBB31_163
; %bb.164:
	s_or_b64 exec, exec, s[6:7]
.LBB31_165:
	s_or_b64 exec, exec, s[12:13]
	v_mov_b32_e32 v70, 0
	ds_read_b64 v[70:71], v70 offset:112
	s_waitcnt lgkmcnt(0)
	v_mul_f64 v[65:66], v[65:66], v[70:71]
	buffer_store_dword v66, off, s[0:3], 0 offset:116
	buffer_store_dword v65, off, s[0:3], 0 offset:112
.LBB31_166:
	;; [unrolled: 58-line block ×15, first 2 shown]
	s_or_b64 exec, exec, s[8:9]
	buffer_load_dword v65, off, s[0:3], 0
	buffer_load_dword v66, off, s[0:3], 0 offset:4
	v_cmp_ne_u32_e32 vcc, 0, v0
	s_waitcnt vmcnt(0)
	ds_write_b64 v68, v[65:66]
	s_waitcnt lgkmcnt(0)
	; wave barrier
	s_and_saveexec_b64 s[4:5], vcc
	s_cbranch_execz .LBB31_306
; %bb.297:
	s_andn2_b64 vcc, exec, s[10:11]
	s_cbranch_vccnz .LBB31_299
; %bb.298:
	buffer_load_dword v65, v69, s[0:3], 0 offen
	buffer_load_dword v66, v69, s[0:3], 0 offen offset:4
	ds_read_b64 v[70:71], v68
	s_waitcnt vmcnt(0) lgkmcnt(0)
	v_mul_f64 v[65:66], v[65:66], v[70:71]
	s_cbranch_execz .LBB31_300
	s_branch .LBB31_301
.LBB31_299:
                                        ; implicit-def: $vgpr65_vgpr66
.LBB31_300:
	ds_read_b64 v[65:66], v68
.LBB31_301:
	s_and_saveexec_b64 s[8:9], s[6:7]
	s_cbranch_execz .LBB31_305
; %bb.302:
	v_add_u32_e32 v70, -1, v0
	s_movk_i32 s12, 0x108
	s_mov_b64 s[6:7], 0
.LBB31_303:                             ; =>This Inner Loop Header: Depth=1
	v_mov_b32_e32 v73, s14
	buffer_load_dword v71, v73, s[0:3], 0 offen
	buffer_load_dword v72, v73, s[0:3], 0 offen offset:4
	v_mov_b32_e32 v73, s12
	ds_read_b64 v[73:74], v73
	v_add_u32_e32 v70, -1, v70
	s_add_i32 s12, s12, 8
	s_add_i32 s14, s14, 8
	v_cmp_eq_u32_e32 vcc, 0, v70
	s_or_b64 s[6:7], vcc, s[6:7]
	s_waitcnt vmcnt(0) lgkmcnt(0)
	v_fma_f64 v[65:66], v[71:72], v[73:74], v[65:66]
	s_andn2_b64 exec, exec, s[6:7]
	s_cbranch_execnz .LBB31_303
; %bb.304:
	s_or_b64 exec, exec, s[6:7]
.LBB31_305:
	s_or_b64 exec, exec, s[8:9]
	v_mov_b32_e32 v70, 0
	ds_read_b64 v[70:71], v70
	s_waitcnt lgkmcnt(0)
	v_mul_f64 v[65:66], v[65:66], v[70:71]
	buffer_store_dword v66, off, s[0:3], 0 offset:4
	buffer_store_dword v65, off, s[0:3], 0
.LBB31_306:
	s_or_b64 exec, exec, s[4:5]
	s_mov_b64 s[4:5], 0
.LBB31_307:
	s_and_b64 vcc, exec, s[4:5]
	s_cbranch_vccz .LBB31_609
; %bb.308:
	buffer_load_dword v65, off, s[0:3], 0 offset:8
	buffer_load_dword v66, off, s[0:3], 0 offset:12
	v_cmp_eq_u32_e64 s[6:7], 0, v0
	s_waitcnt vmcnt(0)
	ds_write_b64 v68, v[65:66]
	s_waitcnt lgkmcnt(0)
	; wave barrier
	s_and_saveexec_b64 s[4:5], s[6:7]
	s_cbranch_execz .LBB31_314
; %bb.309:
	s_and_b64 vcc, exec, s[10:11]
	s_cbranch_vccz .LBB31_311
; %bb.310:
	buffer_load_dword v65, v69, s[0:3], 0 offen
	buffer_load_dword v66, v69, s[0:3], 0 offen offset:4
	ds_read_b64 v[70:71], v68
	s_waitcnt vmcnt(0) lgkmcnt(0)
	v_mul_f64 v[65:66], v[65:66], v[70:71]
	s_cbranch_execz .LBB31_312
	s_branch .LBB31_313
.LBB31_311:
                                        ; implicit-def: $vgpr65_vgpr66
.LBB31_312:
	ds_read_b64 v[65:66], v68
.LBB31_313:
	v_mov_b32_e32 v70, 0
	ds_read_b64 v[70:71], v70 offset:8
	s_waitcnt lgkmcnt(0)
	v_mul_f64 v[65:66], v[65:66], v[70:71]
	buffer_store_dword v66, off, s[0:3], 0 offset:12
	buffer_store_dword v65, off, s[0:3], 0 offset:8
.LBB31_314:
	s_or_b64 exec, exec, s[4:5]
	buffer_load_dword v65, off, s[0:3], 0 offset:16
	buffer_load_dword v66, off, s[0:3], 0 offset:20
	v_cndmask_b32_e64 v70, 0, 1, s[10:11]
	v_cmp_gt_u32_e32 vcc, 2, v0
	v_cmp_ne_u32_e64 s[4:5], 1, v70
	s_waitcnt vmcnt(0)
	ds_write_b64 v68, v[65:66]
	s_waitcnt lgkmcnt(0)
	; wave barrier
	s_and_saveexec_b64 s[8:9], vcc
	s_cbranch_execz .LBB31_320
; %bb.315:
	s_and_b64 vcc, exec, s[4:5]
	s_cbranch_vccnz .LBB31_317
; %bb.316:
	buffer_load_dword v65, v69, s[0:3], 0 offen
	buffer_load_dword v66, v69, s[0:3], 0 offen offset:4
	ds_read_b64 v[70:71], v68
	s_waitcnt vmcnt(0) lgkmcnt(0)
	v_mul_f64 v[65:66], v[65:66], v[70:71]
	s_cbranch_execz .LBB31_318
	s_branch .LBB31_319
.LBB31_317:
                                        ; implicit-def: $vgpr65_vgpr66
.LBB31_318:
	ds_read_b64 v[65:66], v68
.LBB31_319:
	buffer_load_dword v74, off, s[0:3], 0 offset:8
	buffer_load_dword v75, off, s[0:3], 0 offset:12
	v_mov_b32_e32 v70, 0
	ds_read2_b64 v[70:73], v70 offset0:2 offset1:33
	s_waitcnt vmcnt(0) lgkmcnt(0)
	v_fma_f64 v[72:73], v[74:75], v[72:73], v[65:66]
	v_cndmask_b32_e64 v66, v66, v73, s[6:7]
	v_cndmask_b32_e64 v65, v65, v72, s[6:7]
	v_mul_f64 v[65:66], v[65:66], v[70:71]
	buffer_store_dword v66, off, s[0:3], 0 offset:20
	buffer_store_dword v65, off, s[0:3], 0 offset:16
.LBB31_320:
	s_or_b64 exec, exec, s[8:9]
	buffer_load_dword v65, off, s[0:3], 0 offset:24
	buffer_load_dword v66, off, s[0:3], 0 offset:28
	v_cmp_gt_u32_e32 vcc, 3, v0
	s_waitcnt vmcnt(0)
	ds_write_b64 v68, v[65:66]
	s_waitcnt lgkmcnt(0)
	; wave barrier
	s_and_saveexec_b64 s[8:9], vcc
	s_cbranch_execz .LBB31_328
; %bb.321:
	s_and_b64 vcc, exec, s[4:5]
	s_cbranch_vccnz .LBB31_323
; %bb.322:
	buffer_load_dword v65, v69, s[0:3], 0 offen
	buffer_load_dword v66, v69, s[0:3], 0 offen offset:4
	ds_read_b64 v[70:71], v68
	s_waitcnt vmcnt(0) lgkmcnt(0)
	v_mul_f64 v[65:66], v[65:66], v[70:71]
	s_cbranch_execz .LBB31_324
	s_branch .LBB31_325
.LBB31_323:
                                        ; implicit-def: $vgpr65_vgpr66
.LBB31_324:
	ds_read_b64 v[65:66], v68
.LBB31_325:
	v_cmp_ne_u32_e32 vcc, 2, v0
	s_and_saveexec_b64 s[10:11], vcc
	s_cbranch_execz .LBB31_327
; %bb.326:
	buffer_load_dword v70, v69, s[0:3], 0 offen offset:8
	buffer_load_dword v71, v69, s[0:3], 0 offen offset:12
	buffer_load_dword v72, off, s[0:3], 0 offset:16
	buffer_load_dword v73, off, s[0:3], 0 offset:20
	ds_read_b64 v[74:75], v68 offset:8
	v_mov_b32_e32 v76, 0
	ds_read_b64 v[76:77], v76 offset:272
	s_waitcnt vmcnt(2) lgkmcnt(1)
	v_fma_f64 v[65:66], v[70:71], v[74:75], v[65:66]
	s_waitcnt vmcnt(0) lgkmcnt(0)
	v_fma_f64 v[70:71], v[72:73], v[76:77], v[65:66]
	v_cndmask_b32_e64 v66, v66, v71, s[6:7]
	v_cndmask_b32_e64 v65, v65, v70, s[6:7]
.LBB31_327:
	s_or_b64 exec, exec, s[10:11]
	v_mov_b32_e32 v70, 0
	ds_read_b64 v[70:71], v70 offset:24
	s_waitcnt lgkmcnt(0)
	v_mul_f64 v[65:66], v[65:66], v[70:71]
	buffer_store_dword v66, off, s[0:3], 0 offset:28
	buffer_store_dword v65, off, s[0:3], 0 offset:24
.LBB31_328:
	s_or_b64 exec, exec, s[8:9]
	buffer_load_dword v65, off, s[0:3], 0 offset:32
	buffer_load_dword v66, off, s[0:3], 0 offset:36
	v_cmp_gt_u32_e32 vcc, 4, v0
	s_waitcnt vmcnt(0)
	ds_write_b64 v68, v[65:66]
	s_waitcnt lgkmcnt(0)
	; wave barrier
	s_and_saveexec_b64 s[6:7], vcc
	s_cbranch_execz .LBB31_338
; %bb.329:
	s_and_b64 vcc, exec, s[4:5]
	s_cbranch_vccnz .LBB31_331
; %bb.330:
	buffer_load_dword v65, v69, s[0:3], 0 offen
	buffer_load_dword v66, v69, s[0:3], 0 offen offset:4
	ds_read_b64 v[70:71], v68
	s_waitcnt vmcnt(0) lgkmcnt(0)
	v_mul_f64 v[65:66], v[65:66], v[70:71]
	s_cbranch_execz .LBB31_332
	s_branch .LBB31_333
.LBB31_331:
                                        ; implicit-def: $vgpr65_vgpr66
.LBB31_332:
	ds_read_b64 v[65:66], v68
.LBB31_333:
	v_cmp_ne_u32_e32 vcc, 3, v0
	s_and_saveexec_b64 s[8:9], vcc
	s_cbranch_execz .LBB31_337
; %bb.334:
	s_mov_b32 s10, 0
	v_add_u32_e32 v70, 0x108, v67
	v_add3_u32 v71, v67, s10, 8
	s_mov_b64 s[10:11], 0
	v_mov_b32_e32 v72, v0
.LBB31_335:                             ; =>This Inner Loop Header: Depth=1
	buffer_load_dword v73, v71, s[0:3], 0 offen
	buffer_load_dword v74, v71, s[0:3], 0 offen offset:4
	ds_read_b64 v[75:76], v70
	v_add_u32_e32 v72, 1, v72
	v_cmp_lt_u32_e32 vcc, 2, v72
	v_add_u32_e32 v70, 8, v70
	s_or_b64 s[10:11], vcc, s[10:11]
	v_add_u32_e32 v71, 8, v71
	s_waitcnt vmcnt(0) lgkmcnt(0)
	v_fma_f64 v[65:66], v[73:74], v[75:76], v[65:66]
	s_andn2_b64 exec, exec, s[10:11]
	s_cbranch_execnz .LBB31_335
; %bb.336:
	s_or_b64 exec, exec, s[10:11]
.LBB31_337:
	s_or_b64 exec, exec, s[8:9]
	v_mov_b32_e32 v70, 0
	ds_read_b64 v[70:71], v70 offset:32
	s_waitcnt lgkmcnt(0)
	v_mul_f64 v[65:66], v[65:66], v[70:71]
	buffer_store_dword v66, off, s[0:3], 0 offset:36
	buffer_store_dword v65, off, s[0:3], 0 offset:32
.LBB31_338:
	s_or_b64 exec, exec, s[6:7]
	buffer_load_dword v65, off, s[0:3], 0 offset:40
	buffer_load_dword v66, off, s[0:3], 0 offset:44
	v_cmp_gt_u32_e32 vcc, 5, v0
	s_waitcnt vmcnt(0)
	ds_write_b64 v68, v[65:66]
	s_waitcnt lgkmcnt(0)
	; wave barrier
	s_and_saveexec_b64 s[6:7], vcc
	s_cbranch_execz .LBB31_348
; %bb.339:
	s_and_b64 vcc, exec, s[4:5]
	s_cbranch_vccnz .LBB31_341
; %bb.340:
	buffer_load_dword v65, v69, s[0:3], 0 offen
	buffer_load_dword v66, v69, s[0:3], 0 offen offset:4
	ds_read_b64 v[70:71], v68
	s_waitcnt vmcnt(0) lgkmcnt(0)
	v_mul_f64 v[65:66], v[65:66], v[70:71]
	s_cbranch_execz .LBB31_342
	s_branch .LBB31_343
.LBB31_341:
                                        ; implicit-def: $vgpr65_vgpr66
.LBB31_342:
	ds_read_b64 v[65:66], v68
.LBB31_343:
	v_cmp_ne_u32_e32 vcc, 4, v0
	s_and_saveexec_b64 s[8:9], vcc
	s_cbranch_execz .LBB31_347
; %bb.344:
	s_mov_b32 s10, 0
	v_add_u32_e32 v70, 0x108, v67
	v_add3_u32 v71, v67, s10, 8
	s_mov_b64 s[10:11], 0
	v_mov_b32_e32 v72, v0
.LBB31_345:                             ; =>This Inner Loop Header: Depth=1
	buffer_load_dword v73, v71, s[0:3], 0 offen
	buffer_load_dword v74, v71, s[0:3], 0 offen offset:4
	ds_read_b64 v[75:76], v70
	v_add_u32_e32 v72, 1, v72
	v_cmp_lt_u32_e32 vcc, 3, v72
	v_add_u32_e32 v70, 8, v70
	s_or_b64 s[10:11], vcc, s[10:11]
	v_add_u32_e32 v71, 8, v71
	s_waitcnt vmcnt(0) lgkmcnt(0)
	v_fma_f64 v[65:66], v[73:74], v[75:76], v[65:66]
	s_andn2_b64 exec, exec, s[10:11]
	s_cbranch_execnz .LBB31_345
; %bb.346:
	s_or_b64 exec, exec, s[10:11]
.LBB31_347:
	s_or_b64 exec, exec, s[8:9]
	v_mov_b32_e32 v70, 0
	ds_read_b64 v[70:71], v70 offset:40
	s_waitcnt lgkmcnt(0)
	v_mul_f64 v[65:66], v[65:66], v[70:71]
	buffer_store_dword v66, off, s[0:3], 0 offset:44
	buffer_store_dword v65, off, s[0:3], 0 offset:40
.LBB31_348:
	;; [unrolled: 59-line block ×26, first 2 shown]
	s_or_b64 exec, exec, s[6:7]
	buffer_load_dword v65, off, s[0:3], 0 offset:240
	buffer_load_dword v66, off, s[0:3], 0 offset:244
	v_cmp_gt_u32_e64 s[6:7], 30, v0
	s_waitcnt vmcnt(0)
	ds_write_b64 v68, v[65:66]
	s_waitcnt lgkmcnt(0)
	; wave barrier
	s_and_saveexec_b64 s[8:9], s[6:7]
	s_cbranch_execz .LBB31_598
; %bb.589:
	s_and_b64 vcc, exec, s[4:5]
	s_cbranch_vccnz .LBB31_591
; %bb.590:
	buffer_load_dword v65, v69, s[0:3], 0 offen
	buffer_load_dword v66, v69, s[0:3], 0 offen offset:4
	ds_read_b64 v[70:71], v68
	s_waitcnt vmcnt(0) lgkmcnt(0)
	v_mul_f64 v[65:66], v[65:66], v[70:71]
	s_cbranch_execz .LBB31_592
	s_branch .LBB31_593
.LBB31_591:
                                        ; implicit-def: $vgpr65_vgpr66
.LBB31_592:
	ds_read_b64 v[65:66], v68
.LBB31_593:
	v_cmp_ne_u32_e32 vcc, 29, v0
	s_and_saveexec_b64 s[10:11], vcc
	s_cbranch_execz .LBB31_597
; %bb.594:
	s_mov_b32 s12, 0
	v_add_u32_e32 v70, 0x108, v67
	v_add3_u32 v71, v67, s12, 8
	s_mov_b64 s[12:13], 0
	v_mov_b32_e32 v72, v0
.LBB31_595:                             ; =>This Inner Loop Header: Depth=1
	buffer_load_dword v73, v71, s[0:3], 0 offen
	buffer_load_dword v74, v71, s[0:3], 0 offen offset:4
	ds_read_b64 v[75:76], v70
	v_add_u32_e32 v72, 1, v72
	v_cmp_lt_u32_e32 vcc, 28, v72
	v_add_u32_e32 v70, 8, v70
	s_or_b64 s[12:13], vcc, s[12:13]
	v_add_u32_e32 v71, 8, v71
	s_waitcnt vmcnt(0) lgkmcnt(0)
	v_fma_f64 v[65:66], v[73:74], v[75:76], v[65:66]
	s_andn2_b64 exec, exec, s[12:13]
	s_cbranch_execnz .LBB31_595
; %bb.596:
	s_or_b64 exec, exec, s[12:13]
.LBB31_597:
	s_or_b64 exec, exec, s[10:11]
	v_mov_b32_e32 v70, 0
	ds_read_b64 v[70:71], v70 offset:240
	s_waitcnt lgkmcnt(0)
	v_mul_f64 v[65:66], v[65:66], v[70:71]
	buffer_store_dword v66, off, s[0:3], 0 offset:244
	buffer_store_dword v65, off, s[0:3], 0 offset:240
.LBB31_598:
	s_or_b64 exec, exec, s[8:9]
	buffer_load_dword v65, off, s[0:3], 0 offset:248
	buffer_load_dword v66, off, s[0:3], 0 offset:252
	v_cmp_ne_u32_e32 vcc, 31, v0
	s_waitcnt vmcnt(0)
	ds_write_b64 v68, v[65:66]
	s_waitcnt lgkmcnt(0)
	; wave barrier
	s_and_saveexec_b64 s[8:9], vcc
	s_cbranch_execz .LBB31_608
; %bb.599:
	s_and_b64 vcc, exec, s[4:5]
	s_cbranch_vccnz .LBB31_601
; %bb.600:
	buffer_load_dword v65, v69, s[0:3], 0 offen
	buffer_load_dword v66, v69, s[0:3], 0 offen offset:4
	ds_read_b64 v[69:70], v68
	s_waitcnt vmcnt(0) lgkmcnt(0)
	v_mul_f64 v[65:66], v[65:66], v[69:70]
	s_cbranch_execz .LBB31_602
	s_branch .LBB31_603
.LBB31_601:
                                        ; implicit-def: $vgpr65_vgpr66
.LBB31_602:
	ds_read_b64 v[65:66], v68
.LBB31_603:
	s_and_saveexec_b64 s[4:5], s[6:7]
	s_cbranch_execz .LBB31_607
; %bb.604:
	s_mov_b32 s6, 0
	v_add_u32_e32 v68, 0x108, v67
	v_add3_u32 v67, v67, s6, 8
	s_mov_b64 s[6:7], 0
.LBB31_605:                             ; =>This Inner Loop Header: Depth=1
	buffer_load_dword v69, v67, s[0:3], 0 offen
	buffer_load_dword v70, v67, s[0:3], 0 offen offset:4
	ds_read_b64 v[71:72], v68
	v_add_u32_e32 v0, 1, v0
	v_cmp_lt_u32_e32 vcc, 29, v0
	v_add_u32_e32 v68, 8, v68
	s_or_b64 s[6:7], vcc, s[6:7]
	v_add_u32_e32 v67, 8, v67
	s_waitcnt vmcnt(0) lgkmcnt(0)
	v_fma_f64 v[65:66], v[69:70], v[71:72], v[65:66]
	s_andn2_b64 exec, exec, s[6:7]
	s_cbranch_execnz .LBB31_605
; %bb.606:
	s_or_b64 exec, exec, s[6:7]
.LBB31_607:
	s_or_b64 exec, exec, s[4:5]
	v_mov_b32_e32 v0, 0
	ds_read_b64 v[67:68], v0 offset:248
	s_waitcnt lgkmcnt(0)
	v_mul_f64 v[65:66], v[65:66], v[67:68]
	buffer_store_dword v66, off, s[0:3], 0 offset:252
	buffer_store_dword v65, off, s[0:3], 0 offset:248
.LBB31_608:
	s_or_b64 exec, exec, s[8:9]
.LBB31_609:
	buffer_load_dword v65, off, s[0:3], 0
	buffer_load_dword v66, off, s[0:3], 0 offset:4
	buffer_load_dword v67, off, s[0:3], 0 offset:8
	;; [unrolled: 1-line block ×15, first 2 shown]
	s_waitcnt vmcnt(14)
	global_store_dwordx2 v[61:62], v[65:66], off
	s_waitcnt vmcnt(13)
	global_store_dwordx2 v[63:64], v[67:68], off
	buffer_load_dword v62, off, s[0:3], 0 offset:68
	s_nop 0
	buffer_load_dword v63, off, s[0:3], 0 offset:72
	buffer_load_dword v64, off, s[0:3], 0 offset:76
	;; [unrolled: 1-line block ×7, first 2 shown]
	s_waitcnt vmcnt(20)
	global_store_dwordx2 v[1:2], v[69:70], off
	s_waitcnt vmcnt(19)
	global_store_dwordx2 v[7:8], v[71:72], off
	buffer_load_dword v0, off, s[0:3], 0 offset:96
	buffer_load_dword v1, off, s[0:3], 0 offset:100
	s_nop 0
	buffer_load_dword v7, off, s[0:3], 0 offset:104
	buffer_load_dword v8, off, s[0:3], 0 offset:108
	buffer_load_dword v69, off, s[0:3], 0 offset:112
	buffer_load_dword v70, off, s[0:3], 0 offset:116
	buffer_load_dword v71, off, s[0:3], 0 offset:120
	buffer_load_dword v72, off, s[0:3], 0 offset:124
	s_waitcnt vmcnt(26)
	global_store_dwordx2 v[3:4], v[73:74], off
	s_waitcnt vmcnt(25)
	global_store_dwordx2 v[11:12], v[75:76], off
	buffer_load_dword v2, off, s[0:3], 0 offset:128
	buffer_load_dword v3, off, s[0:3], 0 offset:132
	s_nop 0
	buffer_load_dword v11, off, s[0:3], 0 offset:136
	buffer_load_dword v12, off, s[0:3], 0 offset:140
	buffer_load_dword v73, off, s[0:3], 0 offset:144
	buffer_load_dword v74, off, s[0:3], 0 offset:148
	buffer_load_dword v75, off, s[0:3], 0 offset:152
	buffer_load_dword v76, off, s[0:3], 0 offset:156
	;; [unrolled: 13-line block ×3, first 2 shown]
	s_waitcnt vmcnt(30)
	global_store_dwordx2 v[9:10], v[61:62], off
	global_store_dwordx2 v[17:18], v[63:64], off
	buffer_load_dword v9, off, s[0:3], 0 offset:192
	s_nop 0
	buffer_load_dword v10, off, s[0:3], 0 offset:196
	buffer_load_dword v17, off, s[0:3], 0 offset:200
	;; [unrolled: 1-line block ×7, first 2 shown]
	s_nop 0
	global_store_dwordx2 v[15:16], v[65:66], off
	global_store_dwordx2 v[21:22], v[67:68], off
	buffer_load_dword v15, off, s[0:3], 0 offset:224
	s_nop 0
	buffer_load_dword v16, off, s[0:3], 0 offset:228
	buffer_load_dword v21, off, s[0:3], 0 offset:232
	;; [unrolled: 1-line block ×7, first 2 shown]
	s_waitcnt vmcnt(46)
	global_store_dwordx2 v[19:20], v[0:1], off
	s_waitcnt vmcnt(45)
	global_store_dwordx2 v[23:24], v[7:8], off
	s_waitcnt vmcnt(44)
	global_store_dwordx2 v[25:26], v[69:70], off
	s_waitcnt vmcnt(43)
	global_store_dwordx2 v[27:28], v[71:72], off
	s_waitcnt vmcnt(40)
	global_store_dwordx2 v[29:30], v[2:3], off
	s_waitcnt vmcnt(39)
	global_store_dwordx2 v[31:32], v[11:12], off
	s_waitcnt vmcnt(38)
	global_store_dwordx2 v[33:34], v[73:74], off
	s_waitcnt vmcnt(37)
	global_store_dwordx2 v[35:36], v[75:76], off
	s_waitcnt vmcnt(34)
	global_store_dwordx2 v[37:38], v[4:5], off
	s_waitcnt vmcnt(33)
	global_store_dwordx2 v[39:40], v[13:14], off
	s_waitcnt vmcnt(32)
	global_store_dwordx2 v[41:42], v[77:78], off
	s_waitcnt vmcnt(31)
	global_store_dwordx2 v[43:44], v[79:80], off
	s_waitcnt vmcnt(28)
	global_store_dwordx2 v[45:46], v[9:10], off
	s_waitcnt vmcnt(27)
	global_store_dwordx2 v[47:48], v[17:18], off
	s_waitcnt vmcnt(26)
	global_store_dwordx2 v[49:50], v[61:62], off
	s_waitcnt vmcnt(25)
	global_store_dwordx2 v[51:52], v[63:64], off
	s_waitcnt vmcnt(22)
	global_store_dwordx2 v[53:54], v[15:16], off
	s_waitcnt vmcnt(21)
	global_store_dwordx2 v[55:56], v[21:22], off
	s_waitcnt vmcnt(20)
	global_store_dwordx2 v[57:58], v[65:66], off
	s_waitcnt vmcnt(19)
	global_store_dwordx2 v[59:60], v[67:68], off
.LBB31_610:
	s_endpgm
	.section	.rodata,"a",@progbits
	.p2align	6, 0x0
	.amdhsa_kernel _ZN9rocsolver6v33100L18trti2_kernel_smallILi32EdPdEEv13rocblas_fill_17rocblas_diagonal_T1_iil
		.amdhsa_group_segment_fixed_size 512
		.amdhsa_private_segment_fixed_size 272
		.amdhsa_kernarg_size 32
		.amdhsa_user_sgpr_count 6
		.amdhsa_user_sgpr_private_segment_buffer 1
		.amdhsa_user_sgpr_dispatch_ptr 0
		.amdhsa_user_sgpr_queue_ptr 0
		.amdhsa_user_sgpr_kernarg_segment_ptr 1
		.amdhsa_user_sgpr_dispatch_id 0
		.amdhsa_user_sgpr_flat_scratch_init 0
		.amdhsa_user_sgpr_private_segment_size 0
		.amdhsa_uses_dynamic_stack 0
		.amdhsa_system_sgpr_private_segment_wavefront_offset 1
		.amdhsa_system_sgpr_workgroup_id_x 1
		.amdhsa_system_sgpr_workgroup_id_y 0
		.amdhsa_system_sgpr_workgroup_id_z 0
		.amdhsa_system_sgpr_workgroup_info 0
		.amdhsa_system_vgpr_workitem_id 0
		.amdhsa_next_free_vgpr 81
		.amdhsa_next_free_sgpr 45
		.amdhsa_reserve_vcc 1
		.amdhsa_reserve_flat_scratch 0
		.amdhsa_float_round_mode_32 0
		.amdhsa_float_round_mode_16_64 0
		.amdhsa_float_denorm_mode_32 3
		.amdhsa_float_denorm_mode_16_64 3
		.amdhsa_dx10_clamp 1
		.amdhsa_ieee_mode 1
		.amdhsa_fp16_overflow 0
		.amdhsa_exception_fp_ieee_invalid_op 0
		.amdhsa_exception_fp_denorm_src 0
		.amdhsa_exception_fp_ieee_div_zero 0
		.amdhsa_exception_fp_ieee_overflow 0
		.amdhsa_exception_fp_ieee_underflow 0
		.amdhsa_exception_fp_ieee_inexact 0
		.amdhsa_exception_int_div_zero 0
	.end_amdhsa_kernel
	.section	.text._ZN9rocsolver6v33100L18trti2_kernel_smallILi32EdPdEEv13rocblas_fill_17rocblas_diagonal_T1_iil,"axG",@progbits,_ZN9rocsolver6v33100L18trti2_kernel_smallILi32EdPdEEv13rocblas_fill_17rocblas_diagonal_T1_iil,comdat
.Lfunc_end31:
	.size	_ZN9rocsolver6v33100L18trti2_kernel_smallILi32EdPdEEv13rocblas_fill_17rocblas_diagonal_T1_iil, .Lfunc_end31-_ZN9rocsolver6v33100L18trti2_kernel_smallILi32EdPdEEv13rocblas_fill_17rocblas_diagonal_T1_iil
                                        ; -- End function
	.set _ZN9rocsolver6v33100L18trti2_kernel_smallILi32EdPdEEv13rocblas_fill_17rocblas_diagonal_T1_iil.num_vgpr, 81
	.set _ZN9rocsolver6v33100L18trti2_kernel_smallILi32EdPdEEv13rocblas_fill_17rocblas_diagonal_T1_iil.num_agpr, 0
	.set _ZN9rocsolver6v33100L18trti2_kernel_smallILi32EdPdEEv13rocblas_fill_17rocblas_diagonal_T1_iil.numbered_sgpr, 45
	.set _ZN9rocsolver6v33100L18trti2_kernel_smallILi32EdPdEEv13rocblas_fill_17rocblas_diagonal_T1_iil.num_named_barrier, 0
	.set _ZN9rocsolver6v33100L18trti2_kernel_smallILi32EdPdEEv13rocblas_fill_17rocblas_diagonal_T1_iil.private_seg_size, 272
	.set _ZN9rocsolver6v33100L18trti2_kernel_smallILi32EdPdEEv13rocblas_fill_17rocblas_diagonal_T1_iil.uses_vcc, 1
	.set _ZN9rocsolver6v33100L18trti2_kernel_smallILi32EdPdEEv13rocblas_fill_17rocblas_diagonal_T1_iil.uses_flat_scratch, 0
	.set _ZN9rocsolver6v33100L18trti2_kernel_smallILi32EdPdEEv13rocblas_fill_17rocblas_diagonal_T1_iil.has_dyn_sized_stack, 0
	.set _ZN9rocsolver6v33100L18trti2_kernel_smallILi32EdPdEEv13rocblas_fill_17rocblas_diagonal_T1_iil.has_recursion, 0
	.set _ZN9rocsolver6v33100L18trti2_kernel_smallILi32EdPdEEv13rocblas_fill_17rocblas_diagonal_T1_iil.has_indirect_call, 0
	.section	.AMDGPU.csdata,"",@progbits
; Kernel info:
; codeLenInByte = 18668
; TotalNumSgprs: 49
; NumVgprs: 81
; ScratchSize: 272
; MemoryBound: 0
; FloatMode: 240
; IeeeMode: 1
; LDSByteSize: 512 bytes/workgroup (compile time only)
; SGPRBlocks: 6
; VGPRBlocks: 20
; NumSGPRsForWavesPerEU: 49
; NumVGPRsForWavesPerEU: 81
; Occupancy: 3
; WaveLimiterHint : 0
; COMPUTE_PGM_RSRC2:SCRATCH_EN: 1
; COMPUTE_PGM_RSRC2:USER_SGPR: 6
; COMPUTE_PGM_RSRC2:TRAP_HANDLER: 0
; COMPUTE_PGM_RSRC2:TGID_X_EN: 1
; COMPUTE_PGM_RSRC2:TGID_Y_EN: 0
; COMPUTE_PGM_RSRC2:TGID_Z_EN: 0
; COMPUTE_PGM_RSRC2:TIDIG_COMP_CNT: 0
	.section	.text._ZN9rocsolver6v33100L18trti2_kernel_smallILi33EdPdEEv13rocblas_fill_17rocblas_diagonal_T1_iil,"axG",@progbits,_ZN9rocsolver6v33100L18trti2_kernel_smallILi33EdPdEEv13rocblas_fill_17rocblas_diagonal_T1_iil,comdat
	.globl	_ZN9rocsolver6v33100L18trti2_kernel_smallILi33EdPdEEv13rocblas_fill_17rocblas_diagonal_T1_iil ; -- Begin function _ZN9rocsolver6v33100L18trti2_kernel_smallILi33EdPdEEv13rocblas_fill_17rocblas_diagonal_T1_iil
	.p2align	8
	.type	_ZN9rocsolver6v33100L18trti2_kernel_smallILi33EdPdEEv13rocblas_fill_17rocblas_diagonal_T1_iil,@function
_ZN9rocsolver6v33100L18trti2_kernel_smallILi33EdPdEEv13rocblas_fill_17rocblas_diagonal_T1_iil: ; @_ZN9rocsolver6v33100L18trti2_kernel_smallILi33EdPdEEv13rocblas_fill_17rocblas_diagonal_T1_iil
; %bb.0:
	s_add_u32 s0, s0, s7
	s_addc_u32 s1, s1, 0
	v_cmp_gt_u32_e32 vcc, 33, v0
	s_and_saveexec_b64 s[8:9], vcc
	s_cbranch_execz .LBB32_630
; %bb.1:
	s_load_dwordx8 s[8:15], s[4:5], 0x0
	s_ashr_i32 s7, s6, 31
	v_lshlrev_b32_e32 v69, 3, v0
	s_waitcnt lgkmcnt(0)
	s_ashr_i32 s5, s12, 31
	s_mov_b32 s4, s12
	s_mul_hi_u32 s12, s14, s6
	s_mul_i32 s7, s14, s7
	s_add_i32 s7, s12, s7
	s_mul_i32 s12, s15, s6
	s_add_i32 s7, s7, s12
	s_mul_i32 s6, s14, s6
	s_lshl_b64 s[6:7], s[6:7], 3
	s_add_u32 s6, s10, s6
	s_addc_u32 s7, s11, s7
	s_lshl_b64 s[4:5], s[4:5], 3
	s_add_u32 s4, s6, s4
	s_addc_u32 s5, s7, s5
	s_add_i32 s6, s13, s13
	v_add_u32_e32 v1, s6, v0
	v_ashrrev_i32_e32 v2, 31, v1
	v_lshlrev_b64 v[2:3], 3, v[1:2]
	v_mov_b32_e32 v4, s5
	v_add_co_u32_e32 v13, vcc, s4, v2
	v_addc_co_u32_e32 v14, vcc, v4, v3, vcc
	v_add_u32_e32 v3, s13, v1
	v_ashrrev_i32_e32 v4, 31, v3
	v_lshlrev_b64 v[1:2], 3, v[3:4]
	v_mov_b32_e32 v4, s5
	v_add_co_u32_e32 v1, vcc, s4, v1
	v_add_u32_e32 v3, s13, v3
	v_addc_co_u32_e32 v2, vcc, v4, v2, vcc
	v_ashrrev_i32_e32 v4, 31, v3
	v_lshlrev_b64 v[5:6], 3, v[3:4]
	v_add_u32_e32 v7, s13, v3
	v_mov_b32_e32 v4, s5
	v_add_co_u32_e32 v5, vcc, s4, v5
	v_ashrrev_i32_e32 v8, 31, v7
	v_addc_co_u32_e32 v6, vcc, v4, v6, vcc
	v_lshlrev_b64 v[3:4], 3, v[7:8]
	v_mov_b32_e32 v8, s5
	v_add_co_u32_e32 v3, vcc, s4, v3
	v_add_u32_e32 v7, s13, v7
	v_addc_co_u32_e32 v4, vcc, v8, v4, vcc
	v_ashrrev_i32_e32 v8, 31, v7
	v_lshlrev_b64 v[8:9], 3, v[7:8]
	v_mov_b32_e32 v10, s5
	v_add_co_u32_e32 v11, vcc, s4, v8
	v_addc_co_u32_e32 v12, vcc, v10, v9, vcc
	v_add_u32_e32 v9, s13, v7
	v_ashrrev_i32_e32 v10, 31, v9
	v_lshlrev_b64 v[7:8], 3, v[9:10]
	v_mov_b32_e32 v10, s5
	v_add_co_u32_e32 v7, vcc, s4, v7
	v_add_u32_e32 v9, s13, v9
	v_addc_co_u32_e32 v8, vcc, v10, v8, vcc
	v_ashrrev_i32_e32 v10, 31, v9
	v_lshlrev_b64 v[15:16], 3, v[9:10]
	v_add_u32_e32 v17, s13, v9
	v_mov_b32_e32 v10, s5
	v_add_co_u32_e32 v15, vcc, s4, v15
	v_ashrrev_i32_e32 v18, 31, v17
	v_addc_co_u32_e32 v16, vcc, v10, v16, vcc
	v_lshlrev_b64 v[9:10], 3, v[17:18]
	v_mov_b32_e32 v18, s5
	v_add_co_u32_e32 v9, vcc, s4, v9
	v_add_u32_e32 v17, s13, v17
	v_addc_co_u32_e32 v10, vcc, v18, v10, vcc
	v_ashrrev_i32_e32 v18, 31, v17
	v_lshlrev_b64 v[18:19], 3, v[17:18]
	v_mov_b32_e32 v20, s5
	v_add_co_u32_e32 v21, vcc, s4, v18
	v_addc_co_u32_e32 v22, vcc, v20, v19, vcc
	v_add_u32_e32 v19, s13, v17
	v_ashrrev_i32_e32 v20, 31, v19
	v_lshlrev_b64 v[17:18], 3, v[19:20]
	v_add_u32_e32 v19, s13, v19
	v_mov_b32_e32 v23, s5
	v_add_co_u32_e32 v17, vcc, s4, v17
	v_ashrrev_i32_e32 v20, 31, v19
	v_addc_co_u32_e32 v18, vcc, v23, v18, vcc
	v_lshlrev_b64 v[23:24], 3, v[19:20]
	v_mov_b32_e32 v25, s5
	v_add_co_u32_e32 v23, vcc, s4, v23
	v_addc_co_u32_e32 v24, vcc, v25, v24, vcc
	v_add_u32_e32 v25, s13, v19
	v_ashrrev_i32_e32 v26, 31, v25
	v_lshlrev_b64 v[19:20], 3, v[25:26]
	v_mov_b32_e32 v27, s5
	v_add_co_u32_e32 v19, vcc, s4, v19
	v_addc_co_u32_e32 v20, vcc, v27, v20, vcc
	v_add_u32_e32 v27, s13, v25
	v_ashrrev_i32_e32 v28, 31, v27
	v_lshlrev_b64 v[25:26], 3, v[27:28]
	v_mov_b32_e32 v29, s5
	v_add_co_u32_e32 v25, vcc, s4, v25
	v_addc_co_u32_e32 v26, vcc, v29, v26, vcc
	v_add_u32_e32 v29, s13, v27
	v_ashrrev_i32_e32 v30, 31, v29
	v_lshlrev_b64 v[27:28], 3, v[29:30]
	v_mov_b32_e32 v31, s5
	v_add_co_u32_e32 v27, vcc, s4, v27
	v_addc_co_u32_e32 v28, vcc, v31, v28, vcc
	v_add_u32_e32 v31, s13, v29
	v_ashrrev_i32_e32 v32, 31, v31
	v_lshlrev_b64 v[29:30], 3, v[31:32]
	v_mov_b32_e32 v33, s5
	v_add_co_u32_e32 v29, vcc, s4, v29
	v_addc_co_u32_e32 v30, vcc, v33, v30, vcc
	v_add_u32_e32 v33, s13, v31
	v_ashrrev_i32_e32 v34, 31, v33
	v_lshlrev_b64 v[31:32], 3, v[33:34]
	v_mov_b32_e32 v35, s5
	v_add_co_u32_e32 v31, vcc, s4, v31
	v_addc_co_u32_e32 v32, vcc, v35, v32, vcc
	v_add_u32_e32 v35, s13, v33
	v_ashrrev_i32_e32 v36, 31, v35
	v_lshlrev_b64 v[33:34], 3, v[35:36]
	v_mov_b32_e32 v37, s5
	v_add_co_u32_e32 v33, vcc, s4, v33
	v_addc_co_u32_e32 v34, vcc, v37, v34, vcc
	v_add_u32_e32 v37, s13, v35
	v_ashrrev_i32_e32 v38, 31, v37
	v_lshlrev_b64 v[35:36], 3, v[37:38]
	v_mov_b32_e32 v39, s5
	v_add_co_u32_e32 v35, vcc, s4, v35
	v_addc_co_u32_e32 v36, vcc, v39, v36, vcc
	v_add_u32_e32 v39, s13, v37
	v_ashrrev_i32_e32 v40, 31, v39
	v_lshlrev_b64 v[37:38], 3, v[39:40]
	v_mov_b32_e32 v41, s5
	v_add_co_u32_e32 v37, vcc, s4, v37
	v_addc_co_u32_e32 v38, vcc, v41, v38, vcc
	v_add_u32_e32 v41, s13, v39
	v_ashrrev_i32_e32 v42, 31, v41
	v_lshlrev_b64 v[39:40], 3, v[41:42]
	v_mov_b32_e32 v43, s5
	v_add_co_u32_e32 v39, vcc, s4, v39
	v_addc_co_u32_e32 v40, vcc, v43, v40, vcc
	v_add_u32_e32 v43, s13, v41
	v_ashrrev_i32_e32 v44, 31, v43
	v_lshlrev_b64 v[41:42], 3, v[43:44]
	v_mov_b32_e32 v45, s5
	v_add_co_u32_e32 v41, vcc, s4, v41
	v_addc_co_u32_e32 v42, vcc, v45, v42, vcc
	v_add_u32_e32 v45, s13, v43
	v_ashrrev_i32_e32 v46, 31, v45
	v_lshlrev_b64 v[43:44], 3, v[45:46]
	v_mov_b32_e32 v47, s5
	v_add_co_u32_e32 v43, vcc, s4, v43
	v_addc_co_u32_e32 v44, vcc, v47, v44, vcc
	v_add_u32_e32 v47, s13, v45
	v_ashrrev_i32_e32 v48, 31, v47
	v_lshlrev_b64 v[45:46], 3, v[47:48]
	v_mov_b32_e32 v48, s5
	v_add_co_u32_e32 v65, vcc, s4, v69
	s_ashr_i32 s7, s13, 31
	s_mov_b32 s6, s13
	v_addc_co_u32_e32 v66, vcc, 0, v48, vcc
	s_lshl_b64 s[6:7], s[6:7], 3
	v_mov_b32_e32 v48, s7
	v_add_co_u32_e32 v63, vcc, s6, v65
	global_load_dwordx2 v[67:68], v69, s[4:5]
	global_load_dwordx2 v[72:73], v[13:14], off
	v_addc_co_u32_e32 v64, vcc, v66, v48, vcc
	global_load_dwordx2 v[70:71], v[63:64], off
	v_mov_b32_e32 v49, s5
	v_add_co_u32_e32 v45, vcc, s4, v45
	v_addc_co_u32_e32 v46, vcc, v49, v46, vcc
	v_add_u32_e32 v49, s13, v47
	v_ashrrev_i32_e32 v50, 31, v49
	v_lshlrev_b64 v[47:48], 3, v[49:50]
	v_mov_b32_e32 v51, s5
	v_add_co_u32_e32 v47, vcc, s4, v47
	v_addc_co_u32_e32 v48, vcc, v51, v48, vcc
	v_add_u32_e32 v51, s13, v49
	v_ashrrev_i32_e32 v52, 31, v51
	v_lshlrev_b64 v[49:50], 3, v[51:52]
	;; [unrolled: 6-line block ×7, first 2 shown]
	v_add_u32_e32 v61, s13, v61
	v_ashrrev_i32_e32 v62, 31, v61
	v_mov_b32_e32 v74, s5
	v_add_co_u32_e32 v59, vcc, s4, v59
	v_lshlrev_b64 v[61:62], 3, v[61:62]
	v_addc_co_u32_e32 v60, vcc, v74, v60, vcc
	v_mov_b32_e32 v76, s5
	global_load_dwordx2 v[74:75], v[1:2], off
	v_add_co_u32_e32 v61, vcc, s4, v61
	v_addc_co_u32_e32 v62, vcc, v76, v62, vcc
	global_load_dwordx2 v[76:77], v[5:6], off
	global_load_dwordx2 v[78:79], v[3:4], off
	s_waitcnt vmcnt(5)
	buffer_store_dword v68, off, s[0:3], 0 offset:4
	buffer_store_dword v67, off, s[0:3], 0
	global_load_dwordx2 v[67:68], v[11:12], off
	s_waitcnt vmcnt(6)
	buffer_store_dword v71, off, s[0:3], 0 offset:12
	buffer_store_dword v70, off, s[0:3], 0 offset:8
	global_load_dwordx2 v[70:71], v[7:8], off
	s_nop 0
	buffer_store_dword v73, off, s[0:3], 0 offset:20
	buffer_store_dword v72, off, s[0:3], 0 offset:16
	global_load_dwordx2 v[72:73], v[15:16], off
	s_waitcnt vmcnt(11)
	buffer_store_dword v75, off, s[0:3], 0 offset:28
	buffer_store_dword v74, off, s[0:3], 0 offset:24
	s_waitcnt vmcnt(12)
	buffer_store_dword v77, off, s[0:3], 0 offset:36
	global_load_dwordx2 v[74:75], v[9:10], off
	s_cmpk_lg_i32 s9, 0x84
	buffer_store_dword v76, off, s[0:3], 0 offset:32
	global_load_dwordx2 v[76:77], v[21:22], off
	s_waitcnt vmcnt(15)
	buffer_store_dword v79, off, s[0:3], 0 offset:44
	buffer_store_dword v78, off, s[0:3], 0 offset:40
	global_load_dwordx2 v[78:79], v[17:18], off
	s_waitcnt vmcnt(15)
	buffer_store_dword v68, off, s[0:3], 0 offset:52
	;; [unrolled: 4-line block ×5, first 2 shown]
	buffer_store_dword v75, off, s[0:3], 0 offset:76
	s_waitcnt vmcnt(14)
	buffer_store_dword v76, off, s[0:3], 0 offset:80
	buffer_store_dword v77, off, s[0:3], 0 offset:84
	global_load_dwordx2 v[74:75], v[27:28], off
	s_nop 0
	global_load_dwordx2 v[76:77], v[29:30], off
	s_cselect_b64 s[10:11], -1, 0
	s_waitcnt vmcnt(15)
	buffer_store_dword v78, off, s[0:3], 0 offset:88
	buffer_store_dword v79, off, s[0:3], 0 offset:92
	global_load_dwordx2 v[78:79], v[31:32], off
	s_waitcnt vmcnt(15)
	buffer_store_dword v67, off, s[0:3], 0 offset:96
	buffer_store_dword v68, off, s[0:3], 0 offset:100
	global_load_dwordx2 v[67:68], v[33:34], off
	;; [unrolled: 4-line block ×4, first 2 shown]
	s_waitcnt vmcnt(13)
	buffer_store_dword v74, off, s[0:3], 0 offset:120
	buffer_store_dword v75, off, s[0:3], 0 offset:124
	s_waitcnt vmcnt(14)
	buffer_store_dword v76, off, s[0:3], 0 offset:128
	buffer_store_dword v77, off, s[0:3], 0 offset:132
	s_waitcnt vmcnt(13)
	buffer_store_dword v78, off, s[0:3], 0 offset:136
	global_load_dwordx2 v[74:75], v[39:40], off
	global_load_dwordx2 v[76:77], v[41:42], off
	s_cmpk_eq_i32 s9, 0x84
	buffer_store_dword v79, off, s[0:3], 0 offset:140
	global_load_dwordx2 v[78:79], v[43:44], off
	s_waitcnt vmcnt(15)
	buffer_store_dword v67, off, s[0:3], 0 offset:144
	buffer_store_dword v68, off, s[0:3], 0 offset:148
	global_load_dwordx2 v[67:68], v[45:46], off
	s_waitcnt vmcnt(15)
	buffer_store_dword v71, off, s[0:3], 0 offset:156
	buffer_store_dword v70, off, s[0:3], 0 offset:152
	global_load_dwordx2 v[70:71], v[47:48], off
	s_waitcnt vmcnt(15)
	buffer_store_dword v73, off, s[0:3], 0 offset:164
	buffer_store_dword v72, off, s[0:3], 0 offset:160
	global_load_dwordx2 v[72:73], v[49:50], off
	s_waitcnt vmcnt(12)
	buffer_store_dword v74, off, s[0:3], 0 offset:168
	buffer_store_dword v75, off, s[0:3], 0 offset:172
	s_waitcnt vmcnt(13)
	buffer_store_dword v76, off, s[0:3], 0 offset:176
	buffer_store_dword v77, off, s[0:3], 0 offset:180
	s_waitcnt vmcnt(13)
	buffer_store_dword v78, off, s[0:3], 0 offset:184
	;; [unrolled: 3-line block ×3, first 2 shown]
	global_load_dwordx2 v[74:75], v[51:52], off
	global_load_dwordx2 v[76:77], v[55:56], off
	global_load_dwordx2 v[78:79], v[59:60], off
	s_nop 0
	buffer_store_dword v68, off, s[0:3], 0 offset:196
	global_load_dwordx2 v[67:68], v[53:54], off
	s_waitcnt vmcnt(15)
	buffer_store_dword v71, off, s[0:3], 0 offset:204
	s_waitcnt vmcnt(13)
	buffer_store_dword v73, off, s[0:3], 0 offset:212
	buffer_store_dword v72, off, s[0:3], 0 offset:208
	global_load_dwordx2 v[72:73], v[61:62], off
	s_nop 0
	buffer_store_dword v70, off, s[0:3], 0 offset:200
	global_load_dwordx2 v[70:71], v[57:58], off
	s_waitcnt vmcnt(10)
	buffer_store_dword v74, off, s[0:3], 0 offset:216
	buffer_store_dword v75, off, s[0:3], 0 offset:220
	s_waitcnt vmcnt(8)
	buffer_store_dword v67, off, s[0:3], 0 offset:224
	buffer_store_dword v68, off, s[0:3], 0 offset:228
	;; [unrolled: 1-line block ×4, first 2 shown]
	s_waitcnt vmcnt(6)
	buffer_store_dword v70, off, s[0:3], 0 offset:240
	buffer_store_dword v71, off, s[0:3], 0 offset:244
	;; [unrolled: 1-line block ×5, first 2 shown]
	v_mov_b32_e32 v67, 0
	v_mov_b32_e32 v68, 0xbff00000
	buffer_store_dword v72, off, s[0:3], 0 offset:256
	s_cbranch_scc1 .LBB32_3
; %bb.2:
	v_mov_b32_e32 v67, 0
	v_lshl_add_u32 v78, v0, 3, v67
	buffer_load_dword v67, v78, s[0:3], 0 offen
	buffer_load_dword v68, v78, s[0:3], 0 offen offset:4
	s_waitcnt vmcnt(0)
	v_div_scale_f64 v[70:71], s[4:5], v[67:68], v[67:68], 1.0
	v_rcp_f64_e32 v[72:73], v[70:71]
	v_fma_f64 v[74:75], -v[70:71], v[72:73], 1.0
	v_fma_f64 v[72:73], v[72:73], v[74:75], v[72:73]
	v_div_scale_f64 v[74:75], vcc, 1.0, v[67:68], 1.0
	v_fma_f64 v[76:77], -v[70:71], v[72:73], 1.0
	v_fma_f64 v[72:73], v[72:73], v[76:77], v[72:73]
	v_mul_f64 v[76:77], v[74:75], v[72:73]
	v_fma_f64 v[70:71], -v[70:71], v[76:77], v[74:75]
	v_div_fmas_f64 v[70:71], v[70:71], v[72:73], v[76:77]
	v_div_fixup_f64 v[67:68], v[70:71], v[67:68], 1.0
	buffer_store_dword v67, v78, s[0:3], 0 offen
	buffer_store_dword v68, v78, s[0:3], 0 offen offset:4
	v_xor_b32_e32 v68, 0x80000000, v68
.LBB32_3:
	s_cmpk_eq_i32 s8, 0x79
	v_add_u32_e32 v70, 0x110, v69
	v_mov_b32_e32 v71, v69
	s_mov_b64 s[4:5], -1
	ds_write_b64 v69, v[67:68]
	s_cbranch_scc1 .LBB32_317
; %bb.4:
	buffer_load_dword v67, off, s[0:3], 0 offset:248
	buffer_load_dword v68, off, s[0:3], 0 offset:252
	s_movk_i32 s12, 0x48
	s_movk_i32 s13, 0x50
	;; [unrolled: 1-line block ×22, first 2 shown]
	v_cmp_eq_u32_e64 s[4:5], 32, v0
	s_waitcnt vmcnt(0)
	ds_write_b64 v70, v[67:68]
	s_waitcnt lgkmcnt(0)
	; wave barrier
	s_and_saveexec_b64 s[6:7], s[4:5]
	s_cbranch_execz .LBB32_10
; %bb.5:
	s_and_b64 vcc, exec, s[10:11]
	s_cbranch_vccz .LBB32_7
; %bb.6:
	buffer_load_dword v67, v71, s[0:3], 0 offen
	buffer_load_dword v68, v71, s[0:3], 0 offen offset:4
	ds_read_b64 v[72:73], v70
	s_waitcnt vmcnt(0) lgkmcnt(0)
	v_mul_f64 v[67:68], v[67:68], v[72:73]
	s_cbranch_execz .LBB32_8
	s_branch .LBB32_9
.LBB32_7:
                                        ; implicit-def: $vgpr67_vgpr68
.LBB32_8:
	ds_read_b64 v[67:68], v70
.LBB32_9:
	v_mov_b32_e32 v72, 0
	ds_read_b64 v[72:73], v72 offset:248
	s_waitcnt lgkmcnt(0)
	v_mul_f64 v[67:68], v[67:68], v[72:73]
	buffer_store_dword v68, off, s[0:3], 0 offset:252
	buffer_store_dword v67, off, s[0:3], 0 offset:248
.LBB32_10:
	s_or_b64 exec, exec, s[6:7]
	buffer_load_dword v67, off, s[0:3], 0 offset:240
	buffer_load_dword v68, off, s[0:3], 0 offset:244
	s_or_b32 s14, 0, 8
	s_mov_b32 s15, 16
	s_mov_b32 s16, 24
	;; [unrolled: 1-line block ×9, first 2 shown]
	v_cmp_lt_u32_e64 s[6:7], 30, v0
	s_waitcnt vmcnt(0)
	ds_write_b64 v70, v[67:68]
	s_waitcnt lgkmcnt(0)
	; wave barrier
	s_and_saveexec_b64 s[8:9], s[6:7]
	s_cbranch_execz .LBB32_16
; %bb.11:
	s_andn2_b64 vcc, exec, s[10:11]
	s_cbranch_vccnz .LBB32_13
; %bb.12:
	buffer_load_dword v67, v71, s[0:3], 0 offen
	buffer_load_dword v68, v71, s[0:3], 0 offen offset:4
	ds_read_b64 v[72:73], v70
	s_waitcnt vmcnt(0) lgkmcnt(0)
	v_mul_f64 v[67:68], v[67:68], v[72:73]
	s_cbranch_execz .LBB32_14
	s_branch .LBB32_15
.LBB32_13:
                                        ; implicit-def: $vgpr67_vgpr68
.LBB32_14:
	ds_read_b64 v[67:68], v70
.LBB32_15:
	buffer_load_dword v76, off, s[0:3], 0 offset:248
	buffer_load_dword v77, off, s[0:3], 0 offset:252
	v_mov_b32_e32 v72, 0
	ds_read2_b64 v[72:75], v72 offset0:30 offset1:65
	s_waitcnt vmcnt(0) lgkmcnt(0)
	v_fma_f64 v[74:75], v[76:77], v[74:75], v[67:68]
	v_cndmask_b32_e64 v68, v68, v75, s[4:5]
	v_cndmask_b32_e64 v67, v67, v74, s[4:5]
	v_mul_f64 v[67:68], v[67:68], v[72:73]
	buffer_store_dword v68, off, s[0:3], 0 offset:244
	buffer_store_dword v67, off, s[0:3], 0 offset:240
.LBB32_16:
	s_or_b64 exec, exec, s[8:9]
	buffer_load_dword v67, off, s[0:3], 0 offset:232
	buffer_load_dword v68, off, s[0:3], 0 offset:236
	v_cmp_lt_u32_e64 s[4:5], 29, v0
	s_waitcnt vmcnt(0)
	ds_write_b64 v70, v[67:68]
	s_waitcnt lgkmcnt(0)
	; wave barrier
	s_and_saveexec_b64 s[8:9], s[4:5]
	s_cbranch_execz .LBB32_26
; %bb.17:
	s_andn2_b64 vcc, exec, s[10:11]
	s_cbranch_vccnz .LBB32_19
; %bb.18:
	buffer_load_dword v67, v71, s[0:3], 0 offen
	buffer_load_dword v68, v71, s[0:3], 0 offen offset:4
	ds_read_b64 v[72:73], v70
	s_waitcnt vmcnt(0) lgkmcnt(0)
	v_mul_f64 v[67:68], v[67:68], v[72:73]
	s_cbranch_execz .LBB32_20
	s_branch .LBB32_21
.LBB32_19:
                                        ; implicit-def: $vgpr67_vgpr68
.LBB32_20:
	ds_read_b64 v[67:68], v70
.LBB32_21:
	s_and_saveexec_b64 s[12:13], s[6:7]
	s_cbranch_execz .LBB32_25
; %bb.22:
	v_subrev_u32_e32 v72, 30, v0
	s_movk_i32 s45, 0x200
	s_mov_b64 s[6:7], 0
.LBB32_23:                              ; =>This Inner Loop Header: Depth=1
	v_mov_b32_e32 v75, s44
	buffer_load_dword v73, v75, s[0:3], 0 offen
	buffer_load_dword v74, v75, s[0:3], 0 offen offset:4
	v_mov_b32_e32 v75, s45
	ds_read_b64 v[75:76], v75
	v_add_u32_e32 v72, -1, v72
	s_add_i32 s45, s45, 8
	s_add_i32 s44, s44, 8
	v_cmp_eq_u32_e32 vcc, 0, v72
	s_or_b64 s[6:7], vcc, s[6:7]
	s_waitcnt vmcnt(0) lgkmcnt(0)
	v_fma_f64 v[67:68], v[73:74], v[75:76], v[67:68]
	s_andn2_b64 exec, exec, s[6:7]
	s_cbranch_execnz .LBB32_23
; %bb.24:
	s_or_b64 exec, exec, s[6:7]
.LBB32_25:
	s_or_b64 exec, exec, s[12:13]
	v_mov_b32_e32 v72, 0
	ds_read_b64 v[72:73], v72 offset:232
	s_waitcnt lgkmcnt(0)
	v_mul_f64 v[67:68], v[67:68], v[72:73]
	buffer_store_dword v68, off, s[0:3], 0 offset:236
	buffer_store_dword v67, off, s[0:3], 0 offset:232
.LBB32_26:
	s_or_b64 exec, exec, s[8:9]
	buffer_load_dword v67, off, s[0:3], 0 offset:224
	buffer_load_dword v68, off, s[0:3], 0 offset:228
	v_cmp_lt_u32_e64 s[6:7], 28, v0
	s_waitcnt vmcnt(0)
	ds_write_b64 v70, v[67:68]
	s_waitcnt lgkmcnt(0)
	; wave barrier
	s_and_saveexec_b64 s[8:9], s[6:7]
	s_cbranch_execz .LBB32_36
; %bb.27:
	s_andn2_b64 vcc, exec, s[10:11]
	s_cbranch_vccnz .LBB32_29
; %bb.28:
	buffer_load_dword v67, v71, s[0:3], 0 offen
	buffer_load_dword v68, v71, s[0:3], 0 offen offset:4
	ds_read_b64 v[72:73], v70
	s_waitcnt vmcnt(0) lgkmcnt(0)
	v_mul_f64 v[67:68], v[67:68], v[72:73]
	s_cbranch_execz .LBB32_30
	s_branch .LBB32_31
.LBB32_29:
                                        ; implicit-def: $vgpr67_vgpr68
.LBB32_30:
	ds_read_b64 v[67:68], v70
.LBB32_31:
	s_and_saveexec_b64 s[12:13], s[4:5]
	s_cbranch_execz .LBB32_35
; %bb.32:
	v_subrev_u32_e32 v72, 29, v0
	s_movk_i32 s44, 0x1f8
	s_mov_b64 s[4:5], 0
.LBB32_33:                              ; =>This Inner Loop Header: Depth=1
	v_mov_b32_e32 v75, s43
	buffer_load_dword v73, v75, s[0:3], 0 offen
	buffer_load_dword v74, v75, s[0:3], 0 offen offset:4
	v_mov_b32_e32 v75, s44
	ds_read_b64 v[75:76], v75
	v_add_u32_e32 v72, -1, v72
	s_add_i32 s44, s44, 8
	s_add_i32 s43, s43, 8
	v_cmp_eq_u32_e32 vcc, 0, v72
	s_or_b64 s[4:5], vcc, s[4:5]
	s_waitcnt vmcnt(0) lgkmcnt(0)
	v_fma_f64 v[67:68], v[73:74], v[75:76], v[67:68]
	s_andn2_b64 exec, exec, s[4:5]
	s_cbranch_execnz .LBB32_33
; %bb.34:
	s_or_b64 exec, exec, s[4:5]
.LBB32_35:
	s_or_b64 exec, exec, s[12:13]
	v_mov_b32_e32 v72, 0
	ds_read_b64 v[72:73], v72 offset:224
	s_waitcnt lgkmcnt(0)
	v_mul_f64 v[67:68], v[67:68], v[72:73]
	buffer_store_dword v68, off, s[0:3], 0 offset:228
	buffer_store_dword v67, off, s[0:3], 0 offset:224
.LBB32_36:
	;; [unrolled: 58-line block ×8, first 2 shown]
	s_or_b64 exec, exec, s[8:9]
	buffer_load_dword v67, off, s[0:3], 0 offset:168
	buffer_load_dword v68, off, s[0:3], 0 offset:172
	v_cmp_lt_u32_e64 s[4:5], 21, v0
	s_waitcnt vmcnt(0)
	ds_write_b64 v70, v[67:68]
	s_waitcnt lgkmcnt(0)
	; wave barrier
	s_and_saveexec_b64 s[8:9], s[4:5]
	s_cbranch_execz .LBB32_106
; %bb.97:
	s_andn2_b64 vcc, exec, s[10:11]
	s_cbranch_vccnz .LBB32_99
; %bb.98:
	buffer_load_dword v67, v71, s[0:3], 0 offen
	buffer_load_dword v68, v71, s[0:3], 0 offen offset:4
	ds_read_b64 v[72:73], v70
	s_waitcnt vmcnt(0) lgkmcnt(0)
	v_mul_f64 v[67:68], v[67:68], v[72:73]
	s_cbranch_execz .LBB32_100
	s_branch .LBB32_101
.LBB32_99:
                                        ; implicit-def: $vgpr67_vgpr68
.LBB32_100:
	ds_read_b64 v[67:68], v70
.LBB32_101:
	s_and_saveexec_b64 s[12:13], s[6:7]
	s_cbranch_execz .LBB32_105
; %bb.102:
	v_subrev_u32_e32 v72, 22, v0
	s_movk_i32 s37, 0x1c0
	s_mov_b64 s[6:7], 0
.LBB32_103:                             ; =>This Inner Loop Header: Depth=1
	v_mov_b32_e32 v75, s36
	buffer_load_dword v73, v75, s[0:3], 0 offen
	buffer_load_dword v74, v75, s[0:3], 0 offen offset:4
	v_mov_b32_e32 v75, s37
	ds_read_b64 v[75:76], v75
	v_add_u32_e32 v72, -1, v72
	s_add_i32 s37, s37, 8
	s_add_i32 s36, s36, 8
	v_cmp_eq_u32_e32 vcc, 0, v72
	s_or_b64 s[6:7], vcc, s[6:7]
	s_waitcnt vmcnt(0) lgkmcnt(0)
	v_fma_f64 v[67:68], v[73:74], v[75:76], v[67:68]
	s_andn2_b64 exec, exec, s[6:7]
	s_cbranch_execnz .LBB32_103
; %bb.104:
	s_or_b64 exec, exec, s[6:7]
.LBB32_105:
	s_or_b64 exec, exec, s[12:13]
	v_mov_b32_e32 v72, 0
	ds_read_b64 v[72:73], v72 offset:168
	s_waitcnt lgkmcnt(0)
	v_mul_f64 v[67:68], v[67:68], v[72:73]
	buffer_store_dword v68, off, s[0:3], 0 offset:172
	buffer_store_dword v67, off, s[0:3], 0 offset:168
.LBB32_106:
	s_or_b64 exec, exec, s[8:9]
	buffer_load_dword v67, off, s[0:3], 0 offset:160
	buffer_load_dword v68, off, s[0:3], 0 offset:164
	v_cmp_lt_u32_e64 s[6:7], 20, v0
	s_waitcnt vmcnt(0)
	ds_write_b64 v70, v[67:68]
	s_waitcnt lgkmcnt(0)
	; wave barrier
	s_and_saveexec_b64 s[8:9], s[6:7]
	s_cbranch_execz .LBB32_116
; %bb.107:
	s_andn2_b64 vcc, exec, s[10:11]
	s_cbranch_vccnz .LBB32_109
; %bb.108:
	buffer_load_dword v67, v71, s[0:3], 0 offen
	buffer_load_dword v68, v71, s[0:3], 0 offen offset:4
	ds_read_b64 v[72:73], v70
	s_waitcnt vmcnt(0) lgkmcnt(0)
	v_mul_f64 v[67:68], v[67:68], v[72:73]
	s_cbranch_execz .LBB32_110
	s_branch .LBB32_111
.LBB32_109:
                                        ; implicit-def: $vgpr67_vgpr68
.LBB32_110:
	ds_read_b64 v[67:68], v70
.LBB32_111:
	s_and_saveexec_b64 s[12:13], s[4:5]
	s_cbranch_execz .LBB32_115
; %bb.112:
	v_subrev_u32_e32 v72, 21, v0
	s_movk_i32 s36, 0x1b8
	s_mov_b64 s[4:5], 0
.LBB32_113:                             ; =>This Inner Loop Header: Depth=1
	v_mov_b32_e32 v75, s35
	buffer_load_dword v73, v75, s[0:3], 0 offen
	buffer_load_dword v74, v75, s[0:3], 0 offen offset:4
	v_mov_b32_e32 v75, s36
	ds_read_b64 v[75:76], v75
	v_add_u32_e32 v72, -1, v72
	s_add_i32 s36, s36, 8
	s_add_i32 s35, s35, 8
	v_cmp_eq_u32_e32 vcc, 0, v72
	s_or_b64 s[4:5], vcc, s[4:5]
	s_waitcnt vmcnt(0) lgkmcnt(0)
	v_fma_f64 v[67:68], v[73:74], v[75:76], v[67:68]
	s_andn2_b64 exec, exec, s[4:5]
	s_cbranch_execnz .LBB32_113
; %bb.114:
	s_or_b64 exec, exec, s[4:5]
.LBB32_115:
	s_or_b64 exec, exec, s[12:13]
	v_mov_b32_e32 v72, 0
	ds_read_b64 v[72:73], v72 offset:160
	s_waitcnt lgkmcnt(0)
	v_mul_f64 v[67:68], v[67:68], v[72:73]
	buffer_store_dword v68, off, s[0:3], 0 offset:164
	buffer_store_dword v67, off, s[0:3], 0 offset:160
.LBB32_116:
	;; [unrolled: 58-line block ×6, first 2 shown]
	s_or_b64 exec, exec, s[8:9]
	buffer_load_dword v67, off, s[0:3], 0 offset:120
	buffer_load_dword v68, off, s[0:3], 0 offset:124
	v_cmp_lt_u32_e64 s[4:5], 15, v0
	s_waitcnt vmcnt(0)
	ds_write_b64 v70, v[67:68]
	s_waitcnt lgkmcnt(0)
	; wave barrier
	s_and_saveexec_b64 s[8:9], s[4:5]
	s_cbranch_execz .LBB32_166
; %bb.157:
	s_andn2_b64 vcc, exec, s[10:11]
	s_cbranch_vccnz .LBB32_159
; %bb.158:
	buffer_load_dword v67, v71, s[0:3], 0 offen
	buffer_load_dword v68, v71, s[0:3], 0 offen offset:4
	ds_read_b64 v[72:73], v70
	s_waitcnt vmcnt(0) lgkmcnt(0)
	v_mul_f64 v[67:68], v[67:68], v[72:73]
	s_cbranch_execz .LBB32_160
	s_branch .LBB32_161
.LBB32_159:
                                        ; implicit-def: $vgpr67_vgpr68
.LBB32_160:
	ds_read_b64 v[67:68], v70
.LBB32_161:
	s_and_saveexec_b64 s[12:13], s[6:7]
	s_cbranch_execz .LBB32_165
; %bb.162:
	v_add_u32_e32 v72, -16, v0
	s_movk_i32 s30, 0x190
	s_mov_b64 s[6:7], 0
.LBB32_163:                             ; =>This Inner Loop Header: Depth=1
	v_mov_b32_e32 v75, s29
	buffer_load_dword v73, v75, s[0:3], 0 offen
	buffer_load_dword v74, v75, s[0:3], 0 offen offset:4
	v_mov_b32_e32 v75, s30
	ds_read_b64 v[75:76], v75
	v_add_u32_e32 v72, -1, v72
	s_add_i32 s30, s30, 8
	s_add_i32 s29, s29, 8
	v_cmp_eq_u32_e32 vcc, 0, v72
	s_or_b64 s[6:7], vcc, s[6:7]
	s_waitcnt vmcnt(0) lgkmcnt(0)
	v_fma_f64 v[67:68], v[73:74], v[75:76], v[67:68]
	s_andn2_b64 exec, exec, s[6:7]
	s_cbranch_execnz .LBB32_163
; %bb.164:
	s_or_b64 exec, exec, s[6:7]
.LBB32_165:
	s_or_b64 exec, exec, s[12:13]
	v_mov_b32_e32 v72, 0
	ds_read_b64 v[72:73], v72 offset:120
	s_waitcnt lgkmcnt(0)
	v_mul_f64 v[67:68], v[67:68], v[72:73]
	buffer_store_dword v68, off, s[0:3], 0 offset:124
	buffer_store_dword v67, off, s[0:3], 0 offset:120
.LBB32_166:
	s_or_b64 exec, exec, s[8:9]
	buffer_load_dword v67, off, s[0:3], 0 offset:112
	buffer_load_dword v68, off, s[0:3], 0 offset:116
	v_cmp_lt_u32_e64 s[6:7], 14, v0
	s_waitcnt vmcnt(0)
	ds_write_b64 v70, v[67:68]
	s_waitcnt lgkmcnt(0)
	; wave barrier
	s_and_saveexec_b64 s[8:9], s[6:7]
	s_cbranch_execz .LBB32_176
; %bb.167:
	s_andn2_b64 vcc, exec, s[10:11]
	s_cbranch_vccnz .LBB32_169
; %bb.168:
	buffer_load_dword v67, v71, s[0:3], 0 offen
	buffer_load_dword v68, v71, s[0:3], 0 offen offset:4
	ds_read_b64 v[72:73], v70
	s_waitcnt vmcnt(0) lgkmcnt(0)
	v_mul_f64 v[67:68], v[67:68], v[72:73]
	s_cbranch_execz .LBB32_170
	s_branch .LBB32_171
.LBB32_169:
                                        ; implicit-def: $vgpr67_vgpr68
.LBB32_170:
	ds_read_b64 v[67:68], v70
.LBB32_171:
	s_and_saveexec_b64 s[12:13], s[4:5]
	s_cbranch_execz .LBB32_175
; %bb.172:
	v_add_u32_e32 v72, -15, v0
	s_movk_i32 s29, 0x188
	s_mov_b64 s[4:5], 0
.LBB32_173:                             ; =>This Inner Loop Header: Depth=1
	v_mov_b32_e32 v75, s28
	buffer_load_dword v73, v75, s[0:3], 0 offen
	buffer_load_dword v74, v75, s[0:3], 0 offen offset:4
	v_mov_b32_e32 v75, s29
	ds_read_b64 v[75:76], v75
	v_add_u32_e32 v72, -1, v72
	s_add_i32 s29, s29, 8
	s_add_i32 s28, s28, 8
	v_cmp_eq_u32_e32 vcc, 0, v72
	s_or_b64 s[4:5], vcc, s[4:5]
	s_waitcnt vmcnt(0) lgkmcnt(0)
	v_fma_f64 v[67:68], v[73:74], v[75:76], v[67:68]
	s_andn2_b64 exec, exec, s[4:5]
	s_cbranch_execnz .LBB32_173
; %bb.174:
	s_or_b64 exec, exec, s[4:5]
.LBB32_175:
	s_or_b64 exec, exec, s[12:13]
	v_mov_b32_e32 v72, 0
	ds_read_b64 v[72:73], v72 offset:112
	s_waitcnt lgkmcnt(0)
	v_mul_f64 v[67:68], v[67:68], v[72:73]
	buffer_store_dword v68, off, s[0:3], 0 offset:116
	buffer_store_dword v67, off, s[0:3], 0 offset:112
.LBB32_176:
	s_or_b64 exec, exec, s[8:9]
	buffer_load_dword v67, off, s[0:3], 0 offset:104
	buffer_load_dword v68, off, s[0:3], 0 offset:108
	v_cmp_lt_u32_e64 s[4:5], 13, v0
	s_waitcnt vmcnt(0)
	ds_write_b64 v70, v[67:68]
	s_waitcnt lgkmcnt(0)
	; wave barrier
	s_and_saveexec_b64 s[8:9], s[4:5]
	s_cbranch_execz .LBB32_186
; %bb.177:
	s_andn2_b64 vcc, exec, s[10:11]
	s_cbranch_vccnz .LBB32_179
; %bb.178:
	buffer_load_dword v67, v71, s[0:3], 0 offen
	buffer_load_dword v68, v71, s[0:3], 0 offen offset:4
	ds_read_b64 v[72:73], v70
	s_waitcnt vmcnt(0) lgkmcnt(0)
	v_mul_f64 v[67:68], v[67:68], v[72:73]
	s_cbranch_execz .LBB32_180
	s_branch .LBB32_181
.LBB32_179:
                                        ; implicit-def: $vgpr67_vgpr68
.LBB32_180:
	ds_read_b64 v[67:68], v70
.LBB32_181:
	s_and_saveexec_b64 s[12:13], s[6:7]
	s_cbranch_execz .LBB32_185
; %bb.182:
	v_add_u32_e32 v72, -14, v0
	s_movk_i32 s28, 0x180
	s_mov_b64 s[6:7], 0
.LBB32_183:                             ; =>This Inner Loop Header: Depth=1
	v_mov_b32_e32 v75, s27
	buffer_load_dword v73, v75, s[0:3], 0 offen
	buffer_load_dword v74, v75, s[0:3], 0 offen offset:4
	v_mov_b32_e32 v75, s28
	ds_read_b64 v[75:76], v75
	v_add_u32_e32 v72, -1, v72
	s_add_i32 s28, s28, 8
	s_add_i32 s27, s27, 8
	v_cmp_eq_u32_e32 vcc, 0, v72
	s_or_b64 s[6:7], vcc, s[6:7]
	s_waitcnt vmcnt(0) lgkmcnt(0)
	v_fma_f64 v[67:68], v[73:74], v[75:76], v[67:68]
	s_andn2_b64 exec, exec, s[6:7]
	s_cbranch_execnz .LBB32_183
; %bb.184:
	s_or_b64 exec, exec, s[6:7]
.LBB32_185:
	s_or_b64 exec, exec, s[12:13]
	v_mov_b32_e32 v72, 0
	ds_read_b64 v[72:73], v72 offset:104
	s_waitcnt lgkmcnt(0)
	v_mul_f64 v[67:68], v[67:68], v[72:73]
	buffer_store_dword v68, off, s[0:3], 0 offset:108
	buffer_store_dword v67, off, s[0:3], 0 offset:104
.LBB32_186:
	s_or_b64 exec, exec, s[8:9]
	buffer_load_dword v67, off, s[0:3], 0 offset:96
	buffer_load_dword v68, off, s[0:3], 0 offset:100
	v_cmp_lt_u32_e64 s[6:7], 12, v0
	s_waitcnt vmcnt(0)
	ds_write_b64 v70, v[67:68]
	s_waitcnt lgkmcnt(0)
	; wave barrier
	s_and_saveexec_b64 s[8:9], s[6:7]
	s_cbranch_execz .LBB32_196
; %bb.187:
	s_andn2_b64 vcc, exec, s[10:11]
	s_cbranch_vccnz .LBB32_189
; %bb.188:
	buffer_load_dword v67, v71, s[0:3], 0 offen
	buffer_load_dword v68, v71, s[0:3], 0 offen offset:4
	ds_read_b64 v[72:73], v70
	s_waitcnt vmcnt(0) lgkmcnt(0)
	v_mul_f64 v[67:68], v[67:68], v[72:73]
	s_cbranch_execz .LBB32_190
	s_branch .LBB32_191
.LBB32_189:
                                        ; implicit-def: $vgpr67_vgpr68
.LBB32_190:
	ds_read_b64 v[67:68], v70
.LBB32_191:
	s_and_saveexec_b64 s[12:13], s[4:5]
	s_cbranch_execz .LBB32_195
; %bb.192:
	v_add_u32_e32 v72, -13, v0
	s_movk_i32 s27, 0x178
	s_mov_b64 s[4:5], 0
.LBB32_193:                             ; =>This Inner Loop Header: Depth=1
	v_mov_b32_e32 v75, s26
	buffer_load_dword v73, v75, s[0:3], 0 offen
	buffer_load_dword v74, v75, s[0:3], 0 offen offset:4
	v_mov_b32_e32 v75, s27
	ds_read_b64 v[75:76], v75
	v_add_u32_e32 v72, -1, v72
	s_add_i32 s27, s27, 8
	s_add_i32 s26, s26, 8
	v_cmp_eq_u32_e32 vcc, 0, v72
	s_or_b64 s[4:5], vcc, s[4:5]
	s_waitcnt vmcnt(0) lgkmcnt(0)
	v_fma_f64 v[67:68], v[73:74], v[75:76], v[67:68]
	s_andn2_b64 exec, exec, s[4:5]
	s_cbranch_execnz .LBB32_193
; %bb.194:
	s_or_b64 exec, exec, s[4:5]
.LBB32_195:
	s_or_b64 exec, exec, s[12:13]
	v_mov_b32_e32 v72, 0
	ds_read_b64 v[72:73], v72 offset:96
	s_waitcnt lgkmcnt(0)
	v_mul_f64 v[67:68], v[67:68], v[72:73]
	buffer_store_dword v68, off, s[0:3], 0 offset:100
	buffer_store_dword v67, off, s[0:3], 0 offset:96
.LBB32_196:
	s_or_b64 exec, exec, s[8:9]
	buffer_load_dword v67, off, s[0:3], 0 offset:88
	buffer_load_dword v68, off, s[0:3], 0 offset:92
	v_cmp_lt_u32_e64 s[4:5], 11, v0
	s_waitcnt vmcnt(0)
	ds_write_b64 v70, v[67:68]
	s_waitcnt lgkmcnt(0)
	; wave barrier
	s_and_saveexec_b64 s[8:9], s[4:5]
	s_cbranch_execz .LBB32_206
; %bb.197:
	s_andn2_b64 vcc, exec, s[10:11]
	s_cbranch_vccnz .LBB32_199
; %bb.198:
	buffer_load_dword v67, v71, s[0:3], 0 offen
	buffer_load_dword v68, v71, s[0:3], 0 offen offset:4
	ds_read_b64 v[72:73], v70
	s_waitcnt vmcnt(0) lgkmcnt(0)
	v_mul_f64 v[67:68], v[67:68], v[72:73]
	s_cbranch_execz .LBB32_200
	s_branch .LBB32_201
.LBB32_199:
                                        ; implicit-def: $vgpr67_vgpr68
.LBB32_200:
	ds_read_b64 v[67:68], v70
.LBB32_201:
	s_and_saveexec_b64 s[12:13], s[6:7]
	s_cbranch_execz .LBB32_205
; %bb.202:
	v_add_u32_e32 v72, -12, v0
	s_movk_i32 s26, 0x170
	s_mov_b64 s[6:7], 0
.LBB32_203:                             ; =>This Inner Loop Header: Depth=1
	v_mov_b32_e32 v75, s25
	buffer_load_dword v73, v75, s[0:3], 0 offen
	buffer_load_dword v74, v75, s[0:3], 0 offen offset:4
	v_mov_b32_e32 v75, s26
	ds_read_b64 v[75:76], v75
	v_add_u32_e32 v72, -1, v72
	s_add_i32 s26, s26, 8
	s_add_i32 s25, s25, 8
	v_cmp_eq_u32_e32 vcc, 0, v72
	s_or_b64 s[6:7], vcc, s[6:7]
	s_waitcnt vmcnt(0) lgkmcnt(0)
	v_fma_f64 v[67:68], v[73:74], v[75:76], v[67:68]
	s_andn2_b64 exec, exec, s[6:7]
	s_cbranch_execnz .LBB32_203
; %bb.204:
	s_or_b64 exec, exec, s[6:7]
.LBB32_205:
	s_or_b64 exec, exec, s[12:13]
	v_mov_b32_e32 v72, 0
	ds_read_b64 v[72:73], v72 offset:88
	s_waitcnt lgkmcnt(0)
	v_mul_f64 v[67:68], v[67:68], v[72:73]
	buffer_store_dword v68, off, s[0:3], 0 offset:92
	buffer_store_dword v67, off, s[0:3], 0 offset:88
.LBB32_206:
	s_or_b64 exec, exec, s[8:9]
	buffer_load_dword v67, off, s[0:3], 0 offset:80
	buffer_load_dword v68, off, s[0:3], 0 offset:84
	v_cmp_lt_u32_e64 s[6:7], 10, v0
	s_waitcnt vmcnt(0)
	ds_write_b64 v70, v[67:68]
	s_waitcnt lgkmcnt(0)
	; wave barrier
	s_and_saveexec_b64 s[8:9], s[6:7]
	s_cbranch_execz .LBB32_216
; %bb.207:
	s_andn2_b64 vcc, exec, s[10:11]
	s_cbranch_vccnz .LBB32_209
; %bb.208:
	buffer_load_dword v67, v71, s[0:3], 0 offen
	buffer_load_dword v68, v71, s[0:3], 0 offen offset:4
	ds_read_b64 v[72:73], v70
	s_waitcnt vmcnt(0) lgkmcnt(0)
	v_mul_f64 v[67:68], v[67:68], v[72:73]
	s_cbranch_execz .LBB32_210
	s_branch .LBB32_211
.LBB32_209:
                                        ; implicit-def: $vgpr67_vgpr68
.LBB32_210:
	ds_read_b64 v[67:68], v70
.LBB32_211:
	s_and_saveexec_b64 s[12:13], s[4:5]
	s_cbranch_execz .LBB32_215
; %bb.212:
	v_add_u32_e32 v72, -11, v0
	s_movk_i32 s25, 0x168
	s_mov_b64 s[4:5], 0
.LBB32_213:                             ; =>This Inner Loop Header: Depth=1
	v_mov_b32_e32 v75, s24
	buffer_load_dword v73, v75, s[0:3], 0 offen
	buffer_load_dword v74, v75, s[0:3], 0 offen offset:4
	v_mov_b32_e32 v75, s25
	ds_read_b64 v[75:76], v75
	v_add_u32_e32 v72, -1, v72
	s_add_i32 s25, s25, 8
	s_add_i32 s24, s24, 8
	v_cmp_eq_u32_e32 vcc, 0, v72
	s_or_b64 s[4:5], vcc, s[4:5]
	s_waitcnt vmcnt(0) lgkmcnt(0)
	v_fma_f64 v[67:68], v[73:74], v[75:76], v[67:68]
	s_andn2_b64 exec, exec, s[4:5]
	s_cbranch_execnz .LBB32_213
; %bb.214:
	s_or_b64 exec, exec, s[4:5]
.LBB32_215:
	s_or_b64 exec, exec, s[12:13]
	v_mov_b32_e32 v72, 0
	ds_read_b64 v[72:73], v72 offset:80
	s_waitcnt lgkmcnt(0)
	v_mul_f64 v[67:68], v[67:68], v[72:73]
	buffer_store_dword v68, off, s[0:3], 0 offset:84
	buffer_store_dword v67, off, s[0:3], 0 offset:80
.LBB32_216:
	s_or_b64 exec, exec, s[8:9]
	buffer_load_dword v67, off, s[0:3], 0 offset:72
	buffer_load_dword v68, off, s[0:3], 0 offset:76
	v_cmp_lt_u32_e64 s[4:5], 9, v0
	s_waitcnt vmcnt(0)
	ds_write_b64 v70, v[67:68]
	s_waitcnt lgkmcnt(0)
	; wave barrier
	s_and_saveexec_b64 s[8:9], s[4:5]
	s_cbranch_execz .LBB32_226
; %bb.217:
	s_andn2_b64 vcc, exec, s[10:11]
	s_cbranch_vccnz .LBB32_219
; %bb.218:
	buffer_load_dword v67, v71, s[0:3], 0 offen
	buffer_load_dword v68, v71, s[0:3], 0 offen offset:4
	ds_read_b64 v[72:73], v70
	s_waitcnt vmcnt(0) lgkmcnt(0)
	v_mul_f64 v[67:68], v[67:68], v[72:73]
	s_cbranch_execz .LBB32_220
	s_branch .LBB32_221
.LBB32_219:
                                        ; implicit-def: $vgpr67_vgpr68
.LBB32_220:
	ds_read_b64 v[67:68], v70
.LBB32_221:
	s_and_saveexec_b64 s[12:13], s[6:7]
	s_cbranch_execz .LBB32_225
; %bb.222:
	v_add_u32_e32 v72, -10, v0
	s_movk_i32 s24, 0x160
	s_mov_b64 s[6:7], 0
.LBB32_223:                             ; =>This Inner Loop Header: Depth=1
	v_mov_b32_e32 v75, s23
	buffer_load_dword v73, v75, s[0:3], 0 offen
	buffer_load_dword v74, v75, s[0:3], 0 offen offset:4
	v_mov_b32_e32 v75, s24
	ds_read_b64 v[75:76], v75
	v_add_u32_e32 v72, -1, v72
	s_add_i32 s24, s24, 8
	s_add_i32 s23, s23, 8
	v_cmp_eq_u32_e32 vcc, 0, v72
	s_or_b64 s[6:7], vcc, s[6:7]
	s_waitcnt vmcnt(0) lgkmcnt(0)
	v_fma_f64 v[67:68], v[73:74], v[75:76], v[67:68]
	s_andn2_b64 exec, exec, s[6:7]
	s_cbranch_execnz .LBB32_223
; %bb.224:
	s_or_b64 exec, exec, s[6:7]
.LBB32_225:
	s_or_b64 exec, exec, s[12:13]
	v_mov_b32_e32 v72, 0
	ds_read_b64 v[72:73], v72 offset:72
	s_waitcnt lgkmcnt(0)
	v_mul_f64 v[67:68], v[67:68], v[72:73]
	buffer_store_dword v68, off, s[0:3], 0 offset:76
	buffer_store_dword v67, off, s[0:3], 0 offset:72
.LBB32_226:
	s_or_b64 exec, exec, s[8:9]
	buffer_load_dword v67, off, s[0:3], 0 offset:64
	buffer_load_dword v68, off, s[0:3], 0 offset:68
	v_cmp_lt_u32_e64 s[6:7], 8, v0
	s_waitcnt vmcnt(0)
	ds_write_b64 v70, v[67:68]
	s_waitcnt lgkmcnt(0)
	; wave barrier
	s_and_saveexec_b64 s[8:9], s[6:7]
	s_cbranch_execz .LBB32_236
; %bb.227:
	s_andn2_b64 vcc, exec, s[10:11]
	s_cbranch_vccnz .LBB32_229
; %bb.228:
	buffer_load_dword v67, v71, s[0:3], 0 offen
	buffer_load_dword v68, v71, s[0:3], 0 offen offset:4
	ds_read_b64 v[72:73], v70
	s_waitcnt vmcnt(0) lgkmcnt(0)
	v_mul_f64 v[67:68], v[67:68], v[72:73]
	s_cbranch_execz .LBB32_230
	s_branch .LBB32_231
.LBB32_229:
                                        ; implicit-def: $vgpr67_vgpr68
.LBB32_230:
	ds_read_b64 v[67:68], v70
.LBB32_231:
	s_and_saveexec_b64 s[12:13], s[4:5]
	s_cbranch_execz .LBB32_235
; %bb.232:
	v_add_u32_e32 v72, -9, v0
	s_movk_i32 s23, 0x158
	s_mov_b64 s[4:5], 0
.LBB32_233:                             ; =>This Inner Loop Header: Depth=1
	v_mov_b32_e32 v75, s22
	buffer_load_dword v73, v75, s[0:3], 0 offen
	buffer_load_dword v74, v75, s[0:3], 0 offen offset:4
	v_mov_b32_e32 v75, s23
	ds_read_b64 v[75:76], v75
	v_add_u32_e32 v72, -1, v72
	s_add_i32 s23, s23, 8
	s_add_i32 s22, s22, 8
	v_cmp_eq_u32_e32 vcc, 0, v72
	s_or_b64 s[4:5], vcc, s[4:5]
	s_waitcnt vmcnt(0) lgkmcnt(0)
	v_fma_f64 v[67:68], v[73:74], v[75:76], v[67:68]
	s_andn2_b64 exec, exec, s[4:5]
	s_cbranch_execnz .LBB32_233
; %bb.234:
	s_or_b64 exec, exec, s[4:5]
.LBB32_235:
	s_or_b64 exec, exec, s[12:13]
	v_mov_b32_e32 v72, 0
	ds_read_b64 v[72:73], v72 offset:64
	s_waitcnt lgkmcnt(0)
	v_mul_f64 v[67:68], v[67:68], v[72:73]
	buffer_store_dword v68, off, s[0:3], 0 offset:68
	buffer_store_dword v67, off, s[0:3], 0 offset:64
.LBB32_236:
	s_or_b64 exec, exec, s[8:9]
	buffer_load_dword v67, off, s[0:3], 0 offset:56
	buffer_load_dword v68, off, s[0:3], 0 offset:60
	v_cmp_lt_u32_e64 s[4:5], 7, v0
	s_waitcnt vmcnt(0)
	ds_write_b64 v70, v[67:68]
	s_waitcnt lgkmcnt(0)
	; wave barrier
	s_and_saveexec_b64 s[8:9], s[4:5]
	s_cbranch_execz .LBB32_246
; %bb.237:
	s_andn2_b64 vcc, exec, s[10:11]
	s_cbranch_vccnz .LBB32_239
; %bb.238:
	buffer_load_dword v67, v71, s[0:3], 0 offen
	buffer_load_dword v68, v71, s[0:3], 0 offen offset:4
	ds_read_b64 v[72:73], v70
	s_waitcnt vmcnt(0) lgkmcnt(0)
	v_mul_f64 v[67:68], v[67:68], v[72:73]
	s_cbranch_execz .LBB32_240
	s_branch .LBB32_241
.LBB32_239:
                                        ; implicit-def: $vgpr67_vgpr68
.LBB32_240:
	ds_read_b64 v[67:68], v70
.LBB32_241:
	s_and_saveexec_b64 s[12:13], s[6:7]
	s_cbranch_execz .LBB32_245
; %bb.242:
	v_add_u32_e32 v72, -8, v0
	s_movk_i32 s22, 0x150
	s_mov_b64 s[6:7], 0
.LBB32_243:                             ; =>This Inner Loop Header: Depth=1
	v_mov_b32_e32 v75, s21
	buffer_load_dword v73, v75, s[0:3], 0 offen
	buffer_load_dword v74, v75, s[0:3], 0 offen offset:4
	v_mov_b32_e32 v75, s22
	ds_read_b64 v[75:76], v75
	v_add_u32_e32 v72, -1, v72
	s_add_i32 s22, s22, 8
	s_add_i32 s21, s21, 8
	v_cmp_eq_u32_e32 vcc, 0, v72
	s_or_b64 s[6:7], vcc, s[6:7]
	s_waitcnt vmcnt(0) lgkmcnt(0)
	v_fma_f64 v[67:68], v[73:74], v[75:76], v[67:68]
	s_andn2_b64 exec, exec, s[6:7]
	s_cbranch_execnz .LBB32_243
; %bb.244:
	s_or_b64 exec, exec, s[6:7]
.LBB32_245:
	s_or_b64 exec, exec, s[12:13]
	v_mov_b32_e32 v72, 0
	ds_read_b64 v[72:73], v72 offset:56
	s_waitcnt lgkmcnt(0)
	v_mul_f64 v[67:68], v[67:68], v[72:73]
	buffer_store_dword v68, off, s[0:3], 0 offset:60
	buffer_store_dword v67, off, s[0:3], 0 offset:56
.LBB32_246:
	s_or_b64 exec, exec, s[8:9]
	buffer_load_dword v67, off, s[0:3], 0 offset:48
	buffer_load_dword v68, off, s[0:3], 0 offset:52
	v_cmp_lt_u32_e64 s[6:7], 6, v0
	s_waitcnt vmcnt(0)
	ds_write_b64 v70, v[67:68]
	s_waitcnt lgkmcnt(0)
	; wave barrier
	s_and_saveexec_b64 s[8:9], s[6:7]
	s_cbranch_execz .LBB32_256
; %bb.247:
	s_andn2_b64 vcc, exec, s[10:11]
	s_cbranch_vccnz .LBB32_249
; %bb.248:
	buffer_load_dword v67, v71, s[0:3], 0 offen
	buffer_load_dword v68, v71, s[0:3], 0 offen offset:4
	ds_read_b64 v[72:73], v70
	s_waitcnt vmcnt(0) lgkmcnt(0)
	v_mul_f64 v[67:68], v[67:68], v[72:73]
	s_cbranch_execz .LBB32_250
	s_branch .LBB32_251
.LBB32_249:
                                        ; implicit-def: $vgpr67_vgpr68
.LBB32_250:
	ds_read_b64 v[67:68], v70
.LBB32_251:
	s_and_saveexec_b64 s[12:13], s[4:5]
	s_cbranch_execz .LBB32_255
; %bb.252:
	v_add_u32_e32 v72, -7, v0
	s_movk_i32 s21, 0x148
	s_mov_b64 s[4:5], 0
.LBB32_253:                             ; =>This Inner Loop Header: Depth=1
	v_mov_b32_e32 v75, s20
	buffer_load_dword v73, v75, s[0:3], 0 offen
	buffer_load_dword v74, v75, s[0:3], 0 offen offset:4
	v_mov_b32_e32 v75, s21
	ds_read_b64 v[75:76], v75
	v_add_u32_e32 v72, -1, v72
	s_add_i32 s21, s21, 8
	s_add_i32 s20, s20, 8
	v_cmp_eq_u32_e32 vcc, 0, v72
	s_or_b64 s[4:5], vcc, s[4:5]
	s_waitcnt vmcnt(0) lgkmcnt(0)
	v_fma_f64 v[67:68], v[73:74], v[75:76], v[67:68]
	s_andn2_b64 exec, exec, s[4:5]
	s_cbranch_execnz .LBB32_253
; %bb.254:
	s_or_b64 exec, exec, s[4:5]
.LBB32_255:
	s_or_b64 exec, exec, s[12:13]
	v_mov_b32_e32 v72, 0
	ds_read_b64 v[72:73], v72 offset:48
	s_waitcnt lgkmcnt(0)
	v_mul_f64 v[67:68], v[67:68], v[72:73]
	buffer_store_dword v68, off, s[0:3], 0 offset:52
	buffer_store_dword v67, off, s[0:3], 0 offset:48
.LBB32_256:
	s_or_b64 exec, exec, s[8:9]
	buffer_load_dword v67, off, s[0:3], 0 offset:40
	buffer_load_dword v68, off, s[0:3], 0 offset:44
	v_cmp_lt_u32_e64 s[4:5], 5, v0
	s_waitcnt vmcnt(0)
	ds_write_b64 v70, v[67:68]
	s_waitcnt lgkmcnt(0)
	; wave barrier
	s_and_saveexec_b64 s[8:9], s[4:5]
	s_cbranch_execz .LBB32_266
; %bb.257:
	s_andn2_b64 vcc, exec, s[10:11]
	s_cbranch_vccnz .LBB32_259
; %bb.258:
	buffer_load_dword v67, v71, s[0:3], 0 offen
	buffer_load_dword v68, v71, s[0:3], 0 offen offset:4
	ds_read_b64 v[72:73], v70
	s_waitcnt vmcnt(0) lgkmcnt(0)
	v_mul_f64 v[67:68], v[67:68], v[72:73]
	s_cbranch_execz .LBB32_260
	s_branch .LBB32_261
.LBB32_259:
                                        ; implicit-def: $vgpr67_vgpr68
.LBB32_260:
	ds_read_b64 v[67:68], v70
.LBB32_261:
	s_and_saveexec_b64 s[12:13], s[6:7]
	s_cbranch_execz .LBB32_265
; %bb.262:
	v_add_u32_e32 v72, -6, v0
	s_movk_i32 s20, 0x140
	s_mov_b64 s[6:7], 0
.LBB32_263:                             ; =>This Inner Loop Header: Depth=1
	v_mov_b32_e32 v75, s19
	buffer_load_dword v73, v75, s[0:3], 0 offen
	buffer_load_dword v74, v75, s[0:3], 0 offen offset:4
	v_mov_b32_e32 v75, s20
	ds_read_b64 v[75:76], v75
	v_add_u32_e32 v72, -1, v72
	s_add_i32 s20, s20, 8
	s_add_i32 s19, s19, 8
	v_cmp_eq_u32_e32 vcc, 0, v72
	s_or_b64 s[6:7], vcc, s[6:7]
	s_waitcnt vmcnt(0) lgkmcnt(0)
	v_fma_f64 v[67:68], v[73:74], v[75:76], v[67:68]
	s_andn2_b64 exec, exec, s[6:7]
	s_cbranch_execnz .LBB32_263
; %bb.264:
	s_or_b64 exec, exec, s[6:7]
.LBB32_265:
	s_or_b64 exec, exec, s[12:13]
	v_mov_b32_e32 v72, 0
	ds_read_b64 v[72:73], v72 offset:40
	s_waitcnt lgkmcnt(0)
	v_mul_f64 v[67:68], v[67:68], v[72:73]
	buffer_store_dword v68, off, s[0:3], 0 offset:44
	buffer_store_dword v67, off, s[0:3], 0 offset:40
.LBB32_266:
	s_or_b64 exec, exec, s[8:9]
	buffer_load_dword v67, off, s[0:3], 0 offset:32
	buffer_load_dword v68, off, s[0:3], 0 offset:36
	v_cmp_lt_u32_e64 s[6:7], 4, v0
	s_waitcnt vmcnt(0)
	ds_write_b64 v70, v[67:68]
	s_waitcnt lgkmcnt(0)
	; wave barrier
	s_and_saveexec_b64 s[8:9], s[6:7]
	s_cbranch_execz .LBB32_276
; %bb.267:
	s_andn2_b64 vcc, exec, s[10:11]
	s_cbranch_vccnz .LBB32_269
; %bb.268:
	buffer_load_dword v67, v71, s[0:3], 0 offen
	buffer_load_dword v68, v71, s[0:3], 0 offen offset:4
	ds_read_b64 v[72:73], v70
	s_waitcnt vmcnt(0) lgkmcnt(0)
	v_mul_f64 v[67:68], v[67:68], v[72:73]
	s_cbranch_execz .LBB32_270
	s_branch .LBB32_271
.LBB32_269:
                                        ; implicit-def: $vgpr67_vgpr68
.LBB32_270:
	ds_read_b64 v[67:68], v70
.LBB32_271:
	s_and_saveexec_b64 s[12:13], s[4:5]
	s_cbranch_execz .LBB32_275
; %bb.272:
	v_add_u32_e32 v72, -5, v0
	s_movk_i32 s19, 0x138
	s_mov_b64 s[4:5], 0
.LBB32_273:                             ; =>This Inner Loop Header: Depth=1
	v_mov_b32_e32 v75, s18
	buffer_load_dword v73, v75, s[0:3], 0 offen
	buffer_load_dword v74, v75, s[0:3], 0 offen offset:4
	v_mov_b32_e32 v75, s19
	ds_read_b64 v[75:76], v75
	v_add_u32_e32 v72, -1, v72
	s_add_i32 s19, s19, 8
	s_add_i32 s18, s18, 8
	v_cmp_eq_u32_e32 vcc, 0, v72
	s_or_b64 s[4:5], vcc, s[4:5]
	s_waitcnt vmcnt(0) lgkmcnt(0)
	v_fma_f64 v[67:68], v[73:74], v[75:76], v[67:68]
	s_andn2_b64 exec, exec, s[4:5]
	s_cbranch_execnz .LBB32_273
; %bb.274:
	s_or_b64 exec, exec, s[4:5]
.LBB32_275:
	s_or_b64 exec, exec, s[12:13]
	v_mov_b32_e32 v72, 0
	ds_read_b64 v[72:73], v72 offset:32
	s_waitcnt lgkmcnt(0)
	v_mul_f64 v[67:68], v[67:68], v[72:73]
	buffer_store_dword v68, off, s[0:3], 0 offset:36
	buffer_store_dword v67, off, s[0:3], 0 offset:32
.LBB32_276:
	s_or_b64 exec, exec, s[8:9]
	buffer_load_dword v67, off, s[0:3], 0 offset:24
	buffer_load_dword v68, off, s[0:3], 0 offset:28
	v_cmp_lt_u32_e64 s[4:5], 3, v0
	s_waitcnt vmcnt(0)
	ds_write_b64 v70, v[67:68]
	s_waitcnt lgkmcnt(0)
	; wave barrier
	s_and_saveexec_b64 s[8:9], s[4:5]
	s_cbranch_execz .LBB32_286
; %bb.277:
	s_andn2_b64 vcc, exec, s[10:11]
	s_cbranch_vccnz .LBB32_279
; %bb.278:
	buffer_load_dword v67, v71, s[0:3], 0 offen
	buffer_load_dword v68, v71, s[0:3], 0 offen offset:4
	ds_read_b64 v[72:73], v70
	s_waitcnt vmcnt(0) lgkmcnt(0)
	v_mul_f64 v[67:68], v[67:68], v[72:73]
	s_cbranch_execz .LBB32_280
	s_branch .LBB32_281
.LBB32_279:
                                        ; implicit-def: $vgpr67_vgpr68
.LBB32_280:
	ds_read_b64 v[67:68], v70
.LBB32_281:
	s_and_saveexec_b64 s[12:13], s[6:7]
	s_cbranch_execz .LBB32_285
; %bb.282:
	v_add_u32_e32 v72, -4, v0
	s_movk_i32 s18, 0x130
	s_mov_b64 s[6:7], 0
.LBB32_283:                             ; =>This Inner Loop Header: Depth=1
	v_mov_b32_e32 v75, s17
	buffer_load_dword v73, v75, s[0:3], 0 offen
	buffer_load_dword v74, v75, s[0:3], 0 offen offset:4
	v_mov_b32_e32 v75, s18
	ds_read_b64 v[75:76], v75
	v_add_u32_e32 v72, -1, v72
	s_add_i32 s18, s18, 8
	s_add_i32 s17, s17, 8
	v_cmp_eq_u32_e32 vcc, 0, v72
	s_or_b64 s[6:7], vcc, s[6:7]
	s_waitcnt vmcnt(0) lgkmcnt(0)
	v_fma_f64 v[67:68], v[73:74], v[75:76], v[67:68]
	s_andn2_b64 exec, exec, s[6:7]
	s_cbranch_execnz .LBB32_283
; %bb.284:
	s_or_b64 exec, exec, s[6:7]
.LBB32_285:
	s_or_b64 exec, exec, s[12:13]
	v_mov_b32_e32 v72, 0
	ds_read_b64 v[72:73], v72 offset:24
	s_waitcnt lgkmcnt(0)
	v_mul_f64 v[67:68], v[67:68], v[72:73]
	buffer_store_dword v68, off, s[0:3], 0 offset:28
	buffer_store_dword v67, off, s[0:3], 0 offset:24
.LBB32_286:
	s_or_b64 exec, exec, s[8:9]
	buffer_load_dword v67, off, s[0:3], 0 offset:16
	buffer_load_dword v68, off, s[0:3], 0 offset:20
	v_cmp_lt_u32_e64 s[6:7], 2, v0
	s_waitcnt vmcnt(0)
	ds_write_b64 v70, v[67:68]
	s_waitcnt lgkmcnt(0)
	; wave barrier
	s_and_saveexec_b64 s[8:9], s[6:7]
	s_cbranch_execz .LBB32_296
; %bb.287:
	s_andn2_b64 vcc, exec, s[10:11]
	s_cbranch_vccnz .LBB32_289
; %bb.288:
	buffer_load_dword v67, v71, s[0:3], 0 offen
	buffer_load_dword v68, v71, s[0:3], 0 offen offset:4
	ds_read_b64 v[72:73], v70
	s_waitcnt vmcnt(0) lgkmcnt(0)
	v_mul_f64 v[67:68], v[67:68], v[72:73]
	s_cbranch_execz .LBB32_290
	s_branch .LBB32_291
.LBB32_289:
                                        ; implicit-def: $vgpr67_vgpr68
.LBB32_290:
	ds_read_b64 v[67:68], v70
.LBB32_291:
	s_and_saveexec_b64 s[12:13], s[4:5]
	s_cbranch_execz .LBB32_295
; %bb.292:
	v_add_u32_e32 v72, -3, v0
	s_movk_i32 s17, 0x128
	s_mov_b64 s[4:5], 0
.LBB32_293:                             ; =>This Inner Loop Header: Depth=1
	v_mov_b32_e32 v75, s16
	buffer_load_dword v73, v75, s[0:3], 0 offen
	buffer_load_dword v74, v75, s[0:3], 0 offen offset:4
	v_mov_b32_e32 v75, s17
	ds_read_b64 v[75:76], v75
	v_add_u32_e32 v72, -1, v72
	s_add_i32 s17, s17, 8
	s_add_i32 s16, s16, 8
	v_cmp_eq_u32_e32 vcc, 0, v72
	s_or_b64 s[4:5], vcc, s[4:5]
	s_waitcnt vmcnt(0) lgkmcnt(0)
	v_fma_f64 v[67:68], v[73:74], v[75:76], v[67:68]
	s_andn2_b64 exec, exec, s[4:5]
	s_cbranch_execnz .LBB32_293
; %bb.294:
	s_or_b64 exec, exec, s[4:5]
.LBB32_295:
	s_or_b64 exec, exec, s[12:13]
	v_mov_b32_e32 v72, 0
	ds_read_b64 v[72:73], v72 offset:16
	s_waitcnt lgkmcnt(0)
	v_mul_f64 v[67:68], v[67:68], v[72:73]
	buffer_store_dword v68, off, s[0:3], 0 offset:20
	buffer_store_dword v67, off, s[0:3], 0 offset:16
.LBB32_296:
	s_or_b64 exec, exec, s[8:9]
	buffer_load_dword v67, off, s[0:3], 0 offset:8
	buffer_load_dword v68, off, s[0:3], 0 offset:12
	v_cmp_lt_u32_e64 s[4:5], 1, v0
	s_waitcnt vmcnt(0)
	ds_write_b64 v70, v[67:68]
	s_waitcnt lgkmcnt(0)
	; wave barrier
	s_and_saveexec_b64 s[8:9], s[4:5]
	s_cbranch_execz .LBB32_306
; %bb.297:
	s_andn2_b64 vcc, exec, s[10:11]
	s_cbranch_vccnz .LBB32_299
; %bb.298:
	buffer_load_dword v67, v71, s[0:3], 0 offen
	buffer_load_dword v68, v71, s[0:3], 0 offen offset:4
	ds_read_b64 v[72:73], v70
	s_waitcnt vmcnt(0) lgkmcnt(0)
	v_mul_f64 v[67:68], v[67:68], v[72:73]
	s_cbranch_execz .LBB32_300
	s_branch .LBB32_301
.LBB32_299:
                                        ; implicit-def: $vgpr67_vgpr68
.LBB32_300:
	ds_read_b64 v[67:68], v70
.LBB32_301:
	s_and_saveexec_b64 s[12:13], s[6:7]
	s_cbranch_execz .LBB32_305
; %bb.302:
	v_add_u32_e32 v72, -2, v0
	s_movk_i32 s16, 0x120
	s_mov_b64 s[6:7], 0
.LBB32_303:                             ; =>This Inner Loop Header: Depth=1
	v_mov_b32_e32 v75, s15
	buffer_load_dword v73, v75, s[0:3], 0 offen
	buffer_load_dword v74, v75, s[0:3], 0 offen offset:4
	v_mov_b32_e32 v75, s16
	ds_read_b64 v[75:76], v75
	v_add_u32_e32 v72, -1, v72
	s_add_i32 s16, s16, 8
	s_add_i32 s15, s15, 8
	v_cmp_eq_u32_e32 vcc, 0, v72
	s_or_b64 s[6:7], vcc, s[6:7]
	s_waitcnt vmcnt(0) lgkmcnt(0)
	v_fma_f64 v[67:68], v[73:74], v[75:76], v[67:68]
	s_andn2_b64 exec, exec, s[6:7]
	s_cbranch_execnz .LBB32_303
; %bb.304:
	s_or_b64 exec, exec, s[6:7]
.LBB32_305:
	s_or_b64 exec, exec, s[12:13]
	v_mov_b32_e32 v72, 0
	ds_read_b64 v[72:73], v72 offset:8
	s_waitcnt lgkmcnt(0)
	v_mul_f64 v[67:68], v[67:68], v[72:73]
	buffer_store_dword v68, off, s[0:3], 0 offset:12
	buffer_store_dword v67, off, s[0:3], 0 offset:8
.LBB32_306:
	s_or_b64 exec, exec, s[8:9]
	buffer_load_dword v67, off, s[0:3], 0
	buffer_load_dword v68, off, s[0:3], 0 offset:4
	v_cmp_ne_u32_e32 vcc, 0, v0
	s_waitcnt vmcnt(0)
	ds_write_b64 v70, v[67:68]
	s_waitcnt lgkmcnt(0)
	; wave barrier
	s_and_saveexec_b64 s[6:7], vcc
	s_cbranch_execz .LBB32_316
; %bb.307:
	s_andn2_b64 vcc, exec, s[10:11]
	s_cbranch_vccnz .LBB32_309
; %bb.308:
	buffer_load_dword v67, v71, s[0:3], 0 offen
	buffer_load_dword v68, v71, s[0:3], 0 offen offset:4
	ds_read_b64 v[72:73], v70
	s_waitcnt vmcnt(0) lgkmcnt(0)
	v_mul_f64 v[67:68], v[67:68], v[72:73]
	s_cbranch_execz .LBB32_310
	s_branch .LBB32_311
.LBB32_309:
                                        ; implicit-def: $vgpr67_vgpr68
.LBB32_310:
	ds_read_b64 v[67:68], v70
.LBB32_311:
	s_and_saveexec_b64 s[8:9], s[4:5]
	s_cbranch_execz .LBB32_315
; %bb.312:
	v_add_u32_e32 v72, -1, v0
	s_movk_i32 s12, 0x118
	s_mov_b64 s[4:5], 0
.LBB32_313:                             ; =>This Inner Loop Header: Depth=1
	v_mov_b32_e32 v75, s14
	buffer_load_dword v73, v75, s[0:3], 0 offen
	buffer_load_dword v74, v75, s[0:3], 0 offen offset:4
	v_mov_b32_e32 v75, s12
	ds_read_b64 v[75:76], v75
	v_add_u32_e32 v72, -1, v72
	s_add_i32 s12, s12, 8
	s_add_i32 s14, s14, 8
	v_cmp_eq_u32_e32 vcc, 0, v72
	s_or_b64 s[4:5], vcc, s[4:5]
	s_waitcnt vmcnt(0) lgkmcnt(0)
	v_fma_f64 v[67:68], v[73:74], v[75:76], v[67:68]
	s_andn2_b64 exec, exec, s[4:5]
	s_cbranch_execnz .LBB32_313
; %bb.314:
	s_or_b64 exec, exec, s[4:5]
.LBB32_315:
	s_or_b64 exec, exec, s[8:9]
	v_mov_b32_e32 v72, 0
	ds_read_b64 v[72:73], v72
	s_waitcnt lgkmcnt(0)
	v_mul_f64 v[67:68], v[67:68], v[72:73]
	buffer_store_dword v68, off, s[0:3], 0 offset:4
	buffer_store_dword v67, off, s[0:3], 0
.LBB32_316:
	s_or_b64 exec, exec, s[6:7]
	s_mov_b64 s[4:5], 0
.LBB32_317:
	s_and_b64 vcc, exec, s[4:5]
	s_cbranch_vccz .LBB32_629
; %bb.318:
	buffer_load_dword v67, off, s[0:3], 0 offset:8
	buffer_load_dword v68, off, s[0:3], 0 offset:12
	v_cmp_eq_u32_e64 s[6:7], 0, v0
	s_waitcnt vmcnt(0)
	ds_write_b64 v70, v[67:68]
	s_waitcnt lgkmcnt(0)
	; wave barrier
	s_and_saveexec_b64 s[4:5], s[6:7]
	s_cbranch_execz .LBB32_324
; %bb.319:
	s_and_b64 vcc, exec, s[10:11]
	s_cbranch_vccz .LBB32_321
; %bb.320:
	buffer_load_dword v67, v71, s[0:3], 0 offen
	buffer_load_dword v68, v71, s[0:3], 0 offen offset:4
	ds_read_b64 v[72:73], v70
	s_waitcnt vmcnt(0) lgkmcnt(0)
	v_mul_f64 v[67:68], v[67:68], v[72:73]
	s_cbranch_execz .LBB32_322
	s_branch .LBB32_323
.LBB32_321:
                                        ; implicit-def: $vgpr67_vgpr68
.LBB32_322:
	ds_read_b64 v[67:68], v70
.LBB32_323:
	v_mov_b32_e32 v72, 0
	ds_read_b64 v[72:73], v72 offset:8
	s_waitcnt lgkmcnt(0)
	v_mul_f64 v[67:68], v[67:68], v[72:73]
	buffer_store_dword v68, off, s[0:3], 0 offset:12
	buffer_store_dword v67, off, s[0:3], 0 offset:8
.LBB32_324:
	s_or_b64 exec, exec, s[4:5]
	buffer_load_dword v67, off, s[0:3], 0 offset:16
	buffer_load_dword v68, off, s[0:3], 0 offset:20
	v_cndmask_b32_e64 v72, 0, 1, s[10:11]
	v_cmp_gt_u32_e32 vcc, 2, v0
	v_cmp_ne_u32_e64 s[4:5], 1, v72
	s_waitcnt vmcnt(0)
	ds_write_b64 v70, v[67:68]
	s_waitcnt lgkmcnt(0)
	; wave barrier
	s_and_saveexec_b64 s[8:9], vcc
	s_cbranch_execz .LBB32_330
; %bb.325:
	s_and_b64 vcc, exec, s[4:5]
	s_cbranch_vccnz .LBB32_327
; %bb.326:
	buffer_load_dword v67, v71, s[0:3], 0 offen
	buffer_load_dword v68, v71, s[0:3], 0 offen offset:4
	ds_read_b64 v[72:73], v70
	s_waitcnt vmcnt(0) lgkmcnt(0)
	v_mul_f64 v[67:68], v[67:68], v[72:73]
	s_cbranch_execz .LBB32_328
	s_branch .LBB32_329
.LBB32_327:
                                        ; implicit-def: $vgpr67_vgpr68
.LBB32_328:
	ds_read_b64 v[67:68], v70
.LBB32_329:
	buffer_load_dword v76, off, s[0:3], 0 offset:8
	buffer_load_dword v77, off, s[0:3], 0 offset:12
	v_mov_b32_e32 v72, 0
	ds_read2_b64 v[72:75], v72 offset0:2 offset1:35
	s_waitcnt vmcnt(0) lgkmcnt(0)
	v_fma_f64 v[74:75], v[76:77], v[74:75], v[67:68]
	v_cndmask_b32_e64 v68, v68, v75, s[6:7]
	v_cndmask_b32_e64 v67, v67, v74, s[6:7]
	v_mul_f64 v[67:68], v[67:68], v[72:73]
	buffer_store_dword v68, off, s[0:3], 0 offset:20
	buffer_store_dword v67, off, s[0:3], 0 offset:16
.LBB32_330:
	s_or_b64 exec, exec, s[8:9]
	buffer_load_dword v67, off, s[0:3], 0 offset:24
	buffer_load_dword v68, off, s[0:3], 0 offset:28
	v_cmp_gt_u32_e32 vcc, 3, v0
	s_waitcnt vmcnt(0)
	ds_write_b64 v70, v[67:68]
	s_waitcnt lgkmcnt(0)
	; wave barrier
	s_and_saveexec_b64 s[8:9], vcc
	s_cbranch_execz .LBB32_338
; %bb.331:
	s_and_b64 vcc, exec, s[4:5]
	s_cbranch_vccnz .LBB32_333
; %bb.332:
	buffer_load_dword v67, v71, s[0:3], 0 offen
	buffer_load_dword v68, v71, s[0:3], 0 offen offset:4
	ds_read_b64 v[72:73], v70
	s_waitcnt vmcnt(0) lgkmcnt(0)
	v_mul_f64 v[67:68], v[67:68], v[72:73]
	s_cbranch_execz .LBB32_334
	s_branch .LBB32_335
.LBB32_333:
                                        ; implicit-def: $vgpr67_vgpr68
.LBB32_334:
	ds_read_b64 v[67:68], v70
.LBB32_335:
	v_cmp_ne_u32_e32 vcc, 2, v0
	s_and_saveexec_b64 s[10:11], vcc
	s_cbranch_execz .LBB32_337
; %bb.336:
	buffer_load_dword v72, v71, s[0:3], 0 offen offset:8
	buffer_load_dword v73, v71, s[0:3], 0 offen offset:12
	buffer_load_dword v74, off, s[0:3], 0 offset:16
	buffer_load_dword v75, off, s[0:3], 0 offset:20
	ds_read_b64 v[76:77], v70 offset:8
	v_mov_b32_e32 v78, 0
	ds_read_b64 v[78:79], v78 offset:288
	s_waitcnt vmcnt(2) lgkmcnt(1)
	v_fma_f64 v[67:68], v[72:73], v[76:77], v[67:68]
	s_waitcnt vmcnt(0) lgkmcnt(0)
	v_fma_f64 v[72:73], v[74:75], v[78:79], v[67:68]
	v_cndmask_b32_e64 v68, v68, v73, s[6:7]
	v_cndmask_b32_e64 v67, v67, v72, s[6:7]
.LBB32_337:
	s_or_b64 exec, exec, s[10:11]
	v_mov_b32_e32 v72, 0
	ds_read_b64 v[72:73], v72 offset:24
	s_waitcnt lgkmcnt(0)
	v_mul_f64 v[67:68], v[67:68], v[72:73]
	buffer_store_dword v68, off, s[0:3], 0 offset:28
	buffer_store_dword v67, off, s[0:3], 0 offset:24
.LBB32_338:
	s_or_b64 exec, exec, s[8:9]
	buffer_load_dword v67, off, s[0:3], 0 offset:32
	buffer_load_dword v68, off, s[0:3], 0 offset:36
	v_cmp_gt_u32_e32 vcc, 4, v0
	s_waitcnt vmcnt(0)
	ds_write_b64 v70, v[67:68]
	s_waitcnt lgkmcnt(0)
	; wave barrier
	s_and_saveexec_b64 s[6:7], vcc
	s_cbranch_execz .LBB32_348
; %bb.339:
	s_and_b64 vcc, exec, s[4:5]
	s_cbranch_vccnz .LBB32_341
; %bb.340:
	buffer_load_dword v67, v71, s[0:3], 0 offen
	buffer_load_dword v68, v71, s[0:3], 0 offen offset:4
	ds_read_b64 v[72:73], v70
	s_waitcnt vmcnt(0) lgkmcnt(0)
	v_mul_f64 v[67:68], v[67:68], v[72:73]
	s_cbranch_execz .LBB32_342
	s_branch .LBB32_343
.LBB32_341:
                                        ; implicit-def: $vgpr67_vgpr68
.LBB32_342:
	ds_read_b64 v[67:68], v70
.LBB32_343:
	v_cmp_ne_u32_e32 vcc, 3, v0
	s_and_saveexec_b64 s[8:9], vcc
	s_cbranch_execz .LBB32_347
; %bb.344:
	s_mov_b32 s10, 0
	v_add_u32_e32 v72, 0x118, v69
	v_add3_u32 v73, v69, s10, 8
	s_mov_b64 s[10:11], 0
	v_mov_b32_e32 v74, v0
.LBB32_345:                             ; =>This Inner Loop Header: Depth=1
	buffer_load_dword v75, v73, s[0:3], 0 offen
	buffer_load_dword v76, v73, s[0:3], 0 offen offset:4
	ds_read_b64 v[77:78], v72
	v_add_u32_e32 v74, 1, v74
	v_cmp_lt_u32_e32 vcc, 2, v74
	v_add_u32_e32 v72, 8, v72
	s_or_b64 s[10:11], vcc, s[10:11]
	v_add_u32_e32 v73, 8, v73
	s_waitcnt vmcnt(0) lgkmcnt(0)
	v_fma_f64 v[67:68], v[75:76], v[77:78], v[67:68]
	s_andn2_b64 exec, exec, s[10:11]
	s_cbranch_execnz .LBB32_345
; %bb.346:
	s_or_b64 exec, exec, s[10:11]
.LBB32_347:
	s_or_b64 exec, exec, s[8:9]
	v_mov_b32_e32 v72, 0
	ds_read_b64 v[72:73], v72 offset:32
	s_waitcnt lgkmcnt(0)
	v_mul_f64 v[67:68], v[67:68], v[72:73]
	buffer_store_dword v68, off, s[0:3], 0 offset:36
	buffer_store_dword v67, off, s[0:3], 0 offset:32
.LBB32_348:
	s_or_b64 exec, exec, s[6:7]
	buffer_load_dword v67, off, s[0:3], 0 offset:40
	buffer_load_dword v68, off, s[0:3], 0 offset:44
	v_cmp_gt_u32_e32 vcc, 5, v0
	s_waitcnt vmcnt(0)
	ds_write_b64 v70, v[67:68]
	s_waitcnt lgkmcnt(0)
	; wave barrier
	s_and_saveexec_b64 s[6:7], vcc
	s_cbranch_execz .LBB32_358
; %bb.349:
	s_and_b64 vcc, exec, s[4:5]
	s_cbranch_vccnz .LBB32_351
; %bb.350:
	buffer_load_dword v67, v71, s[0:3], 0 offen
	buffer_load_dword v68, v71, s[0:3], 0 offen offset:4
	ds_read_b64 v[72:73], v70
	s_waitcnt vmcnt(0) lgkmcnt(0)
	v_mul_f64 v[67:68], v[67:68], v[72:73]
	s_cbranch_execz .LBB32_352
	s_branch .LBB32_353
.LBB32_351:
                                        ; implicit-def: $vgpr67_vgpr68
.LBB32_352:
	ds_read_b64 v[67:68], v70
.LBB32_353:
	v_cmp_ne_u32_e32 vcc, 4, v0
	s_and_saveexec_b64 s[8:9], vcc
	s_cbranch_execz .LBB32_357
; %bb.354:
	s_mov_b32 s10, 0
	v_add_u32_e32 v72, 0x118, v69
	v_add3_u32 v73, v69, s10, 8
	s_mov_b64 s[10:11], 0
	v_mov_b32_e32 v74, v0
.LBB32_355:                             ; =>This Inner Loop Header: Depth=1
	buffer_load_dword v75, v73, s[0:3], 0 offen
	buffer_load_dword v76, v73, s[0:3], 0 offen offset:4
	ds_read_b64 v[77:78], v72
	v_add_u32_e32 v74, 1, v74
	v_cmp_lt_u32_e32 vcc, 3, v74
	v_add_u32_e32 v72, 8, v72
	s_or_b64 s[10:11], vcc, s[10:11]
	v_add_u32_e32 v73, 8, v73
	s_waitcnt vmcnt(0) lgkmcnt(0)
	v_fma_f64 v[67:68], v[75:76], v[77:78], v[67:68]
	s_andn2_b64 exec, exec, s[10:11]
	s_cbranch_execnz .LBB32_355
; %bb.356:
	s_or_b64 exec, exec, s[10:11]
.LBB32_357:
	s_or_b64 exec, exec, s[8:9]
	v_mov_b32_e32 v72, 0
	ds_read_b64 v[72:73], v72 offset:40
	s_waitcnt lgkmcnt(0)
	v_mul_f64 v[67:68], v[67:68], v[72:73]
	buffer_store_dword v68, off, s[0:3], 0 offset:44
	buffer_store_dword v67, off, s[0:3], 0 offset:40
.LBB32_358:
	;; [unrolled: 59-line block ×27, first 2 shown]
	s_or_b64 exec, exec, s[6:7]
	buffer_load_dword v67, off, s[0:3], 0 offset:248
	buffer_load_dword v68, off, s[0:3], 0 offset:252
	v_cmp_gt_u32_e64 s[6:7], 31, v0
	s_waitcnt vmcnt(0)
	ds_write_b64 v70, v[67:68]
	s_waitcnt lgkmcnt(0)
	; wave barrier
	s_and_saveexec_b64 s[8:9], s[6:7]
	s_cbranch_execz .LBB32_618
; %bb.609:
	s_and_b64 vcc, exec, s[4:5]
	s_cbranch_vccnz .LBB32_611
; %bb.610:
	buffer_load_dword v67, v71, s[0:3], 0 offen
	buffer_load_dword v68, v71, s[0:3], 0 offen offset:4
	ds_read_b64 v[72:73], v70
	s_waitcnt vmcnt(0) lgkmcnt(0)
	v_mul_f64 v[67:68], v[67:68], v[72:73]
	s_cbranch_execz .LBB32_612
	s_branch .LBB32_613
.LBB32_611:
                                        ; implicit-def: $vgpr67_vgpr68
.LBB32_612:
	ds_read_b64 v[67:68], v70
.LBB32_613:
	v_cmp_ne_u32_e32 vcc, 30, v0
	s_and_saveexec_b64 s[10:11], vcc
	s_cbranch_execz .LBB32_617
; %bb.614:
	s_mov_b32 s12, 0
	v_add_u32_e32 v72, 0x118, v69
	v_add3_u32 v73, v69, s12, 8
	s_mov_b64 s[12:13], 0
	v_mov_b32_e32 v74, v0
.LBB32_615:                             ; =>This Inner Loop Header: Depth=1
	buffer_load_dword v75, v73, s[0:3], 0 offen
	buffer_load_dword v76, v73, s[0:3], 0 offen offset:4
	ds_read_b64 v[77:78], v72
	v_add_u32_e32 v74, 1, v74
	v_cmp_lt_u32_e32 vcc, 29, v74
	v_add_u32_e32 v72, 8, v72
	s_or_b64 s[12:13], vcc, s[12:13]
	v_add_u32_e32 v73, 8, v73
	s_waitcnt vmcnt(0) lgkmcnt(0)
	v_fma_f64 v[67:68], v[75:76], v[77:78], v[67:68]
	s_andn2_b64 exec, exec, s[12:13]
	s_cbranch_execnz .LBB32_615
; %bb.616:
	s_or_b64 exec, exec, s[12:13]
.LBB32_617:
	s_or_b64 exec, exec, s[10:11]
	v_mov_b32_e32 v72, 0
	ds_read_b64 v[72:73], v72 offset:248
	s_waitcnt lgkmcnt(0)
	v_mul_f64 v[67:68], v[67:68], v[72:73]
	buffer_store_dword v68, off, s[0:3], 0 offset:252
	buffer_store_dword v67, off, s[0:3], 0 offset:248
.LBB32_618:
	s_or_b64 exec, exec, s[8:9]
	buffer_load_dword v67, off, s[0:3], 0 offset:256
	buffer_load_dword v68, off, s[0:3], 0 offset:260
	v_cmp_ne_u32_e32 vcc, 32, v0
	s_waitcnt vmcnt(0)
	ds_write_b64 v70, v[67:68]
	s_waitcnt lgkmcnt(0)
	; wave barrier
	s_and_saveexec_b64 s[8:9], vcc
	s_cbranch_execz .LBB32_628
; %bb.619:
	s_and_b64 vcc, exec, s[4:5]
	s_cbranch_vccnz .LBB32_621
; %bb.620:
	buffer_load_dword v67, v71, s[0:3], 0 offen
	buffer_load_dword v68, v71, s[0:3], 0 offen offset:4
	ds_read_b64 v[71:72], v70
	s_waitcnt vmcnt(0) lgkmcnt(0)
	v_mul_f64 v[67:68], v[67:68], v[71:72]
	s_cbranch_execz .LBB32_622
	s_branch .LBB32_623
.LBB32_621:
                                        ; implicit-def: $vgpr67_vgpr68
.LBB32_622:
	ds_read_b64 v[67:68], v70
.LBB32_623:
	s_and_saveexec_b64 s[4:5], s[6:7]
	s_cbranch_execz .LBB32_627
; %bb.624:
	s_mov_b32 s6, 0
	v_add_u32_e32 v70, 0x118, v69
	v_add3_u32 v69, v69, s6, 8
	s_mov_b64 s[6:7], 0
.LBB32_625:                             ; =>This Inner Loop Header: Depth=1
	buffer_load_dword v71, v69, s[0:3], 0 offen
	buffer_load_dword v72, v69, s[0:3], 0 offen offset:4
	ds_read_b64 v[73:74], v70
	v_add_u32_e32 v0, 1, v0
	v_cmp_lt_u32_e32 vcc, 30, v0
	v_add_u32_e32 v70, 8, v70
	s_or_b64 s[6:7], vcc, s[6:7]
	v_add_u32_e32 v69, 8, v69
	s_waitcnt vmcnt(0) lgkmcnt(0)
	v_fma_f64 v[67:68], v[71:72], v[73:74], v[67:68]
	s_andn2_b64 exec, exec, s[6:7]
	s_cbranch_execnz .LBB32_625
; %bb.626:
	s_or_b64 exec, exec, s[6:7]
.LBB32_627:
	s_or_b64 exec, exec, s[4:5]
	v_mov_b32_e32 v0, 0
	ds_read_b64 v[69:70], v0 offset:256
	s_waitcnt lgkmcnt(0)
	v_mul_f64 v[67:68], v[67:68], v[69:70]
	buffer_store_dword v68, off, s[0:3], 0 offset:260
	buffer_store_dword v67, off, s[0:3], 0 offset:256
.LBB32_628:
	s_or_b64 exec, exec, s[8:9]
.LBB32_629:
	buffer_load_dword v67, off, s[0:3], 0
	buffer_load_dword v68, off, s[0:3], 0 offset:4
	buffer_load_dword v69, off, s[0:3], 0 offset:8
	buffer_load_dword v70, off, s[0:3], 0 offset:12
	buffer_load_dword v71, off, s[0:3], 0 offset:16
	buffer_load_dword v72, off, s[0:3], 0 offset:20
	buffer_load_dword v73, off, s[0:3], 0 offset:24
	buffer_load_dword v74, off, s[0:3], 0 offset:28
	buffer_load_dword v75, off, s[0:3], 0 offset:32
	buffer_load_dword v76, off, s[0:3], 0 offset:36
	s_waitcnt vmcnt(8)
	global_store_dwordx2 v[65:66], v[67:68], off
	buffer_load_dword v65, off, s[0:3], 0 offset:40
	s_nop 0
	buffer_load_dword v66, off, s[0:3], 0 offset:44
	buffer_load_dword v67, off, s[0:3], 0 offset:48
	;; [unrolled: 1-line block ×5, first 2 shown]
	s_waitcnt vmcnt(13)
	global_store_dwordx2 v[63:64], v[69:70], off
	s_waitcnt vmcnt(12)
	global_store_dwordx2 v[13:14], v[71:72], off
	buffer_load_dword v14, off, s[0:3], 0 offset:68
	s_nop 0
	buffer_load_dword v63, off, s[0:3], 0 offset:72
	buffer_load_dword v64, off, s[0:3], 0 offset:76
	buffer_load_dword v69, off, s[0:3], 0 offset:80
	buffer_load_dword v70, off, s[0:3], 0 offset:84
	buffer_load_dword v71, off, s[0:3], 0 offset:88
	buffer_load_dword v72, off, s[0:3], 0 offset:92
	buffer_load_dword v13, off, s[0:3], 0 offset:64
	buffer_load_dword v79, off, s[0:3], 0 offset:96
	buffer_load_dword v80, off, s[0:3], 0 offset:100
	s_waitcnt vmcnt(21)
	global_store_dwordx2 v[1:2], v[73:74], off
	s_waitcnt vmcnt(20)
	global_store_dwordx2 v[5:6], v[75:76], off
	buffer_load_dword v0, off, s[0:3], 0 offset:104
	buffer_load_dword v1, off, s[0:3], 0 offset:108
	s_nop 0
	buffer_load_dword v5, off, s[0:3], 0 offset:112
	buffer_load_dword v6, off, s[0:3], 0 offset:116
	;; [unrolled: 1-line block ×4, first 2 shown]
	s_waitcnt vmcnt(24)
	global_store_dwordx2 v[3:4], v[65:66], off
	s_waitcnt vmcnt(23)
	global_store_dwordx2 v[11:12], v[67:68], off
	buffer_load_dword v2, off, s[0:3], 0 offset:128
	buffer_load_dword v3, off, s[0:3], 0 offset:132
	s_nop 0
	buffer_load_dword v11, off, s[0:3], 0 offset:136
	buffer_load_dword v12, off, s[0:3], 0 offset:140
	;; [unrolled: 1-line block ×6, first 2 shown]
	s_waitcnt vmcnt(30)
	global_store_dwordx2 v[7:8], v[77:78], off
	s_waitcnt vmcnt(21)
	global_store_dwordx2 v[15:16], v[13:14], off
	buffer_load_dword v7, off, s[0:3], 0 offset:160
	buffer_load_dword v8, off, s[0:3], 0 offset:164
	s_nop 0
	buffer_load_dword v13, off, s[0:3], 0 offset:168
	buffer_load_dword v14, off, s[0:3], 0 offset:172
	;; [unrolled: 1-line block ×6, first 2 shown]
	s_nop 0
	global_store_dwordx2 v[9:10], v[63:64], off
	global_store_dwordx2 v[21:22], v[69:70], off
	buffer_load_dword v9, off, s[0:3], 0 offset:192
	s_nop 0
	buffer_load_dword v10, off, s[0:3], 0 offset:196
	buffer_load_dword v21, off, s[0:3], 0 offset:200
	;; [unrolled: 1-line block ×7, first 2 shown]
	s_nop 0
	global_store_dwordx2 v[17:18], v[71:72], off
	s_waitcnt vmcnt(39)
	global_store_dwordx2 v[23:24], v[79:80], off
	buffer_load_dword v17, off, s[0:3], 0 offset:224
	buffer_load_dword v18, off, s[0:3], 0 offset:228
	s_nop 0
	buffer_load_dword v23, off, s[0:3], 0 offset:232
	buffer_load_dword v24, off, s[0:3], 0 offset:236
	;; [unrolled: 1-line block ×8, first 2 shown]
	s_waitcnt vmcnt(46)
	global_store_dwordx2 v[19:20], v[0:1], off
	s_waitcnt vmcnt(45)
	global_store_dwordx2 v[25:26], v[5:6], off
	;; [unrolled: 2-line block ×20, first 2 shown]
.LBB32_630:
	s_endpgm
	.section	.rodata,"a",@progbits
	.p2align	6, 0x0
	.amdhsa_kernel _ZN9rocsolver6v33100L18trti2_kernel_smallILi33EdPdEEv13rocblas_fill_17rocblas_diagonal_T1_iil
		.amdhsa_group_segment_fixed_size 536
		.amdhsa_private_segment_fixed_size 272
		.amdhsa_kernarg_size 32
		.amdhsa_user_sgpr_count 6
		.amdhsa_user_sgpr_private_segment_buffer 1
		.amdhsa_user_sgpr_dispatch_ptr 0
		.amdhsa_user_sgpr_queue_ptr 0
		.amdhsa_user_sgpr_kernarg_segment_ptr 1
		.amdhsa_user_sgpr_dispatch_id 0
		.amdhsa_user_sgpr_flat_scratch_init 0
		.amdhsa_user_sgpr_private_segment_size 0
		.amdhsa_uses_dynamic_stack 0
		.amdhsa_system_sgpr_private_segment_wavefront_offset 1
		.amdhsa_system_sgpr_workgroup_id_x 1
		.amdhsa_system_sgpr_workgroup_id_y 0
		.amdhsa_system_sgpr_workgroup_id_z 0
		.amdhsa_system_sgpr_workgroup_info 0
		.amdhsa_system_vgpr_workitem_id 0
		.amdhsa_next_free_vgpr 81
		.amdhsa_next_free_sgpr 46
		.amdhsa_reserve_vcc 1
		.amdhsa_reserve_flat_scratch 0
		.amdhsa_float_round_mode_32 0
		.amdhsa_float_round_mode_16_64 0
		.amdhsa_float_denorm_mode_32 3
		.amdhsa_float_denorm_mode_16_64 3
		.amdhsa_dx10_clamp 1
		.amdhsa_ieee_mode 1
		.amdhsa_fp16_overflow 0
		.amdhsa_exception_fp_ieee_invalid_op 0
		.amdhsa_exception_fp_denorm_src 0
		.amdhsa_exception_fp_ieee_div_zero 0
		.amdhsa_exception_fp_ieee_overflow 0
		.amdhsa_exception_fp_ieee_underflow 0
		.amdhsa_exception_fp_ieee_inexact 0
		.amdhsa_exception_int_div_zero 0
	.end_amdhsa_kernel
	.section	.text._ZN9rocsolver6v33100L18trti2_kernel_smallILi33EdPdEEv13rocblas_fill_17rocblas_diagonal_T1_iil,"axG",@progbits,_ZN9rocsolver6v33100L18trti2_kernel_smallILi33EdPdEEv13rocblas_fill_17rocblas_diagonal_T1_iil,comdat
.Lfunc_end32:
	.size	_ZN9rocsolver6v33100L18trti2_kernel_smallILi33EdPdEEv13rocblas_fill_17rocblas_diagonal_T1_iil, .Lfunc_end32-_ZN9rocsolver6v33100L18trti2_kernel_smallILi33EdPdEEv13rocblas_fill_17rocblas_diagonal_T1_iil
                                        ; -- End function
	.set _ZN9rocsolver6v33100L18trti2_kernel_smallILi33EdPdEEv13rocblas_fill_17rocblas_diagonal_T1_iil.num_vgpr, 81
	.set _ZN9rocsolver6v33100L18trti2_kernel_smallILi33EdPdEEv13rocblas_fill_17rocblas_diagonal_T1_iil.num_agpr, 0
	.set _ZN9rocsolver6v33100L18trti2_kernel_smallILi33EdPdEEv13rocblas_fill_17rocblas_diagonal_T1_iil.numbered_sgpr, 46
	.set _ZN9rocsolver6v33100L18trti2_kernel_smallILi33EdPdEEv13rocblas_fill_17rocblas_diagonal_T1_iil.num_named_barrier, 0
	.set _ZN9rocsolver6v33100L18trti2_kernel_smallILi33EdPdEEv13rocblas_fill_17rocblas_diagonal_T1_iil.private_seg_size, 272
	.set _ZN9rocsolver6v33100L18trti2_kernel_smallILi33EdPdEEv13rocblas_fill_17rocblas_diagonal_T1_iil.uses_vcc, 1
	.set _ZN9rocsolver6v33100L18trti2_kernel_smallILi33EdPdEEv13rocblas_fill_17rocblas_diagonal_T1_iil.uses_flat_scratch, 0
	.set _ZN9rocsolver6v33100L18trti2_kernel_smallILi33EdPdEEv13rocblas_fill_17rocblas_diagonal_T1_iil.has_dyn_sized_stack, 0
	.set _ZN9rocsolver6v33100L18trti2_kernel_smallILi33EdPdEEv13rocblas_fill_17rocblas_diagonal_T1_iil.has_recursion, 0
	.set _ZN9rocsolver6v33100L18trti2_kernel_smallILi33EdPdEEv13rocblas_fill_17rocblas_diagonal_T1_iil.has_indirect_call, 0
	.section	.AMDGPU.csdata,"",@progbits
; Kernel info:
; codeLenInByte = 19268
; TotalNumSgprs: 50
; NumVgprs: 81
; ScratchSize: 272
; MemoryBound: 0
; FloatMode: 240
; IeeeMode: 1
; LDSByteSize: 536 bytes/workgroup (compile time only)
; SGPRBlocks: 6
; VGPRBlocks: 20
; NumSGPRsForWavesPerEU: 50
; NumVGPRsForWavesPerEU: 81
; Occupancy: 3
; WaveLimiterHint : 0
; COMPUTE_PGM_RSRC2:SCRATCH_EN: 1
; COMPUTE_PGM_RSRC2:USER_SGPR: 6
; COMPUTE_PGM_RSRC2:TRAP_HANDLER: 0
; COMPUTE_PGM_RSRC2:TGID_X_EN: 1
; COMPUTE_PGM_RSRC2:TGID_Y_EN: 0
; COMPUTE_PGM_RSRC2:TGID_Z_EN: 0
; COMPUTE_PGM_RSRC2:TIDIG_COMP_CNT: 0
	.section	.text._ZN9rocsolver6v33100L18trti2_kernel_smallILi34EdPdEEv13rocblas_fill_17rocblas_diagonal_T1_iil,"axG",@progbits,_ZN9rocsolver6v33100L18trti2_kernel_smallILi34EdPdEEv13rocblas_fill_17rocblas_diagonal_T1_iil,comdat
	.globl	_ZN9rocsolver6v33100L18trti2_kernel_smallILi34EdPdEEv13rocblas_fill_17rocblas_diagonal_T1_iil ; -- Begin function _ZN9rocsolver6v33100L18trti2_kernel_smallILi34EdPdEEv13rocblas_fill_17rocblas_diagonal_T1_iil
	.p2align	8
	.type	_ZN9rocsolver6v33100L18trti2_kernel_smallILi34EdPdEEv13rocblas_fill_17rocblas_diagonal_T1_iil,@function
_ZN9rocsolver6v33100L18trti2_kernel_smallILi34EdPdEEv13rocblas_fill_17rocblas_diagonal_T1_iil: ; @_ZN9rocsolver6v33100L18trti2_kernel_smallILi34EdPdEEv13rocblas_fill_17rocblas_diagonal_T1_iil
; %bb.0:
	s_add_u32 s0, s0, s7
	s_addc_u32 s1, s1, 0
	v_cmp_gt_u32_e32 vcc, 34, v0
	s_and_saveexec_b64 s[8:9], vcc
	s_cbranch_execz .LBB33_650
; %bb.1:
	s_load_dwordx8 s[8:15], s[4:5], 0x0
	s_ashr_i32 s7, s6, 31
	v_lshlrev_b32_e32 v71, 3, v0
	s_waitcnt lgkmcnt(0)
	s_ashr_i32 s5, s12, 31
	s_mov_b32 s4, s12
	s_mul_hi_u32 s12, s14, s6
	s_mul_i32 s7, s14, s7
	s_add_i32 s7, s12, s7
	s_mul_i32 s12, s15, s6
	s_add_i32 s7, s7, s12
	s_mul_i32 s6, s14, s6
	s_lshl_b64 s[6:7], s[6:7], 3
	s_add_u32 s6, s10, s6
	s_addc_u32 s7, s11, s7
	s_lshl_b64 s[4:5], s[4:5], 3
	s_add_u32 s4, s6, s4
	s_addc_u32 s5, s7, s5
	s_add_i32 s6, s13, s13
	v_add_u32_e32 v1, s6, v0
	v_ashrrev_i32_e32 v2, 31, v1
	v_lshlrev_b64 v[2:3], 3, v[1:2]
	v_mov_b32_e32 v4, s5
	v_add_co_u32_e32 v13, vcc, s4, v2
	v_addc_co_u32_e32 v14, vcc, v4, v3, vcc
	v_add_u32_e32 v3, s13, v1
	v_ashrrev_i32_e32 v4, 31, v3
	v_lshlrev_b64 v[1:2], 3, v[3:4]
	v_add_u32_e32 v5, s13, v3
	v_mov_b32_e32 v4, s5
	v_add_co_u32_e32 v1, vcc, s4, v1
	v_ashrrev_i32_e32 v6, 31, v5
	v_addc_co_u32_e32 v2, vcc, v4, v2, vcc
	v_lshlrev_b64 v[3:4], 3, v[5:6]
	v_add_u32_e32 v7, s13, v5
	v_mov_b32_e32 v6, s5
	v_add_co_u32_e32 v3, vcc, s4, v3
	v_ashrrev_i32_e32 v8, 31, v7
	v_addc_co_u32_e32 v4, vcc, v6, v4, vcc
	v_lshlrev_b64 v[5:6], 3, v[7:8]
	v_mov_b32_e32 v8, s5
	v_add_co_u32_e32 v5, vcc, s4, v5
	v_add_u32_e32 v7, s13, v7
	v_addc_co_u32_e32 v6, vcc, v8, v6, vcc
	v_ashrrev_i32_e32 v8, 31, v7
	v_lshlrev_b64 v[8:9], 3, v[7:8]
	v_mov_b32_e32 v10, s5
	v_add_co_u32_e32 v11, vcc, s4, v8
	v_addc_co_u32_e32 v12, vcc, v10, v9, vcc
	v_add_u32_e32 v9, s13, v7
	v_ashrrev_i32_e32 v10, 31, v9
	v_lshlrev_b64 v[7:8], 3, v[9:10]
	v_mov_b32_e32 v10, s5
	v_add_co_u32_e32 v7, vcc, s4, v7
	v_add_u32_e32 v9, s13, v9
	v_addc_co_u32_e32 v8, vcc, v10, v8, vcc
	v_ashrrev_i32_e32 v10, 31, v9
	v_lshlrev_b64 v[15:16], 3, v[9:10]
	v_add_u32_e32 v17, s13, v9
	v_mov_b32_e32 v10, s5
	v_add_co_u32_e32 v15, vcc, s4, v15
	v_ashrrev_i32_e32 v18, 31, v17
	v_addc_co_u32_e32 v16, vcc, v10, v16, vcc
	v_lshlrev_b64 v[9:10], 3, v[17:18]
	v_mov_b32_e32 v18, s5
	v_add_co_u32_e32 v9, vcc, s4, v9
	v_add_u32_e32 v17, s13, v17
	v_addc_co_u32_e32 v10, vcc, v18, v10, vcc
	v_ashrrev_i32_e32 v18, 31, v17
	v_lshlrev_b64 v[19:20], 3, v[17:18]
	v_mov_b32_e32 v21, s5
	v_add_co_u32_e32 v19, vcc, s4, v19
	v_addc_co_u32_e32 v20, vcc, v21, v20, vcc
	v_add_u32_e32 v21, s13, v17
	v_ashrrev_i32_e32 v22, 31, v21
	v_lshlrev_b64 v[17:18], 3, v[21:22]
	v_add_u32_e32 v21, s13, v21
	v_mov_b32_e32 v23, s5
	v_add_co_u32_e32 v17, vcc, s4, v17
	v_ashrrev_i32_e32 v22, 31, v21
	v_addc_co_u32_e32 v18, vcc, v23, v18, vcc
	v_lshlrev_b64 v[22:23], 3, v[21:22]
	v_mov_b32_e32 v24, s5
	v_add_co_u32_e32 v25, vcc, s4, v22
	v_addc_co_u32_e32 v26, vcc, v24, v23, vcc
	v_add_u32_e32 v23, s13, v21
	v_ashrrev_i32_e32 v24, 31, v23
	v_lshlrev_b64 v[21:22], 3, v[23:24]
	v_mov_b32_e32 v27, s5
	v_add_co_u32_e32 v21, vcc, s4, v21
	v_addc_co_u32_e32 v22, vcc, v27, v22, vcc
	v_add_u32_e32 v27, s13, v23
	v_ashrrev_i32_e32 v28, 31, v27
	;; [unrolled: 6-line block ×7, first 2 shown]
	global_load_dwordx2 v[69:70], v71, s[4:5]
	global_load_dwordx2 v[74:75], v[13:14], off
	v_lshlrev_b64 v[35:36], 3, v[37:38]
	v_mov_b32_e32 v39, s5
	v_add_co_u32_e32 v35, vcc, s4, v35
	v_addc_co_u32_e32 v36, vcc, v39, v36, vcc
	v_add_u32_e32 v39, s13, v37
	v_ashrrev_i32_e32 v40, 31, v39
	v_lshlrev_b64 v[37:38], 3, v[39:40]
	v_mov_b32_e32 v41, s5
	v_add_co_u32_e32 v37, vcc, s4, v37
	v_addc_co_u32_e32 v38, vcc, v41, v38, vcc
	v_add_u32_e32 v41, s13, v39
	v_ashrrev_i32_e32 v42, 31, v41
	;; [unrolled: 6-line block ×13, first 2 shown]
	v_lshlrev_b64 v[61:62], 3, v[63:64]
	v_mov_b32_e32 v65, s5
	v_add_co_u32_e32 v61, vcc, s4, v61
	v_addc_co_u32_e32 v62, vcc, v65, v62, vcc
	v_mov_b32_e32 v64, s5
	v_add_co_u32_e32 v67, vcc, s4, v71
	s_ashr_i32 s7, s13, 31
	s_mov_b32 s6, s13
	v_addc_co_u32_e32 v68, vcc, 0, v64, vcc
	s_lshl_b64 s[6:7], s[6:7], 3
	v_mov_b32_e32 v64, s7
	v_add_co_u32_e32 v65, vcc, s6, v67
	v_addc_co_u32_e32 v66, vcc, v68, v64, vcc
	global_load_dwordx2 v[72:73], v[65:66], off
	v_add_u32_e32 v63, s13, v63
	v_ashrrev_i32_e32 v64, 31, v63
	v_lshlrev_b64 v[63:64], 3, v[63:64]
	v_mov_b32_e32 v76, s5
	v_add_co_u32_e32 v63, vcc, s4, v63
	v_addc_co_u32_e32 v64, vcc, v76, v64, vcc
	global_load_dwordx2 v[76:77], v[1:2], off
	global_load_dwordx2 v[78:79], v[63:64], off
	s_waitcnt vmcnt(4)
	buffer_store_dword v70, off, s[0:3], 0 offset:4
	buffer_store_dword v69, off, s[0:3], 0
	global_load_dwordx2 v[69:70], v[3:4], off
	s_waitcnt vmcnt(5)
	buffer_store_dword v73, off, s[0:3], 0 offset:12
	buffer_store_dword v72, off, s[0:3], 0 offset:8
	buffer_store_dword v75, off, s[0:3], 0 offset:20
	global_load_dwordx2 v[72:73], v[5:6], off
	s_cmpk_lg_i32 s9, 0x84
	buffer_store_dword v74, off, s[0:3], 0 offset:16
	global_load_dwordx2 v[74:75], v[11:12], off
	s_waitcnt vmcnt(10)
	buffer_store_dword v77, off, s[0:3], 0 offset:28
	buffer_store_dword v76, off, s[0:3], 0 offset:24
	global_load_dwordx2 v[76:77], v[7:8], off
	s_waitcnt vmcnt(9)
	buffer_store_dword v70, off, s[0:3], 0 offset:36
	;; [unrolled: 4-line block ×3, first 2 shown]
	buffer_store_dword v72, off, s[0:3], 0 offset:40
	s_waitcnt vmcnt(8)
	buffer_store_dword v75, off, s[0:3], 0 offset:52
	global_load_dwordx2 v[72:73], v[9:10], off
	s_cselect_b64 s[10:11], -1, 0
	buffer_store_dword v74, off, s[0:3], 0 offset:48
	global_load_dwordx2 v[74:75], v[19:20], off
	s_waitcnt vmcnt(9)
	buffer_store_dword v77, off, s[0:3], 0 offset:60
	buffer_store_dword v76, off, s[0:3], 0 offset:56
	global_load_dwordx2 v[76:77], v[17:18], off
	s_waitcnt vmcnt(9)
	buffer_store_dword v70, off, s[0:3], 0 offset:68
	;; [unrolled: 4-line block ×3, first 2 shown]
	buffer_store_dword v73, off, s[0:3], 0 offset:76
	s_waitcnt vmcnt(8)
	buffer_store_dword v74, off, s[0:3], 0 offset:80
	global_load_dwordx2 v[72:73], v[21:22], off
	s_cmpk_eq_i32 s9, 0x84
	buffer_store_dword v75, off, s[0:3], 0 offset:84
	global_load_dwordx2 v[74:75], v[23:24], off
	s_waitcnt vmcnt(9)
	buffer_store_dword v76, off, s[0:3], 0 offset:88
	buffer_store_dword v77, off, s[0:3], 0 offset:92
	global_load_dwordx2 v[76:77], v[27:28], off
	s_waitcnt vmcnt(9)
	buffer_store_dword v69, off, s[0:3], 0 offset:96
	;; [unrolled: 4-line block ×3, first 2 shown]
	buffer_store_dword v73, off, s[0:3], 0 offset:108
	s_waitcnt vmcnt(8)
	buffer_store_dword v75, off, s[0:3], 0 offset:116
	global_load_dwordx2 v[72:73], v[31:32], off
	s_nop 0
	buffer_store_dword v74, off, s[0:3], 0 offset:112
	global_load_dwordx2 v[74:75], v[33:34], off
	s_waitcnt vmcnt(9)
	buffer_store_dword v76, off, s[0:3], 0 offset:120
	buffer_store_dword v77, off, s[0:3], 0 offset:124
	global_load_dwordx2 v[76:77], v[35:36], off
	s_waitcnt vmcnt(9)
	buffer_store_dword v69, off, s[0:3], 0 offset:128
	buffer_store_dword v70, off, s[0:3], 0 offset:132
	global_load_dwordx2 v[69:70], v[37:38], off
	s_waitcnt vmcnt(8)
	buffer_store_dword v72, off, s[0:3], 0 offset:136
	buffer_store_dword v73, off, s[0:3], 0 offset:140
	s_waitcnt vmcnt(8)
	buffer_store_dword v74, off, s[0:3], 0 offset:144
	global_load_dwordx2 v[72:73], v[39:40], off
	s_nop 0
	buffer_store_dword v75, off, s[0:3], 0 offset:148
	global_load_dwordx2 v[74:75], v[41:42], off
	s_waitcnt vmcnt(9)
	buffer_store_dword v77, off, s[0:3], 0 offset:156
	buffer_store_dword v76, off, s[0:3], 0 offset:152
	global_load_dwordx2 v[76:77], v[43:44], off
	s_waitcnt vmcnt(9)
	buffer_store_dword v70, off, s[0:3], 0 offset:164
	;; [unrolled: 4-line block ×3, first 2 shown]
	buffer_store_dword v73, off, s[0:3], 0 offset:172
	s_waitcnt vmcnt(8)
	buffer_store_dword v74, off, s[0:3], 0 offset:176
	buffer_store_dword v75, off, s[0:3], 0 offset:180
	global_load_dwordx2 v[72:73], v[47:48], off
	s_nop 0
	global_load_dwordx2 v[74:75], v[49:50], off
	s_waitcnt vmcnt(9)
	buffer_store_dword v76, off, s[0:3], 0 offset:184
	buffer_store_dword v77, off, s[0:3], 0 offset:188
	global_load_dwordx2 v[76:77], v[51:52], off
	s_waitcnt vmcnt(9)
	buffer_store_dword v69, off, s[0:3], 0 offset:192
	buffer_store_dword v70, off, s[0:3], 0 offset:196
	;; [unrolled: 4-line block ×3, first 2 shown]
	s_waitcnt vmcnt(8)
	buffer_store_dword v75, off, s[0:3], 0 offset:212
	buffer_store_dword v74, off, s[0:3], 0 offset:208
	s_waitcnt vmcnt(7)
	buffer_store_dword v76, off, s[0:3], 0 offset:216
	global_load_dwordx2 v[72:73], v[55:56], off
	global_load_dwordx2 v[74:75], v[57:58], off
	s_nop 0
	buffer_store_dword v77, off, s[0:3], 0 offset:220
	global_load_dwordx2 v[76:77], v[59:60], off
	s_waitcnt vmcnt(9)
	buffer_store_dword v69, off, s[0:3], 0 offset:224
	buffer_store_dword v70, off, s[0:3], 0 offset:228
	global_load_dwordx2 v[69:70], v[61:62], off
	s_waitcnt vmcnt(6)
	buffer_store_dword v72, off, s[0:3], 0 offset:232
	buffer_store_dword v73, off, s[0:3], 0 offset:236
	s_waitcnt vmcnt(7)
	buffer_store_dword v74, off, s[0:3], 0 offset:240
	buffer_store_dword v75, off, s[0:3], 0 offset:244
	;; [unrolled: 3-line block ×4, first 2 shown]
	buffer_store_dword v78, off, s[0:3], 0 offset:264
	v_mov_b32_e32 v69, 0
	v_mov_b32_e32 v70, 0xbff00000
	buffer_store_dword v79, off, s[0:3], 0 offset:268
	s_cbranch_scc1 .LBB33_3
; %bb.2:
	v_mov_b32_e32 v69, 0
	v_lshl_add_u32 v80, v0, 3, v69
	buffer_load_dword v69, v80, s[0:3], 0 offen
	buffer_load_dword v70, v80, s[0:3], 0 offen offset:4
	s_waitcnt vmcnt(0)
	v_div_scale_f64 v[72:73], s[4:5], v[69:70], v[69:70], 1.0
	v_rcp_f64_e32 v[74:75], v[72:73]
	v_fma_f64 v[76:77], -v[72:73], v[74:75], 1.0
	v_fma_f64 v[74:75], v[74:75], v[76:77], v[74:75]
	v_div_scale_f64 v[76:77], vcc, 1.0, v[69:70], 1.0
	v_fma_f64 v[78:79], -v[72:73], v[74:75], 1.0
	v_fma_f64 v[74:75], v[74:75], v[78:79], v[74:75]
	v_mul_f64 v[78:79], v[76:77], v[74:75]
	v_fma_f64 v[72:73], -v[72:73], v[78:79], v[76:77]
	v_div_fmas_f64 v[72:73], v[72:73], v[74:75], v[78:79]
	v_div_fixup_f64 v[69:70], v[72:73], v[69:70], 1.0
	buffer_store_dword v69, v80, s[0:3], 0 offen
	buffer_store_dword v70, v80, s[0:3], 0 offen offset:4
	v_xor_b32_e32 v70, 0x80000000, v70
.LBB33_3:
	s_cmpk_eq_i32 s8, 0x79
	v_add_u32_e32 v72, 0x110, v71
	v_mov_b32_e32 v73, v71
	s_mov_b64 s[4:5], -1
	ds_write_b64 v71, v[69:70]
	s_cbranch_scc1 .LBB33_327
; %bb.4:
	buffer_load_dword v69, off, s[0:3], 0 offset:256
	buffer_load_dword v70, off, s[0:3], 0 offset:260
	s_movk_i32 s12, 0x48
	s_movk_i32 s13, 0x50
	;; [unrolled: 1-line block ×23, first 2 shown]
	v_cmp_eq_u32_e64 s[4:5], 33, v0
	s_waitcnt vmcnt(0)
	ds_write_b64 v72, v[69:70]
	s_waitcnt lgkmcnt(0)
	; wave barrier
	s_and_saveexec_b64 s[6:7], s[4:5]
	s_cbranch_execz .LBB33_10
; %bb.5:
	s_and_b64 vcc, exec, s[10:11]
	s_cbranch_vccz .LBB33_7
; %bb.6:
	buffer_load_dword v69, v73, s[0:3], 0 offen
	buffer_load_dword v70, v73, s[0:3], 0 offen offset:4
	ds_read_b64 v[74:75], v72
	s_waitcnt vmcnt(0) lgkmcnt(0)
	v_mul_f64 v[69:70], v[69:70], v[74:75]
	s_cbranch_execz .LBB33_8
	s_branch .LBB33_9
.LBB33_7:
                                        ; implicit-def: $vgpr69_vgpr70
.LBB33_8:
	ds_read_b64 v[69:70], v72
.LBB33_9:
	v_mov_b32_e32 v74, 0
	ds_read_b64 v[74:75], v74 offset:256
	s_waitcnt lgkmcnt(0)
	v_mul_f64 v[69:70], v[69:70], v[74:75]
	buffer_store_dword v70, off, s[0:3], 0 offset:260
	buffer_store_dword v69, off, s[0:3], 0 offset:256
.LBB33_10:
	s_or_b64 exec, exec, s[6:7]
	buffer_load_dword v69, off, s[0:3], 0 offset:248
	buffer_load_dword v70, off, s[0:3], 0 offset:252
	s_or_b32 s14, 0, 8
	s_mov_b32 s15, 16
	s_mov_b32 s16, 24
	;; [unrolled: 1-line block ×9, first 2 shown]
	v_cmp_lt_u32_e64 s[6:7], 31, v0
	s_waitcnt vmcnt(0)
	ds_write_b64 v72, v[69:70]
	s_waitcnt lgkmcnt(0)
	; wave barrier
	s_and_saveexec_b64 s[8:9], s[6:7]
	s_cbranch_execz .LBB33_16
; %bb.11:
	s_andn2_b64 vcc, exec, s[10:11]
	s_cbranch_vccnz .LBB33_13
; %bb.12:
	buffer_load_dword v69, v73, s[0:3], 0 offen
	buffer_load_dword v70, v73, s[0:3], 0 offen offset:4
	ds_read_b64 v[74:75], v72
	s_waitcnt vmcnt(0) lgkmcnt(0)
	v_mul_f64 v[69:70], v[69:70], v[74:75]
	s_cbranch_execz .LBB33_14
	s_branch .LBB33_15
.LBB33_13:
                                        ; implicit-def: $vgpr69_vgpr70
.LBB33_14:
	ds_read_b64 v[69:70], v72
.LBB33_15:
	buffer_load_dword v78, off, s[0:3], 0 offset:256
	buffer_load_dword v79, off, s[0:3], 0 offset:260
	v_mov_b32_e32 v74, 0
	ds_read2_b64 v[74:77], v74 offset0:31 offset1:66
	s_waitcnt vmcnt(0) lgkmcnt(0)
	v_fma_f64 v[76:77], v[78:79], v[76:77], v[69:70]
	v_cndmask_b32_e64 v70, v70, v77, s[4:5]
	v_cndmask_b32_e64 v69, v69, v76, s[4:5]
	v_mul_f64 v[69:70], v[69:70], v[74:75]
	buffer_store_dword v70, off, s[0:3], 0 offset:252
	buffer_store_dword v69, off, s[0:3], 0 offset:248
.LBB33_16:
	s_or_b64 exec, exec, s[8:9]
	buffer_load_dword v69, off, s[0:3], 0 offset:240
	buffer_load_dword v70, off, s[0:3], 0 offset:244
	v_cmp_lt_u32_e64 s[4:5], 30, v0
	s_waitcnt vmcnt(0)
	ds_write_b64 v72, v[69:70]
	s_waitcnt lgkmcnt(0)
	; wave barrier
	s_and_saveexec_b64 s[8:9], s[4:5]
	s_cbranch_execz .LBB33_26
; %bb.17:
	s_andn2_b64 vcc, exec, s[10:11]
	s_cbranch_vccnz .LBB33_19
; %bb.18:
	buffer_load_dword v69, v73, s[0:3], 0 offen
	buffer_load_dword v70, v73, s[0:3], 0 offen offset:4
	ds_read_b64 v[74:75], v72
	s_waitcnt vmcnt(0) lgkmcnt(0)
	v_mul_f64 v[69:70], v[69:70], v[74:75]
	s_cbranch_execz .LBB33_20
	s_branch .LBB33_21
.LBB33_19:
                                        ; implicit-def: $vgpr69_vgpr70
.LBB33_20:
	ds_read_b64 v[69:70], v72
.LBB33_21:
	s_and_saveexec_b64 s[12:13], s[6:7]
	s_cbranch_execz .LBB33_25
; %bb.22:
	v_subrev_u32_e32 v74, 31, v0
	s_movk_i32 s46, 0x208
	s_mov_b64 s[6:7], 0
.LBB33_23:                              ; =>This Inner Loop Header: Depth=1
	v_mov_b32_e32 v77, s45
	buffer_load_dword v75, v77, s[0:3], 0 offen
	buffer_load_dword v76, v77, s[0:3], 0 offen offset:4
	v_mov_b32_e32 v77, s46
	ds_read_b64 v[77:78], v77
	v_add_u32_e32 v74, -1, v74
	s_add_i32 s46, s46, 8
	s_add_i32 s45, s45, 8
	v_cmp_eq_u32_e32 vcc, 0, v74
	s_or_b64 s[6:7], vcc, s[6:7]
	s_waitcnt vmcnt(0) lgkmcnt(0)
	v_fma_f64 v[69:70], v[75:76], v[77:78], v[69:70]
	s_andn2_b64 exec, exec, s[6:7]
	s_cbranch_execnz .LBB33_23
; %bb.24:
	s_or_b64 exec, exec, s[6:7]
.LBB33_25:
	s_or_b64 exec, exec, s[12:13]
	v_mov_b32_e32 v74, 0
	ds_read_b64 v[74:75], v74 offset:240
	s_waitcnt lgkmcnt(0)
	v_mul_f64 v[69:70], v[69:70], v[74:75]
	buffer_store_dword v70, off, s[0:3], 0 offset:244
	buffer_store_dword v69, off, s[0:3], 0 offset:240
.LBB33_26:
	s_or_b64 exec, exec, s[8:9]
	buffer_load_dword v69, off, s[0:3], 0 offset:232
	buffer_load_dword v70, off, s[0:3], 0 offset:236
	v_cmp_lt_u32_e64 s[6:7], 29, v0
	s_waitcnt vmcnt(0)
	ds_write_b64 v72, v[69:70]
	s_waitcnt lgkmcnt(0)
	; wave barrier
	s_and_saveexec_b64 s[8:9], s[6:7]
	s_cbranch_execz .LBB33_36
; %bb.27:
	s_andn2_b64 vcc, exec, s[10:11]
	s_cbranch_vccnz .LBB33_29
; %bb.28:
	buffer_load_dword v69, v73, s[0:3], 0 offen
	buffer_load_dword v70, v73, s[0:3], 0 offen offset:4
	ds_read_b64 v[74:75], v72
	s_waitcnt vmcnt(0) lgkmcnt(0)
	v_mul_f64 v[69:70], v[69:70], v[74:75]
	s_cbranch_execz .LBB33_30
	s_branch .LBB33_31
.LBB33_29:
                                        ; implicit-def: $vgpr69_vgpr70
.LBB33_30:
	ds_read_b64 v[69:70], v72
.LBB33_31:
	s_and_saveexec_b64 s[12:13], s[4:5]
	s_cbranch_execz .LBB33_35
; %bb.32:
	v_subrev_u32_e32 v74, 30, v0
	s_movk_i32 s45, 0x200
	s_mov_b64 s[4:5], 0
.LBB33_33:                              ; =>This Inner Loop Header: Depth=1
	v_mov_b32_e32 v77, s44
	buffer_load_dword v75, v77, s[0:3], 0 offen
	buffer_load_dword v76, v77, s[0:3], 0 offen offset:4
	v_mov_b32_e32 v77, s45
	ds_read_b64 v[77:78], v77
	v_add_u32_e32 v74, -1, v74
	s_add_i32 s45, s45, 8
	s_add_i32 s44, s44, 8
	v_cmp_eq_u32_e32 vcc, 0, v74
	s_or_b64 s[4:5], vcc, s[4:5]
	s_waitcnt vmcnt(0) lgkmcnt(0)
	v_fma_f64 v[69:70], v[75:76], v[77:78], v[69:70]
	s_andn2_b64 exec, exec, s[4:5]
	s_cbranch_execnz .LBB33_33
; %bb.34:
	s_or_b64 exec, exec, s[4:5]
.LBB33_35:
	s_or_b64 exec, exec, s[12:13]
	v_mov_b32_e32 v74, 0
	ds_read_b64 v[74:75], v74 offset:232
	s_waitcnt lgkmcnt(0)
	v_mul_f64 v[69:70], v[69:70], v[74:75]
	buffer_store_dword v70, off, s[0:3], 0 offset:236
	buffer_store_dword v69, off, s[0:3], 0 offset:232
.LBB33_36:
	;; [unrolled: 58-line block ×8, first 2 shown]
	s_or_b64 exec, exec, s[8:9]
	buffer_load_dword v69, off, s[0:3], 0 offset:176
	buffer_load_dword v70, off, s[0:3], 0 offset:180
	v_cmp_lt_u32_e64 s[4:5], 22, v0
	s_waitcnt vmcnt(0)
	ds_write_b64 v72, v[69:70]
	s_waitcnt lgkmcnt(0)
	; wave barrier
	s_and_saveexec_b64 s[8:9], s[4:5]
	s_cbranch_execz .LBB33_106
; %bb.97:
	s_andn2_b64 vcc, exec, s[10:11]
	s_cbranch_vccnz .LBB33_99
; %bb.98:
	buffer_load_dword v69, v73, s[0:3], 0 offen
	buffer_load_dword v70, v73, s[0:3], 0 offen offset:4
	ds_read_b64 v[74:75], v72
	s_waitcnt vmcnt(0) lgkmcnt(0)
	v_mul_f64 v[69:70], v[69:70], v[74:75]
	s_cbranch_execz .LBB33_100
	s_branch .LBB33_101
.LBB33_99:
                                        ; implicit-def: $vgpr69_vgpr70
.LBB33_100:
	ds_read_b64 v[69:70], v72
.LBB33_101:
	s_and_saveexec_b64 s[12:13], s[6:7]
	s_cbranch_execz .LBB33_105
; %bb.102:
	v_subrev_u32_e32 v74, 23, v0
	s_movk_i32 s38, 0x1c8
	s_mov_b64 s[6:7], 0
.LBB33_103:                             ; =>This Inner Loop Header: Depth=1
	v_mov_b32_e32 v77, s37
	buffer_load_dword v75, v77, s[0:3], 0 offen
	buffer_load_dword v76, v77, s[0:3], 0 offen offset:4
	v_mov_b32_e32 v77, s38
	ds_read_b64 v[77:78], v77
	v_add_u32_e32 v74, -1, v74
	s_add_i32 s38, s38, 8
	s_add_i32 s37, s37, 8
	v_cmp_eq_u32_e32 vcc, 0, v74
	s_or_b64 s[6:7], vcc, s[6:7]
	s_waitcnt vmcnt(0) lgkmcnt(0)
	v_fma_f64 v[69:70], v[75:76], v[77:78], v[69:70]
	s_andn2_b64 exec, exec, s[6:7]
	s_cbranch_execnz .LBB33_103
; %bb.104:
	s_or_b64 exec, exec, s[6:7]
.LBB33_105:
	s_or_b64 exec, exec, s[12:13]
	v_mov_b32_e32 v74, 0
	ds_read_b64 v[74:75], v74 offset:176
	s_waitcnt lgkmcnt(0)
	v_mul_f64 v[69:70], v[69:70], v[74:75]
	buffer_store_dword v70, off, s[0:3], 0 offset:180
	buffer_store_dword v69, off, s[0:3], 0 offset:176
.LBB33_106:
	s_or_b64 exec, exec, s[8:9]
	buffer_load_dword v69, off, s[0:3], 0 offset:168
	buffer_load_dword v70, off, s[0:3], 0 offset:172
	v_cmp_lt_u32_e64 s[6:7], 21, v0
	s_waitcnt vmcnt(0)
	ds_write_b64 v72, v[69:70]
	s_waitcnt lgkmcnt(0)
	; wave barrier
	s_and_saveexec_b64 s[8:9], s[6:7]
	s_cbranch_execz .LBB33_116
; %bb.107:
	s_andn2_b64 vcc, exec, s[10:11]
	s_cbranch_vccnz .LBB33_109
; %bb.108:
	buffer_load_dword v69, v73, s[0:3], 0 offen
	buffer_load_dword v70, v73, s[0:3], 0 offen offset:4
	ds_read_b64 v[74:75], v72
	s_waitcnt vmcnt(0) lgkmcnt(0)
	v_mul_f64 v[69:70], v[69:70], v[74:75]
	s_cbranch_execz .LBB33_110
	s_branch .LBB33_111
.LBB33_109:
                                        ; implicit-def: $vgpr69_vgpr70
.LBB33_110:
	ds_read_b64 v[69:70], v72
.LBB33_111:
	s_and_saveexec_b64 s[12:13], s[4:5]
	s_cbranch_execz .LBB33_115
; %bb.112:
	v_subrev_u32_e32 v74, 22, v0
	s_movk_i32 s37, 0x1c0
	s_mov_b64 s[4:5], 0
.LBB33_113:                             ; =>This Inner Loop Header: Depth=1
	v_mov_b32_e32 v77, s36
	buffer_load_dword v75, v77, s[0:3], 0 offen
	buffer_load_dword v76, v77, s[0:3], 0 offen offset:4
	v_mov_b32_e32 v77, s37
	ds_read_b64 v[77:78], v77
	v_add_u32_e32 v74, -1, v74
	s_add_i32 s37, s37, 8
	s_add_i32 s36, s36, 8
	v_cmp_eq_u32_e32 vcc, 0, v74
	s_or_b64 s[4:5], vcc, s[4:5]
	s_waitcnt vmcnt(0) lgkmcnt(0)
	v_fma_f64 v[69:70], v[75:76], v[77:78], v[69:70]
	s_andn2_b64 exec, exec, s[4:5]
	s_cbranch_execnz .LBB33_113
; %bb.114:
	s_or_b64 exec, exec, s[4:5]
.LBB33_115:
	s_or_b64 exec, exec, s[12:13]
	v_mov_b32_e32 v74, 0
	ds_read_b64 v[74:75], v74 offset:168
	s_waitcnt lgkmcnt(0)
	v_mul_f64 v[69:70], v[69:70], v[74:75]
	buffer_store_dword v70, off, s[0:3], 0 offset:172
	buffer_store_dword v69, off, s[0:3], 0 offset:168
.LBB33_116:
	;; [unrolled: 58-line block ×7, first 2 shown]
	s_or_b64 exec, exec, s[8:9]
	buffer_load_dword v69, off, s[0:3], 0 offset:120
	buffer_load_dword v70, off, s[0:3], 0 offset:124
	v_cmp_lt_u32_e64 s[6:7], 15, v0
	s_waitcnt vmcnt(0)
	ds_write_b64 v72, v[69:70]
	s_waitcnt lgkmcnt(0)
	; wave barrier
	s_and_saveexec_b64 s[8:9], s[6:7]
	s_cbranch_execz .LBB33_176
; %bb.167:
	s_andn2_b64 vcc, exec, s[10:11]
	s_cbranch_vccnz .LBB33_169
; %bb.168:
	buffer_load_dword v69, v73, s[0:3], 0 offen
	buffer_load_dword v70, v73, s[0:3], 0 offen offset:4
	ds_read_b64 v[74:75], v72
	s_waitcnt vmcnt(0) lgkmcnt(0)
	v_mul_f64 v[69:70], v[69:70], v[74:75]
	s_cbranch_execz .LBB33_170
	s_branch .LBB33_171
.LBB33_169:
                                        ; implicit-def: $vgpr69_vgpr70
.LBB33_170:
	ds_read_b64 v[69:70], v72
.LBB33_171:
	s_and_saveexec_b64 s[12:13], s[4:5]
	s_cbranch_execz .LBB33_175
; %bb.172:
	v_add_u32_e32 v74, -16, v0
	s_movk_i32 s30, 0x190
	s_mov_b64 s[4:5], 0
.LBB33_173:                             ; =>This Inner Loop Header: Depth=1
	v_mov_b32_e32 v77, s29
	buffer_load_dword v75, v77, s[0:3], 0 offen
	buffer_load_dword v76, v77, s[0:3], 0 offen offset:4
	v_mov_b32_e32 v77, s30
	ds_read_b64 v[77:78], v77
	v_add_u32_e32 v74, -1, v74
	s_add_i32 s30, s30, 8
	s_add_i32 s29, s29, 8
	v_cmp_eq_u32_e32 vcc, 0, v74
	s_or_b64 s[4:5], vcc, s[4:5]
	s_waitcnt vmcnt(0) lgkmcnt(0)
	v_fma_f64 v[69:70], v[75:76], v[77:78], v[69:70]
	s_andn2_b64 exec, exec, s[4:5]
	s_cbranch_execnz .LBB33_173
; %bb.174:
	s_or_b64 exec, exec, s[4:5]
.LBB33_175:
	s_or_b64 exec, exec, s[12:13]
	v_mov_b32_e32 v74, 0
	ds_read_b64 v[74:75], v74 offset:120
	s_waitcnt lgkmcnt(0)
	v_mul_f64 v[69:70], v[69:70], v[74:75]
	buffer_store_dword v70, off, s[0:3], 0 offset:124
	buffer_store_dword v69, off, s[0:3], 0 offset:120
.LBB33_176:
	s_or_b64 exec, exec, s[8:9]
	buffer_load_dword v69, off, s[0:3], 0 offset:112
	buffer_load_dword v70, off, s[0:3], 0 offset:116
	v_cmp_lt_u32_e64 s[4:5], 14, v0
	s_waitcnt vmcnt(0)
	ds_write_b64 v72, v[69:70]
	s_waitcnt lgkmcnt(0)
	; wave barrier
	s_and_saveexec_b64 s[8:9], s[4:5]
	s_cbranch_execz .LBB33_186
; %bb.177:
	s_andn2_b64 vcc, exec, s[10:11]
	s_cbranch_vccnz .LBB33_179
; %bb.178:
	buffer_load_dword v69, v73, s[0:3], 0 offen
	buffer_load_dword v70, v73, s[0:3], 0 offen offset:4
	ds_read_b64 v[74:75], v72
	s_waitcnt vmcnt(0) lgkmcnt(0)
	v_mul_f64 v[69:70], v[69:70], v[74:75]
	s_cbranch_execz .LBB33_180
	s_branch .LBB33_181
.LBB33_179:
                                        ; implicit-def: $vgpr69_vgpr70
.LBB33_180:
	ds_read_b64 v[69:70], v72
.LBB33_181:
	s_and_saveexec_b64 s[12:13], s[6:7]
	s_cbranch_execz .LBB33_185
; %bb.182:
	v_add_u32_e32 v74, -15, v0
	s_movk_i32 s29, 0x188
	s_mov_b64 s[6:7], 0
.LBB33_183:                             ; =>This Inner Loop Header: Depth=1
	v_mov_b32_e32 v77, s28
	buffer_load_dword v75, v77, s[0:3], 0 offen
	buffer_load_dword v76, v77, s[0:3], 0 offen offset:4
	v_mov_b32_e32 v77, s29
	ds_read_b64 v[77:78], v77
	v_add_u32_e32 v74, -1, v74
	s_add_i32 s29, s29, 8
	s_add_i32 s28, s28, 8
	v_cmp_eq_u32_e32 vcc, 0, v74
	s_or_b64 s[6:7], vcc, s[6:7]
	s_waitcnt vmcnt(0) lgkmcnt(0)
	v_fma_f64 v[69:70], v[75:76], v[77:78], v[69:70]
	s_andn2_b64 exec, exec, s[6:7]
	s_cbranch_execnz .LBB33_183
; %bb.184:
	s_or_b64 exec, exec, s[6:7]
.LBB33_185:
	s_or_b64 exec, exec, s[12:13]
	v_mov_b32_e32 v74, 0
	ds_read_b64 v[74:75], v74 offset:112
	s_waitcnt lgkmcnt(0)
	v_mul_f64 v[69:70], v[69:70], v[74:75]
	buffer_store_dword v70, off, s[0:3], 0 offset:116
	buffer_store_dword v69, off, s[0:3], 0 offset:112
.LBB33_186:
	;; [unrolled: 58-line block ×15, first 2 shown]
	s_or_b64 exec, exec, s[8:9]
	buffer_load_dword v69, off, s[0:3], 0
	buffer_load_dword v70, off, s[0:3], 0 offset:4
	v_cmp_ne_u32_e32 vcc, 0, v0
	s_waitcnt vmcnt(0)
	ds_write_b64 v72, v[69:70]
	s_waitcnt lgkmcnt(0)
	; wave barrier
	s_and_saveexec_b64 s[4:5], vcc
	s_cbranch_execz .LBB33_326
; %bb.317:
	s_andn2_b64 vcc, exec, s[10:11]
	s_cbranch_vccnz .LBB33_319
; %bb.318:
	buffer_load_dword v69, v73, s[0:3], 0 offen
	buffer_load_dword v70, v73, s[0:3], 0 offen offset:4
	ds_read_b64 v[74:75], v72
	s_waitcnt vmcnt(0) lgkmcnt(0)
	v_mul_f64 v[69:70], v[69:70], v[74:75]
	s_cbranch_execz .LBB33_320
	s_branch .LBB33_321
.LBB33_319:
                                        ; implicit-def: $vgpr69_vgpr70
.LBB33_320:
	ds_read_b64 v[69:70], v72
.LBB33_321:
	s_and_saveexec_b64 s[8:9], s[6:7]
	s_cbranch_execz .LBB33_325
; %bb.322:
	v_add_u32_e32 v74, -1, v0
	s_movk_i32 s12, 0x118
	s_mov_b64 s[6:7], 0
.LBB33_323:                             ; =>This Inner Loop Header: Depth=1
	v_mov_b32_e32 v77, s14
	buffer_load_dword v75, v77, s[0:3], 0 offen
	buffer_load_dword v76, v77, s[0:3], 0 offen offset:4
	v_mov_b32_e32 v77, s12
	ds_read_b64 v[77:78], v77
	v_add_u32_e32 v74, -1, v74
	s_add_i32 s12, s12, 8
	s_add_i32 s14, s14, 8
	v_cmp_eq_u32_e32 vcc, 0, v74
	s_or_b64 s[6:7], vcc, s[6:7]
	s_waitcnt vmcnt(0) lgkmcnt(0)
	v_fma_f64 v[69:70], v[75:76], v[77:78], v[69:70]
	s_andn2_b64 exec, exec, s[6:7]
	s_cbranch_execnz .LBB33_323
; %bb.324:
	s_or_b64 exec, exec, s[6:7]
.LBB33_325:
	s_or_b64 exec, exec, s[8:9]
	v_mov_b32_e32 v74, 0
	ds_read_b64 v[74:75], v74
	s_waitcnt lgkmcnt(0)
	v_mul_f64 v[69:70], v[69:70], v[74:75]
	buffer_store_dword v70, off, s[0:3], 0 offset:4
	buffer_store_dword v69, off, s[0:3], 0
.LBB33_326:
	s_or_b64 exec, exec, s[4:5]
	s_mov_b64 s[4:5], 0
.LBB33_327:
	s_and_b64 vcc, exec, s[4:5]
	s_cbranch_vccz .LBB33_649
; %bb.328:
	buffer_load_dword v69, off, s[0:3], 0 offset:8
	buffer_load_dword v70, off, s[0:3], 0 offset:12
	v_cmp_eq_u32_e64 s[6:7], 0, v0
	s_waitcnt vmcnt(0)
	ds_write_b64 v72, v[69:70]
	s_waitcnt lgkmcnt(0)
	; wave barrier
	s_and_saveexec_b64 s[4:5], s[6:7]
	s_cbranch_execz .LBB33_334
; %bb.329:
	s_and_b64 vcc, exec, s[10:11]
	s_cbranch_vccz .LBB33_331
; %bb.330:
	buffer_load_dword v69, v73, s[0:3], 0 offen
	buffer_load_dword v70, v73, s[0:3], 0 offen offset:4
	ds_read_b64 v[74:75], v72
	s_waitcnt vmcnt(0) lgkmcnt(0)
	v_mul_f64 v[69:70], v[69:70], v[74:75]
	s_cbranch_execz .LBB33_332
	s_branch .LBB33_333
.LBB33_331:
                                        ; implicit-def: $vgpr69_vgpr70
.LBB33_332:
	ds_read_b64 v[69:70], v72
.LBB33_333:
	v_mov_b32_e32 v74, 0
	ds_read_b64 v[74:75], v74 offset:8
	s_waitcnt lgkmcnt(0)
	v_mul_f64 v[69:70], v[69:70], v[74:75]
	buffer_store_dword v70, off, s[0:3], 0 offset:12
	buffer_store_dword v69, off, s[0:3], 0 offset:8
.LBB33_334:
	s_or_b64 exec, exec, s[4:5]
	buffer_load_dword v69, off, s[0:3], 0 offset:16
	buffer_load_dword v70, off, s[0:3], 0 offset:20
	v_cndmask_b32_e64 v74, 0, 1, s[10:11]
	v_cmp_gt_u32_e32 vcc, 2, v0
	v_cmp_ne_u32_e64 s[4:5], 1, v74
	s_waitcnt vmcnt(0)
	ds_write_b64 v72, v[69:70]
	s_waitcnt lgkmcnt(0)
	; wave barrier
	s_and_saveexec_b64 s[8:9], vcc
	s_cbranch_execz .LBB33_340
; %bb.335:
	s_and_b64 vcc, exec, s[4:5]
	s_cbranch_vccnz .LBB33_337
; %bb.336:
	buffer_load_dword v69, v73, s[0:3], 0 offen
	buffer_load_dword v70, v73, s[0:3], 0 offen offset:4
	ds_read_b64 v[74:75], v72
	s_waitcnt vmcnt(0) lgkmcnt(0)
	v_mul_f64 v[69:70], v[69:70], v[74:75]
	s_cbranch_execz .LBB33_338
	s_branch .LBB33_339
.LBB33_337:
                                        ; implicit-def: $vgpr69_vgpr70
.LBB33_338:
	ds_read_b64 v[69:70], v72
.LBB33_339:
	buffer_load_dword v78, off, s[0:3], 0 offset:8
	buffer_load_dword v79, off, s[0:3], 0 offset:12
	v_mov_b32_e32 v74, 0
	ds_read2_b64 v[74:77], v74 offset0:2 offset1:35
	s_waitcnt vmcnt(0) lgkmcnt(0)
	v_fma_f64 v[76:77], v[78:79], v[76:77], v[69:70]
	v_cndmask_b32_e64 v70, v70, v77, s[6:7]
	v_cndmask_b32_e64 v69, v69, v76, s[6:7]
	v_mul_f64 v[69:70], v[69:70], v[74:75]
	buffer_store_dword v70, off, s[0:3], 0 offset:20
	buffer_store_dword v69, off, s[0:3], 0 offset:16
.LBB33_340:
	s_or_b64 exec, exec, s[8:9]
	buffer_load_dword v69, off, s[0:3], 0 offset:24
	buffer_load_dword v70, off, s[0:3], 0 offset:28
	v_cmp_gt_u32_e32 vcc, 3, v0
	s_waitcnt vmcnt(0)
	ds_write_b64 v72, v[69:70]
	s_waitcnt lgkmcnt(0)
	; wave barrier
	s_and_saveexec_b64 s[8:9], vcc
	s_cbranch_execz .LBB33_348
; %bb.341:
	s_and_b64 vcc, exec, s[4:5]
	s_cbranch_vccnz .LBB33_343
; %bb.342:
	buffer_load_dword v69, v73, s[0:3], 0 offen
	buffer_load_dword v70, v73, s[0:3], 0 offen offset:4
	ds_read_b64 v[74:75], v72
	s_waitcnt vmcnt(0) lgkmcnt(0)
	v_mul_f64 v[69:70], v[69:70], v[74:75]
	s_cbranch_execz .LBB33_344
	s_branch .LBB33_345
.LBB33_343:
                                        ; implicit-def: $vgpr69_vgpr70
.LBB33_344:
	ds_read_b64 v[69:70], v72
.LBB33_345:
	v_cmp_ne_u32_e32 vcc, 2, v0
	s_and_saveexec_b64 s[10:11], vcc
	s_cbranch_execz .LBB33_347
; %bb.346:
	buffer_load_dword v74, v73, s[0:3], 0 offen offset:8
	buffer_load_dword v75, v73, s[0:3], 0 offen offset:12
	buffer_load_dword v76, off, s[0:3], 0 offset:16
	buffer_load_dword v77, off, s[0:3], 0 offset:20
	ds_read_b64 v[78:79], v72 offset:8
	v_mov_b32_e32 v80, 0
	ds_read_b64 v[80:81], v80 offset:288
	s_waitcnt vmcnt(2) lgkmcnt(1)
	v_fma_f64 v[69:70], v[74:75], v[78:79], v[69:70]
	s_waitcnt vmcnt(0) lgkmcnt(0)
	v_fma_f64 v[74:75], v[76:77], v[80:81], v[69:70]
	v_cndmask_b32_e64 v70, v70, v75, s[6:7]
	v_cndmask_b32_e64 v69, v69, v74, s[6:7]
.LBB33_347:
	s_or_b64 exec, exec, s[10:11]
	v_mov_b32_e32 v74, 0
	ds_read_b64 v[74:75], v74 offset:24
	s_waitcnt lgkmcnt(0)
	v_mul_f64 v[69:70], v[69:70], v[74:75]
	buffer_store_dword v70, off, s[0:3], 0 offset:28
	buffer_store_dword v69, off, s[0:3], 0 offset:24
.LBB33_348:
	s_or_b64 exec, exec, s[8:9]
	buffer_load_dword v69, off, s[0:3], 0 offset:32
	buffer_load_dword v70, off, s[0:3], 0 offset:36
	v_cmp_gt_u32_e32 vcc, 4, v0
	s_waitcnt vmcnt(0)
	ds_write_b64 v72, v[69:70]
	s_waitcnt lgkmcnt(0)
	; wave barrier
	s_and_saveexec_b64 s[6:7], vcc
	s_cbranch_execz .LBB33_358
; %bb.349:
	s_and_b64 vcc, exec, s[4:5]
	s_cbranch_vccnz .LBB33_351
; %bb.350:
	buffer_load_dword v69, v73, s[0:3], 0 offen
	buffer_load_dword v70, v73, s[0:3], 0 offen offset:4
	ds_read_b64 v[74:75], v72
	s_waitcnt vmcnt(0) lgkmcnt(0)
	v_mul_f64 v[69:70], v[69:70], v[74:75]
	s_cbranch_execz .LBB33_352
	s_branch .LBB33_353
.LBB33_351:
                                        ; implicit-def: $vgpr69_vgpr70
.LBB33_352:
	ds_read_b64 v[69:70], v72
.LBB33_353:
	v_cmp_ne_u32_e32 vcc, 3, v0
	s_and_saveexec_b64 s[8:9], vcc
	s_cbranch_execz .LBB33_357
; %bb.354:
	s_mov_b32 s10, 0
	v_add_u32_e32 v74, 0x118, v71
	v_add3_u32 v75, v71, s10, 8
	s_mov_b64 s[10:11], 0
	v_mov_b32_e32 v76, v0
.LBB33_355:                             ; =>This Inner Loop Header: Depth=1
	buffer_load_dword v77, v75, s[0:3], 0 offen
	buffer_load_dword v78, v75, s[0:3], 0 offen offset:4
	ds_read_b64 v[79:80], v74
	v_add_u32_e32 v76, 1, v76
	v_cmp_lt_u32_e32 vcc, 2, v76
	v_add_u32_e32 v74, 8, v74
	s_or_b64 s[10:11], vcc, s[10:11]
	v_add_u32_e32 v75, 8, v75
	s_waitcnt vmcnt(0) lgkmcnt(0)
	v_fma_f64 v[69:70], v[77:78], v[79:80], v[69:70]
	s_andn2_b64 exec, exec, s[10:11]
	s_cbranch_execnz .LBB33_355
; %bb.356:
	s_or_b64 exec, exec, s[10:11]
.LBB33_357:
	s_or_b64 exec, exec, s[8:9]
	v_mov_b32_e32 v74, 0
	ds_read_b64 v[74:75], v74 offset:32
	s_waitcnt lgkmcnt(0)
	v_mul_f64 v[69:70], v[69:70], v[74:75]
	buffer_store_dword v70, off, s[0:3], 0 offset:36
	buffer_store_dword v69, off, s[0:3], 0 offset:32
.LBB33_358:
	s_or_b64 exec, exec, s[6:7]
	buffer_load_dword v69, off, s[0:3], 0 offset:40
	buffer_load_dword v70, off, s[0:3], 0 offset:44
	v_cmp_gt_u32_e32 vcc, 5, v0
	s_waitcnt vmcnt(0)
	ds_write_b64 v72, v[69:70]
	s_waitcnt lgkmcnt(0)
	; wave barrier
	s_and_saveexec_b64 s[6:7], vcc
	s_cbranch_execz .LBB33_368
; %bb.359:
	s_and_b64 vcc, exec, s[4:5]
	s_cbranch_vccnz .LBB33_361
; %bb.360:
	buffer_load_dword v69, v73, s[0:3], 0 offen
	buffer_load_dword v70, v73, s[0:3], 0 offen offset:4
	ds_read_b64 v[74:75], v72
	s_waitcnt vmcnt(0) lgkmcnt(0)
	v_mul_f64 v[69:70], v[69:70], v[74:75]
	s_cbranch_execz .LBB33_362
	s_branch .LBB33_363
.LBB33_361:
                                        ; implicit-def: $vgpr69_vgpr70
.LBB33_362:
	ds_read_b64 v[69:70], v72
.LBB33_363:
	v_cmp_ne_u32_e32 vcc, 4, v0
	s_and_saveexec_b64 s[8:9], vcc
	s_cbranch_execz .LBB33_367
; %bb.364:
	s_mov_b32 s10, 0
	v_add_u32_e32 v74, 0x118, v71
	v_add3_u32 v75, v71, s10, 8
	s_mov_b64 s[10:11], 0
	v_mov_b32_e32 v76, v0
.LBB33_365:                             ; =>This Inner Loop Header: Depth=1
	buffer_load_dword v77, v75, s[0:3], 0 offen
	buffer_load_dword v78, v75, s[0:3], 0 offen offset:4
	ds_read_b64 v[79:80], v74
	v_add_u32_e32 v76, 1, v76
	v_cmp_lt_u32_e32 vcc, 3, v76
	v_add_u32_e32 v74, 8, v74
	s_or_b64 s[10:11], vcc, s[10:11]
	v_add_u32_e32 v75, 8, v75
	s_waitcnt vmcnt(0) lgkmcnt(0)
	v_fma_f64 v[69:70], v[77:78], v[79:80], v[69:70]
	s_andn2_b64 exec, exec, s[10:11]
	s_cbranch_execnz .LBB33_365
; %bb.366:
	s_or_b64 exec, exec, s[10:11]
.LBB33_367:
	s_or_b64 exec, exec, s[8:9]
	v_mov_b32_e32 v74, 0
	ds_read_b64 v[74:75], v74 offset:40
	s_waitcnt lgkmcnt(0)
	v_mul_f64 v[69:70], v[69:70], v[74:75]
	buffer_store_dword v70, off, s[0:3], 0 offset:44
	buffer_store_dword v69, off, s[0:3], 0 offset:40
.LBB33_368:
	;; [unrolled: 59-line block ×28, first 2 shown]
	s_or_b64 exec, exec, s[6:7]
	buffer_load_dword v69, off, s[0:3], 0 offset:256
	buffer_load_dword v70, off, s[0:3], 0 offset:260
	v_cmp_gt_u32_e64 s[6:7], 32, v0
	s_waitcnt vmcnt(0)
	ds_write_b64 v72, v[69:70]
	s_waitcnt lgkmcnt(0)
	; wave barrier
	s_and_saveexec_b64 s[8:9], s[6:7]
	s_cbranch_execz .LBB33_638
; %bb.629:
	s_and_b64 vcc, exec, s[4:5]
	s_cbranch_vccnz .LBB33_631
; %bb.630:
	buffer_load_dword v69, v73, s[0:3], 0 offen
	buffer_load_dword v70, v73, s[0:3], 0 offen offset:4
	ds_read_b64 v[74:75], v72
	s_waitcnt vmcnt(0) lgkmcnt(0)
	v_mul_f64 v[69:70], v[69:70], v[74:75]
	s_cbranch_execz .LBB33_632
	s_branch .LBB33_633
.LBB33_631:
                                        ; implicit-def: $vgpr69_vgpr70
.LBB33_632:
	ds_read_b64 v[69:70], v72
.LBB33_633:
	v_cmp_ne_u32_e32 vcc, 31, v0
	s_and_saveexec_b64 s[10:11], vcc
	s_cbranch_execz .LBB33_637
; %bb.634:
	s_mov_b32 s12, 0
	v_add_u32_e32 v74, 0x118, v71
	v_add3_u32 v75, v71, s12, 8
	s_mov_b64 s[12:13], 0
	v_mov_b32_e32 v76, v0
.LBB33_635:                             ; =>This Inner Loop Header: Depth=1
	buffer_load_dword v77, v75, s[0:3], 0 offen
	buffer_load_dword v78, v75, s[0:3], 0 offen offset:4
	ds_read_b64 v[79:80], v74
	v_add_u32_e32 v76, 1, v76
	v_cmp_lt_u32_e32 vcc, 30, v76
	v_add_u32_e32 v74, 8, v74
	s_or_b64 s[12:13], vcc, s[12:13]
	v_add_u32_e32 v75, 8, v75
	s_waitcnt vmcnt(0) lgkmcnt(0)
	v_fma_f64 v[69:70], v[77:78], v[79:80], v[69:70]
	s_andn2_b64 exec, exec, s[12:13]
	s_cbranch_execnz .LBB33_635
; %bb.636:
	s_or_b64 exec, exec, s[12:13]
.LBB33_637:
	s_or_b64 exec, exec, s[10:11]
	v_mov_b32_e32 v74, 0
	ds_read_b64 v[74:75], v74 offset:256
	s_waitcnt lgkmcnt(0)
	v_mul_f64 v[69:70], v[69:70], v[74:75]
	buffer_store_dword v70, off, s[0:3], 0 offset:260
	buffer_store_dword v69, off, s[0:3], 0 offset:256
.LBB33_638:
	s_or_b64 exec, exec, s[8:9]
	buffer_load_dword v69, off, s[0:3], 0 offset:264
	buffer_load_dword v70, off, s[0:3], 0 offset:268
	v_cmp_ne_u32_e32 vcc, 33, v0
	s_waitcnt vmcnt(0)
	ds_write_b64 v72, v[69:70]
	s_waitcnt lgkmcnt(0)
	; wave barrier
	s_and_saveexec_b64 s[8:9], vcc
	s_cbranch_execz .LBB33_648
; %bb.639:
	s_and_b64 vcc, exec, s[4:5]
	s_cbranch_vccnz .LBB33_641
; %bb.640:
	buffer_load_dword v69, v73, s[0:3], 0 offen
	buffer_load_dword v70, v73, s[0:3], 0 offen offset:4
	ds_read_b64 v[73:74], v72
	s_waitcnt vmcnt(0) lgkmcnt(0)
	v_mul_f64 v[69:70], v[69:70], v[73:74]
	s_cbranch_execz .LBB33_642
	s_branch .LBB33_643
.LBB33_641:
                                        ; implicit-def: $vgpr69_vgpr70
.LBB33_642:
	ds_read_b64 v[69:70], v72
.LBB33_643:
	s_and_saveexec_b64 s[4:5], s[6:7]
	s_cbranch_execz .LBB33_647
; %bb.644:
	s_mov_b32 s6, 0
	v_add_u32_e32 v72, 0x118, v71
	v_add3_u32 v71, v71, s6, 8
	s_mov_b64 s[6:7], 0
.LBB33_645:                             ; =>This Inner Loop Header: Depth=1
	buffer_load_dword v73, v71, s[0:3], 0 offen
	buffer_load_dword v74, v71, s[0:3], 0 offen offset:4
	ds_read_b64 v[75:76], v72
	v_add_u32_e32 v0, 1, v0
	v_cmp_lt_u32_e32 vcc, 31, v0
	v_add_u32_e32 v72, 8, v72
	s_or_b64 s[6:7], vcc, s[6:7]
	v_add_u32_e32 v71, 8, v71
	s_waitcnt vmcnt(0) lgkmcnt(0)
	v_fma_f64 v[69:70], v[73:74], v[75:76], v[69:70]
	s_andn2_b64 exec, exec, s[6:7]
	s_cbranch_execnz .LBB33_645
; %bb.646:
	s_or_b64 exec, exec, s[6:7]
.LBB33_647:
	s_or_b64 exec, exec, s[4:5]
	v_mov_b32_e32 v0, 0
	ds_read_b64 v[71:72], v0 offset:264
	s_waitcnt lgkmcnt(0)
	v_mul_f64 v[69:70], v[69:70], v[71:72]
	buffer_store_dword v70, off, s[0:3], 0 offset:268
	buffer_store_dword v69, off, s[0:3], 0 offset:264
.LBB33_648:
	s_or_b64 exec, exec, s[8:9]
.LBB33_649:
	buffer_load_dword v69, off, s[0:3], 0
	buffer_load_dword v70, off, s[0:3], 0 offset:4
	buffer_load_dword v71, off, s[0:3], 0 offset:8
	;; [unrolled: 1-line block ×7, first 2 shown]
	s_waitcnt vmcnt(6)
	global_store_dwordx2 v[67:68], v[69:70], off
	buffer_load_dword v67, off, s[0:3], 0 offset:32
	s_nop 0
	buffer_load_dword v68, off, s[0:3], 0 offset:36
	buffer_load_dword v69, off, s[0:3], 0 offset:40
	;; [unrolled: 1-line block ×7, first 2 shown]
	s_waitcnt vmcnt(13)
	global_store_dwordx2 v[65:66], v[71:72], off
	s_waitcnt vmcnt(12)
	global_store_dwordx2 v[13:14], v[73:74], off
	buffer_load_dword v14, off, s[0:3], 0 offset:68
	s_nop 0
	buffer_load_dword v65, off, s[0:3], 0 offset:72
	buffer_load_dword v66, off, s[0:3], 0 offset:76
	;; [unrolled: 1-line block ×7, first 2 shown]
	s_waitcnt vmcnt(19)
	global_store_dwordx2 v[1:2], v[75:76], off
	buffer_load_dword v0, off, s[0:3], 0 offset:96
	s_nop 0
	buffer_load_dword v1, off, s[0:3], 0 offset:100
	buffer_load_dword v75, off, s[0:3], 0 offset:104
	;; [unrolled: 1-line block ×3, first 2 shown]
	s_waitcnt vmcnt(21)
	global_store_dwordx2 v[3:4], v[67:68], off
	buffer_load_dword v2, off, s[0:3], 0 offset:112
	s_nop 0
	buffer_load_dword v3, off, s[0:3], 0 offset:116
	buffer_load_dword v67, off, s[0:3], 0 offset:120
	;; [unrolled: 1-line block ×3, first 2 shown]
	s_waitcnt vmcnt(24)
	global_store_dwordx2 v[5:6], v[69:70], off
	s_waitcnt vmcnt(23)
	global_store_dwordx2 v[11:12], v[77:78], off
	buffer_load_dword v4, off, s[0:3], 0 offset:128
	buffer_load_dword v5, off, s[0:3], 0 offset:132
	s_nop 0
	buffer_load_dword v11, off, s[0:3], 0 offset:136
	buffer_load_dword v12, off, s[0:3], 0 offset:140
	;; [unrolled: 1-line block ×6, first 2 shown]
	s_waitcnt vmcnt(30)
	global_store_dwordx2 v[7:8], v[79:80], off
	s_waitcnt vmcnt(21)
	global_store_dwordx2 v[15:16], v[13:14], off
	buffer_load_dword v6, off, s[0:3], 0 offset:160
	buffer_load_dword v7, off, s[0:3], 0 offset:164
	s_nop 0
	buffer_load_dword v13, off, s[0:3], 0 offset:168
	buffer_load_dword v14, off, s[0:3], 0 offset:172
	;; [unrolled: 1-line block ×6, first 2 shown]
	s_nop 0
	global_store_dwordx2 v[9:10], v[65:66], off
	global_store_dwordx2 v[19:20], v[71:72], off
	buffer_load_dword v8, off, s[0:3], 0 offset:192
	s_nop 0
	buffer_load_dword v9, off, s[0:3], 0 offset:196
	buffer_load_dword v19, off, s[0:3], 0 offset:200
	;; [unrolled: 1-line block ×7, first 2 shown]
	s_nop 0
	global_store_dwordx2 v[17:18], v[73:74], off
	s_waitcnt vmcnt(38)
	global_store_dwordx2 v[25:26], v[0:1], off
	buffer_load_dword v0, off, s[0:3], 0 offset:224
	s_nop 0
	buffer_load_dword v1, off, s[0:3], 0 offset:228
	buffer_load_dword v17, off, s[0:3], 0 offset:232
	;; [unrolled: 1-line block ×7, first 2 shown]
	s_waitcnt vmcnt(45)
	global_store_dwordx2 v[21:22], v[75:76], off
	buffer_load_dword v21, off, s[0:3], 0 offset:256
	s_nop 0
	buffer_load_dword v22, off, s[0:3], 0 offset:260
	buffer_load_dword v75, off, s[0:3], 0 offset:264
	;; [unrolled: 1-line block ×3, first 2 shown]
	s_waitcnt vmcnt(47)
	global_store_dwordx2 v[23:24], v[2:3], off
	s_waitcnt vmcnt(46)
	global_store_dwordx2 v[27:28], v[67:68], off
	;; [unrolled: 2-line block ×20, first 2 shown]
.LBB33_650:
	s_endpgm
	.section	.rodata,"a",@progbits
	.p2align	6, 0x0
	.amdhsa_kernel _ZN9rocsolver6v33100L18trti2_kernel_smallILi34EdPdEEv13rocblas_fill_17rocblas_diagonal_T1_iil
		.amdhsa_group_segment_fixed_size 544
		.amdhsa_private_segment_fixed_size 288
		.amdhsa_kernarg_size 32
		.amdhsa_user_sgpr_count 6
		.amdhsa_user_sgpr_private_segment_buffer 1
		.amdhsa_user_sgpr_dispatch_ptr 0
		.amdhsa_user_sgpr_queue_ptr 0
		.amdhsa_user_sgpr_kernarg_segment_ptr 1
		.amdhsa_user_sgpr_dispatch_id 0
		.amdhsa_user_sgpr_flat_scratch_init 0
		.amdhsa_user_sgpr_private_segment_size 0
		.amdhsa_uses_dynamic_stack 0
		.amdhsa_system_sgpr_private_segment_wavefront_offset 1
		.amdhsa_system_sgpr_workgroup_id_x 1
		.amdhsa_system_sgpr_workgroup_id_y 0
		.amdhsa_system_sgpr_workgroup_id_z 0
		.amdhsa_system_sgpr_workgroup_info 0
		.amdhsa_system_vgpr_workitem_id 0
		.amdhsa_next_free_vgpr 82
		.amdhsa_next_free_sgpr 47
		.amdhsa_reserve_vcc 1
		.amdhsa_reserve_flat_scratch 0
		.amdhsa_float_round_mode_32 0
		.amdhsa_float_round_mode_16_64 0
		.amdhsa_float_denorm_mode_32 3
		.amdhsa_float_denorm_mode_16_64 3
		.amdhsa_dx10_clamp 1
		.amdhsa_ieee_mode 1
		.amdhsa_fp16_overflow 0
		.amdhsa_exception_fp_ieee_invalid_op 0
		.amdhsa_exception_fp_denorm_src 0
		.amdhsa_exception_fp_ieee_div_zero 0
		.amdhsa_exception_fp_ieee_overflow 0
		.amdhsa_exception_fp_ieee_underflow 0
		.amdhsa_exception_fp_ieee_inexact 0
		.amdhsa_exception_int_div_zero 0
	.end_amdhsa_kernel
	.section	.text._ZN9rocsolver6v33100L18trti2_kernel_smallILi34EdPdEEv13rocblas_fill_17rocblas_diagonal_T1_iil,"axG",@progbits,_ZN9rocsolver6v33100L18trti2_kernel_smallILi34EdPdEEv13rocblas_fill_17rocblas_diagonal_T1_iil,comdat
.Lfunc_end33:
	.size	_ZN9rocsolver6v33100L18trti2_kernel_smallILi34EdPdEEv13rocblas_fill_17rocblas_diagonal_T1_iil, .Lfunc_end33-_ZN9rocsolver6v33100L18trti2_kernel_smallILi34EdPdEEv13rocblas_fill_17rocblas_diagonal_T1_iil
                                        ; -- End function
	.set _ZN9rocsolver6v33100L18trti2_kernel_smallILi34EdPdEEv13rocblas_fill_17rocblas_diagonal_T1_iil.num_vgpr, 82
	.set _ZN9rocsolver6v33100L18trti2_kernel_smallILi34EdPdEEv13rocblas_fill_17rocblas_diagonal_T1_iil.num_agpr, 0
	.set _ZN9rocsolver6v33100L18trti2_kernel_smallILi34EdPdEEv13rocblas_fill_17rocblas_diagonal_T1_iil.numbered_sgpr, 47
	.set _ZN9rocsolver6v33100L18trti2_kernel_smallILi34EdPdEEv13rocblas_fill_17rocblas_diagonal_T1_iil.num_named_barrier, 0
	.set _ZN9rocsolver6v33100L18trti2_kernel_smallILi34EdPdEEv13rocblas_fill_17rocblas_diagonal_T1_iil.private_seg_size, 288
	.set _ZN9rocsolver6v33100L18trti2_kernel_smallILi34EdPdEEv13rocblas_fill_17rocblas_diagonal_T1_iil.uses_vcc, 1
	.set _ZN9rocsolver6v33100L18trti2_kernel_smallILi34EdPdEEv13rocblas_fill_17rocblas_diagonal_T1_iil.uses_flat_scratch, 0
	.set _ZN9rocsolver6v33100L18trti2_kernel_smallILi34EdPdEEv13rocblas_fill_17rocblas_diagonal_T1_iil.has_dyn_sized_stack, 0
	.set _ZN9rocsolver6v33100L18trti2_kernel_smallILi34EdPdEEv13rocblas_fill_17rocblas_diagonal_T1_iil.has_recursion, 0
	.set _ZN9rocsolver6v33100L18trti2_kernel_smallILi34EdPdEEv13rocblas_fill_17rocblas_diagonal_T1_iil.has_indirect_call, 0
	.section	.AMDGPU.csdata,"",@progbits
; Kernel info:
; codeLenInByte = 19884
; TotalNumSgprs: 51
; NumVgprs: 82
; ScratchSize: 288
; MemoryBound: 0
; FloatMode: 240
; IeeeMode: 1
; LDSByteSize: 544 bytes/workgroup (compile time only)
; SGPRBlocks: 6
; VGPRBlocks: 20
; NumSGPRsForWavesPerEU: 51
; NumVGPRsForWavesPerEU: 82
; Occupancy: 3
; WaveLimiterHint : 0
; COMPUTE_PGM_RSRC2:SCRATCH_EN: 1
; COMPUTE_PGM_RSRC2:USER_SGPR: 6
; COMPUTE_PGM_RSRC2:TRAP_HANDLER: 0
; COMPUTE_PGM_RSRC2:TGID_X_EN: 1
; COMPUTE_PGM_RSRC2:TGID_Y_EN: 0
; COMPUTE_PGM_RSRC2:TGID_Z_EN: 0
; COMPUTE_PGM_RSRC2:TIDIG_COMP_CNT: 0
	.section	.text._ZN9rocsolver6v33100L18trti2_kernel_smallILi35EdPdEEv13rocblas_fill_17rocblas_diagonal_T1_iil,"axG",@progbits,_ZN9rocsolver6v33100L18trti2_kernel_smallILi35EdPdEEv13rocblas_fill_17rocblas_diagonal_T1_iil,comdat
	.globl	_ZN9rocsolver6v33100L18trti2_kernel_smallILi35EdPdEEv13rocblas_fill_17rocblas_diagonal_T1_iil ; -- Begin function _ZN9rocsolver6v33100L18trti2_kernel_smallILi35EdPdEEv13rocblas_fill_17rocblas_diagonal_T1_iil
	.p2align	8
	.type	_ZN9rocsolver6v33100L18trti2_kernel_smallILi35EdPdEEv13rocblas_fill_17rocblas_diagonal_T1_iil,@function
_ZN9rocsolver6v33100L18trti2_kernel_smallILi35EdPdEEv13rocblas_fill_17rocblas_diagonal_T1_iil: ; @_ZN9rocsolver6v33100L18trti2_kernel_smallILi35EdPdEEv13rocblas_fill_17rocblas_diagonal_T1_iil
; %bb.0:
	s_add_u32 s0, s0, s7
	s_addc_u32 s1, s1, 0
	v_cmp_gt_u32_e32 vcc, 35, v0
	s_and_saveexec_b64 s[8:9], vcc
	s_cbranch_execz .LBB34_670
; %bb.1:
	s_load_dwordx8 s[8:15], s[4:5], 0x0
	s_ashr_i32 s7, s6, 31
	v_lshlrev_b32_e32 v73, 3, v0
	s_waitcnt lgkmcnt(0)
	s_ashr_i32 s5, s12, 31
	s_mov_b32 s4, s12
	s_mul_hi_u32 s12, s14, s6
	s_mul_i32 s7, s14, s7
	s_add_i32 s7, s12, s7
	s_mul_i32 s12, s15, s6
	s_add_i32 s7, s7, s12
	s_mul_i32 s6, s14, s6
	s_lshl_b64 s[6:7], s[6:7], 3
	s_add_u32 s6, s10, s6
	s_addc_u32 s7, s11, s7
	s_lshl_b64 s[4:5], s[4:5], 3
	s_add_u32 s4, s6, s4
	s_addc_u32 s5, s7, s5
	s_add_i32 s6, s13, s13
	v_add_u32_e32 v1, s6, v0
	v_ashrrev_i32_e32 v2, 31, v1
	v_lshlrev_b64 v[2:3], 3, v[1:2]
	v_add_u32_e32 v1, s13, v1
	v_mov_b32_e32 v4, s5
	v_add_co_u32_e32 v5, vcc, s4, v2
	v_ashrrev_i32_e32 v2, 31, v1
	v_addc_co_u32_e32 v6, vcc, v4, v3, vcc
	v_lshlrev_b64 v[3:4], 3, v[1:2]
	v_add_u32_e32 v7, s13, v1
	v_mov_b32_e32 v2, s5
	v_add_co_u32_e32 v3, vcc, s4, v3
	v_ashrrev_i32_e32 v8, 31, v7
	v_addc_co_u32_e32 v4, vcc, v2, v4, vcc
	;; [unrolled: 6-line block ×8, first 2 shown]
	v_lshlrev_b64 v[17:18], 3, v[19:20]
	v_mov_b32_e32 v21, s5
	v_add_co_u32_e32 v17, vcc, s4, v17
	v_addc_co_u32_e32 v18, vcc, v21, v18, vcc
	v_add_u32_e32 v21, s13, v19
	v_ashrrev_i32_e32 v22, 31, v21
	v_lshlrev_b64 v[19:20], 3, v[21:22]
	v_mov_b32_e32 v23, s5
	v_add_co_u32_e32 v19, vcc, s4, v19
	v_addc_co_u32_e32 v20, vcc, v23, v20, vcc
	v_add_u32_e32 v23, s13, v21
	v_ashrrev_i32_e32 v24, 31, v23
	;; [unrolled: 6-line block ×17, first 2 shown]
	global_load_dwordx2 v[71:72], v73, s[4:5]
	v_lshlrev_b64 v[51:52], 3, v[53:54]
	v_mov_b32_e32 v54, s5
	v_add_co_u32_e32 v69, vcc, s4, v73
	s_ashr_i32 s7, s13, 31
	s_mov_b32 s6, s13
	v_addc_co_u32_e32 v70, vcc, 0, v54, vcc
	s_lshl_b64 s[6:7], s[6:7], 3
	v_mov_b32_e32 v54, s7
	v_add_co_u32_e32 v65, vcc, s6, v69
	v_addc_co_u32_e32 v66, vcc, v70, v54, vcc
	global_load_dwordx2 v[74:75], v[65:66], off
	global_load_dwordx2 v[76:77], v[5:6], off
	;; [unrolled: 1-line block ×8, first 2 shown]
	v_mov_b32_e32 v55, s5
	v_add_co_u32_e32 v51, vcc, s4, v51
	v_addc_co_u32_e32 v52, vcc, v55, v52, vcc
	v_add_u32_e32 v55, s13, v53
	v_ashrrev_i32_e32 v56, 31, v55
	v_lshlrev_b64 v[53:54], 3, v[55:56]
	v_mov_b32_e32 v57, s5
	v_add_co_u32_e32 v53, vcc, s4, v53
	v_addc_co_u32_e32 v54, vcc, v57, v54, vcc
	v_add_u32_e32 v57, s13, v55
	v_ashrrev_i32_e32 v58, 31, v57
	v_lshlrev_b64 v[55:56], 3, v[57:58]
	v_mov_b32_e32 v59, s5
	v_add_co_u32_e32 v55, vcc, s4, v55
	v_addc_co_u32_e32 v56, vcc, v59, v56, vcc
	v_add_u32_e32 v59, s13, v57
	v_ashrrev_i32_e32 v60, 31, v59
	v_lshlrev_b64 v[57:58], 3, v[59:60]
	v_mov_b32_e32 v61, s5
	v_add_co_u32_e32 v57, vcc, s4, v57
	v_addc_co_u32_e32 v58, vcc, v61, v58, vcc
	v_add_u32_e32 v61, s13, v59
	v_ashrrev_i32_e32 v62, 31, v61
	v_lshlrev_b64 v[59:60], 3, v[61:62]
	v_mov_b32_e32 v63, s5
	v_add_co_u32_e32 v59, vcc, s4, v59
	v_addc_co_u32_e32 v60, vcc, v63, v60, vcc
	v_add_u32_e32 v63, s13, v61
	v_ashrrev_i32_e32 v64, 31, v63
	v_lshlrev_b64 v[61:62], 3, v[63:64]
	v_mov_b32_e32 v67, s5
	v_add_co_u32_e32 v61, vcc, s4, v61
	v_addc_co_u32_e32 v62, vcc, v67, v62, vcc
	v_add_u32_e32 v67, s13, v63
	v_ashrrev_i32_e32 v68, 31, v67
	v_lshlrev_b64 v[63:64], 3, v[67:68]
	v_add_u32_e32 v67, s13, v67
	v_ashrrev_i32_e32 v68, 31, v67
	v_mov_b32_e32 v90, s5
	v_add_co_u32_e32 v63, vcc, s4, v63
	v_lshlrev_b64 v[67:68], 3, v[67:68]
	v_addc_co_u32_e32 v64, vcc, v90, v64, vcc
	v_mov_b32_e32 v100, s5
	v_add_co_u32_e32 v67, vcc, s4, v67
	global_load_dwordx2 v[90:91], v[15:16], off
	global_load_dwordx2 v[92:93], v[17:18], off
	global_load_dwordx2 v[94:95], v[19:20], off
	global_load_dwordx2 v[96:97], v[21:22], off
	global_load_dwordx2 v[98:99], v[23:24], off
	v_addc_co_u32_e32 v68, vcc, v100, v68, vcc
	global_load_dwordx2 v[100:101], v[25:26], off
	global_load_dwordx2 v[102:103], v[67:68], off
	global_load_dwordx2 v[104:105], v[27:28], off
	global_load_dwordx2 v[106:107], v[29:30], off
	global_load_dwordx2 v[108:109], v[33:34], off
	global_load_dwordx2 v[110:111], v[37:38], off
	global_load_dwordx2 v[112:113], v[41:42], off
	global_load_dwordx2 v[114:115], v[45:46], off
	global_load_dwordx2 v[116:117], v[49:50], off
	global_load_dwordx2 v[118:119], v[53:54], off
	global_load_dwordx2 v[120:121], v[57:58], off
	global_load_dwordx2 v[122:123], v[61:62], off
	s_cmpk_lg_i32 s9, 0x84
	s_waitcnt vmcnt(25)
	buffer_store_dword v72, off, s[0:3], 0 offset:4
	buffer_store_dword v71, off, s[0:3], 0
	global_load_dwordx2 v[71:72], v[31:32], off
	s_cselect_b64 s[10:11], -1, 0
	s_waitcnt vmcnt(27)
	buffer_store_dword v75, off, s[0:3], 0 offset:12
	buffer_store_dword v74, off, s[0:3], 0 offset:8
	global_load_dwordx2 v[74:75], v[35:36], off
	s_cmpk_eq_i32 s9, 0x84
	s_waitcnt vmcnt(29)
	buffer_store_dword v77, off, s[0:3], 0 offset:20
	buffer_store_dword v76, off, s[0:3], 0 offset:16
	global_load_dwordx2 v[76:77], v[39:40], off
	s_waitcnt vmcnt(31)
	buffer_store_dword v79, off, s[0:3], 0 offset:28
	buffer_store_dword v78, off, s[0:3], 0 offset:24
	global_load_dwordx2 v[78:79], v[43:44], off
	;; [unrolled: 4-line block ×3, first 2 shown]
	s_nop 0
	buffer_store_dword v83, off, s[0:3], 0 offset:44
	buffer_store_dword v82, off, s[0:3], 0 offset:40
	global_load_dwordx2 v[82:83], v[51:52], off
	s_nop 0
	buffer_store_dword v85, off, s[0:3], 0 offset:52
	buffer_store_dword v84, off, s[0:3], 0 offset:48
	global_load_dwordx2 v[84:85], v[55:56], off
	s_waitcnt vmcnt(39)
	buffer_store_dword v87, off, s[0:3], 0 offset:60
	buffer_store_dword v86, off, s[0:3], 0 offset:56
	global_load_dwordx2 v[86:87], v[59:60], off
	s_waitcnt vmcnt(41)
	;; [unrolled: 4-line block ×3, first 2 shown]
	buffer_store_dword v90, off, s[0:3], 0 offset:72
	buffer_store_dword v91, off, s[0:3], 0 offset:76
	s_waitcnt vmcnt(44)
	buffer_store_dword v92, off, s[0:3], 0 offset:80
	buffer_store_dword v93, off, s[0:3], 0 offset:84
	s_waitcnt vmcnt(45)
	;; [unrolled: 3-line block ×8, first 2 shown]
	buffer_store_dword v71, off, s[0:3], 0 offset:136
	buffer_store_dword v72, off, s[0:3], 0 offset:140
	buffer_store_dword v108, off, s[0:3], 0 offset:144
	buffer_store_dword v109, off, s[0:3], 0 offset:148
	s_waitcnt vmcnt(41)
	buffer_store_dword v75, off, s[0:3], 0 offset:156
	buffer_store_dword v74, off, s[0:3], 0 offset:152
	buffer_store_dword v111, off, s[0:3], 0 offset:164
	buffer_store_dword v110, off, s[0:3], 0 offset:160
	s_waitcnt vmcnt(42)
	;; [unrolled: 5-line block ×8, first 2 shown]
	buffer_store_dword v88, off, s[0:3], 0 offset:264
	buffer_store_dword v89, off, s[0:3], 0 offset:268
	;; [unrolled: 1-line block ×3, first 2 shown]
	v_mov_b32_e32 v71, 0
	v_mov_b32_e32 v72, 0xbff00000
	buffer_store_dword v103, off, s[0:3], 0 offset:276
	s_cbranch_scc1 .LBB34_3
; %bb.2:
	v_mov_b32_e32 v71, 0
	v_lshl_add_u32 v82, v0, 3, v71
	buffer_load_dword v71, v82, s[0:3], 0 offen
	buffer_load_dword v72, v82, s[0:3], 0 offen offset:4
	s_waitcnt vmcnt(0)
	v_div_scale_f64 v[74:75], s[4:5], v[71:72], v[71:72], 1.0
	v_rcp_f64_e32 v[76:77], v[74:75]
	v_fma_f64 v[78:79], -v[74:75], v[76:77], 1.0
	v_fma_f64 v[76:77], v[76:77], v[78:79], v[76:77]
	v_div_scale_f64 v[78:79], vcc, 1.0, v[71:72], 1.0
	v_fma_f64 v[80:81], -v[74:75], v[76:77], 1.0
	v_fma_f64 v[76:77], v[76:77], v[80:81], v[76:77]
	v_mul_f64 v[80:81], v[78:79], v[76:77]
	v_fma_f64 v[74:75], -v[74:75], v[80:81], v[78:79]
	v_div_fmas_f64 v[74:75], v[74:75], v[76:77], v[80:81]
	v_div_fixup_f64 v[71:72], v[74:75], v[71:72], 1.0
	buffer_store_dword v71, v82, s[0:3], 0 offen
	buffer_store_dword v72, v82, s[0:3], 0 offen offset:4
	v_xor_b32_e32 v72, 0x80000000, v72
.LBB34_3:
	s_cmpk_eq_i32 s8, 0x79
	v_add_u32_e32 v74, 0x120, v73
	v_mov_b32_e32 v75, v73
	s_mov_b64 s[4:5], -1
	ds_write_b64 v73, v[71:72]
	s_cbranch_scc1 .LBB34_337
; %bb.4:
	buffer_load_dword v71, off, s[0:3], 0 offset:264
	buffer_load_dword v72, off, s[0:3], 0 offset:268
	s_movk_i32 s12, 0x48
	s_movk_i32 s13, 0x50
	s_movk_i32 s24, 0x58
	s_movk_i32 s25, 0x60
	s_movk_i32 s26, 0x68
	s_movk_i32 s27, 0x70
	s_movk_i32 s28, 0x78
	s_movk_i32 s29, 0x80
	s_movk_i32 s30, 0x88
	s_movk_i32 s31, 0x90
	s_movk_i32 s33, 0x98
	s_movk_i32 s34, 0xa0
	s_movk_i32 s35, 0xa8
	s_movk_i32 s36, 0xb0
	s_movk_i32 s37, 0xb8
	s_movk_i32 s38, 0xc0
	s_movk_i32 s39, 0xc8
	s_movk_i32 s40, 0xd0
	s_movk_i32 s41, 0xd8
	s_movk_i32 s42, 0xe0
	s_movk_i32 s43, 0xe8
	s_movk_i32 s44, 0xf0
	s_movk_i32 s45, 0xf8
	s_movk_i32 s46, 0x100
	v_cmp_eq_u32_e64 s[4:5], 34, v0
	s_waitcnt vmcnt(0)
	ds_write_b64 v74, v[71:72]
	s_waitcnt lgkmcnt(0)
	; wave barrier
	s_and_saveexec_b64 s[6:7], s[4:5]
	s_cbranch_execz .LBB34_10
; %bb.5:
	s_and_b64 vcc, exec, s[10:11]
	s_cbranch_vccz .LBB34_7
; %bb.6:
	buffer_load_dword v71, v75, s[0:3], 0 offen
	buffer_load_dword v72, v75, s[0:3], 0 offen offset:4
	ds_read_b64 v[76:77], v74
	s_waitcnt vmcnt(0) lgkmcnt(0)
	v_mul_f64 v[71:72], v[71:72], v[76:77]
	s_cbranch_execz .LBB34_8
	s_branch .LBB34_9
.LBB34_7:
                                        ; implicit-def: $vgpr71_vgpr72
.LBB34_8:
	ds_read_b64 v[71:72], v74
.LBB34_9:
	v_mov_b32_e32 v76, 0
	ds_read_b64 v[76:77], v76 offset:264
	s_waitcnt lgkmcnt(0)
	v_mul_f64 v[71:72], v[71:72], v[76:77]
	buffer_store_dword v72, off, s[0:3], 0 offset:268
	buffer_store_dword v71, off, s[0:3], 0 offset:264
.LBB34_10:
	s_or_b64 exec, exec, s[6:7]
	buffer_load_dword v71, off, s[0:3], 0 offset:256
	buffer_load_dword v72, off, s[0:3], 0 offset:260
	s_or_b32 s14, 0, 8
	s_mov_b32 s15, 16
	s_mov_b32 s16, 24
	;; [unrolled: 1-line block ×9, first 2 shown]
	v_cmp_lt_u32_e64 s[6:7], 32, v0
	s_waitcnt vmcnt(0)
	ds_write_b64 v74, v[71:72]
	s_waitcnt lgkmcnt(0)
	; wave barrier
	s_and_saveexec_b64 s[8:9], s[6:7]
	s_cbranch_execz .LBB34_16
; %bb.11:
	s_andn2_b64 vcc, exec, s[10:11]
	s_cbranch_vccnz .LBB34_13
; %bb.12:
	buffer_load_dword v71, v75, s[0:3], 0 offen
	buffer_load_dword v72, v75, s[0:3], 0 offen offset:4
	ds_read_b64 v[76:77], v74
	s_waitcnt vmcnt(0) lgkmcnt(0)
	v_mul_f64 v[71:72], v[71:72], v[76:77]
	s_cbranch_execz .LBB34_14
	s_branch .LBB34_15
.LBB34_13:
                                        ; implicit-def: $vgpr71_vgpr72
.LBB34_14:
	ds_read_b64 v[71:72], v74
.LBB34_15:
	buffer_load_dword v80, off, s[0:3], 0 offset:264
	buffer_load_dword v81, off, s[0:3], 0 offset:268
	v_mov_b32_e32 v76, 0
	ds_read2_b64 v[76:79], v76 offset0:32 offset1:69
	s_waitcnt vmcnt(0) lgkmcnt(0)
	v_fma_f64 v[78:79], v[80:81], v[78:79], v[71:72]
	v_cndmask_b32_e64 v72, v72, v79, s[4:5]
	v_cndmask_b32_e64 v71, v71, v78, s[4:5]
	v_mul_f64 v[71:72], v[71:72], v[76:77]
	buffer_store_dword v72, off, s[0:3], 0 offset:260
	buffer_store_dword v71, off, s[0:3], 0 offset:256
.LBB34_16:
	s_or_b64 exec, exec, s[8:9]
	buffer_load_dword v71, off, s[0:3], 0 offset:248
	buffer_load_dword v72, off, s[0:3], 0 offset:252
	v_cmp_lt_u32_e64 s[4:5], 31, v0
	s_waitcnt vmcnt(0)
	ds_write_b64 v74, v[71:72]
	s_waitcnt lgkmcnt(0)
	; wave barrier
	s_and_saveexec_b64 s[8:9], s[4:5]
	s_cbranch_execz .LBB34_26
; %bb.17:
	s_andn2_b64 vcc, exec, s[10:11]
	s_cbranch_vccnz .LBB34_19
; %bb.18:
	buffer_load_dword v71, v75, s[0:3], 0 offen
	buffer_load_dword v72, v75, s[0:3], 0 offen offset:4
	ds_read_b64 v[76:77], v74
	s_waitcnt vmcnt(0) lgkmcnt(0)
	v_mul_f64 v[71:72], v[71:72], v[76:77]
	s_cbranch_execz .LBB34_20
	s_branch .LBB34_21
.LBB34_19:
                                        ; implicit-def: $vgpr71_vgpr72
.LBB34_20:
	ds_read_b64 v[71:72], v74
.LBB34_21:
	s_and_saveexec_b64 s[12:13], s[6:7]
	s_cbranch_execz .LBB34_25
; %bb.22:
	v_subrev_u32_e32 v76, 32, v0
	s_movk_i32 s47, 0x220
	s_mov_b64 s[6:7], 0
.LBB34_23:                              ; =>This Inner Loop Header: Depth=1
	v_mov_b32_e32 v79, s46
	buffer_load_dword v77, v79, s[0:3], 0 offen
	buffer_load_dword v78, v79, s[0:3], 0 offen offset:4
	v_mov_b32_e32 v79, s47
	ds_read_b64 v[79:80], v79
	v_add_u32_e32 v76, -1, v76
	s_add_i32 s47, s47, 8
	s_add_i32 s46, s46, 8
	v_cmp_eq_u32_e32 vcc, 0, v76
	s_or_b64 s[6:7], vcc, s[6:7]
	s_waitcnt vmcnt(0) lgkmcnt(0)
	v_fma_f64 v[71:72], v[77:78], v[79:80], v[71:72]
	s_andn2_b64 exec, exec, s[6:7]
	s_cbranch_execnz .LBB34_23
; %bb.24:
	s_or_b64 exec, exec, s[6:7]
.LBB34_25:
	s_or_b64 exec, exec, s[12:13]
	v_mov_b32_e32 v76, 0
	ds_read_b64 v[76:77], v76 offset:248
	s_waitcnt lgkmcnt(0)
	v_mul_f64 v[71:72], v[71:72], v[76:77]
	buffer_store_dword v72, off, s[0:3], 0 offset:252
	buffer_store_dword v71, off, s[0:3], 0 offset:248
.LBB34_26:
	s_or_b64 exec, exec, s[8:9]
	buffer_load_dword v71, off, s[0:3], 0 offset:240
	buffer_load_dword v72, off, s[0:3], 0 offset:244
	v_cmp_lt_u32_e64 s[6:7], 30, v0
	s_waitcnt vmcnt(0)
	ds_write_b64 v74, v[71:72]
	s_waitcnt lgkmcnt(0)
	; wave barrier
	s_and_saveexec_b64 s[8:9], s[6:7]
	s_cbranch_execz .LBB34_36
; %bb.27:
	s_andn2_b64 vcc, exec, s[10:11]
	s_cbranch_vccnz .LBB34_29
; %bb.28:
	buffer_load_dword v71, v75, s[0:3], 0 offen
	buffer_load_dword v72, v75, s[0:3], 0 offen offset:4
	ds_read_b64 v[76:77], v74
	s_waitcnt vmcnt(0) lgkmcnt(0)
	v_mul_f64 v[71:72], v[71:72], v[76:77]
	s_cbranch_execz .LBB34_30
	s_branch .LBB34_31
.LBB34_29:
                                        ; implicit-def: $vgpr71_vgpr72
.LBB34_30:
	ds_read_b64 v[71:72], v74
.LBB34_31:
	s_and_saveexec_b64 s[12:13], s[4:5]
	s_cbranch_execz .LBB34_35
; %bb.32:
	v_subrev_u32_e32 v76, 31, v0
	s_movk_i32 s46, 0x218
	s_mov_b64 s[4:5], 0
.LBB34_33:                              ; =>This Inner Loop Header: Depth=1
	v_mov_b32_e32 v79, s45
	buffer_load_dword v77, v79, s[0:3], 0 offen
	buffer_load_dword v78, v79, s[0:3], 0 offen offset:4
	v_mov_b32_e32 v79, s46
	ds_read_b64 v[79:80], v79
	v_add_u32_e32 v76, -1, v76
	s_add_i32 s46, s46, 8
	s_add_i32 s45, s45, 8
	v_cmp_eq_u32_e32 vcc, 0, v76
	s_or_b64 s[4:5], vcc, s[4:5]
	s_waitcnt vmcnt(0) lgkmcnt(0)
	v_fma_f64 v[71:72], v[77:78], v[79:80], v[71:72]
	s_andn2_b64 exec, exec, s[4:5]
	s_cbranch_execnz .LBB34_33
; %bb.34:
	s_or_b64 exec, exec, s[4:5]
.LBB34_35:
	s_or_b64 exec, exec, s[12:13]
	v_mov_b32_e32 v76, 0
	ds_read_b64 v[76:77], v76 offset:240
	s_waitcnt lgkmcnt(0)
	v_mul_f64 v[71:72], v[71:72], v[76:77]
	buffer_store_dword v72, off, s[0:3], 0 offset:244
	buffer_store_dword v71, off, s[0:3], 0 offset:240
.LBB34_36:
	;; [unrolled: 58-line block ×8, first 2 shown]
	s_or_b64 exec, exec, s[8:9]
	buffer_load_dword v71, off, s[0:3], 0 offset:184
	buffer_load_dword v72, off, s[0:3], 0 offset:188
	v_cmp_lt_u32_e64 s[4:5], 23, v0
	s_waitcnt vmcnt(0)
	ds_write_b64 v74, v[71:72]
	s_waitcnt lgkmcnt(0)
	; wave barrier
	s_and_saveexec_b64 s[8:9], s[4:5]
	s_cbranch_execz .LBB34_106
; %bb.97:
	s_andn2_b64 vcc, exec, s[10:11]
	s_cbranch_vccnz .LBB34_99
; %bb.98:
	buffer_load_dword v71, v75, s[0:3], 0 offen
	buffer_load_dword v72, v75, s[0:3], 0 offen offset:4
	ds_read_b64 v[76:77], v74
	s_waitcnt vmcnt(0) lgkmcnt(0)
	v_mul_f64 v[71:72], v[71:72], v[76:77]
	s_cbranch_execz .LBB34_100
	s_branch .LBB34_101
.LBB34_99:
                                        ; implicit-def: $vgpr71_vgpr72
.LBB34_100:
	ds_read_b64 v[71:72], v74
.LBB34_101:
	s_and_saveexec_b64 s[12:13], s[6:7]
	s_cbranch_execz .LBB34_105
; %bb.102:
	v_subrev_u32_e32 v76, 24, v0
	s_movk_i32 s39, 0x1e0
	s_mov_b64 s[6:7], 0
.LBB34_103:                             ; =>This Inner Loop Header: Depth=1
	v_mov_b32_e32 v79, s38
	buffer_load_dword v77, v79, s[0:3], 0 offen
	buffer_load_dword v78, v79, s[0:3], 0 offen offset:4
	v_mov_b32_e32 v79, s39
	ds_read_b64 v[79:80], v79
	v_add_u32_e32 v76, -1, v76
	s_add_i32 s39, s39, 8
	s_add_i32 s38, s38, 8
	v_cmp_eq_u32_e32 vcc, 0, v76
	s_or_b64 s[6:7], vcc, s[6:7]
	s_waitcnt vmcnt(0) lgkmcnt(0)
	v_fma_f64 v[71:72], v[77:78], v[79:80], v[71:72]
	s_andn2_b64 exec, exec, s[6:7]
	s_cbranch_execnz .LBB34_103
; %bb.104:
	s_or_b64 exec, exec, s[6:7]
.LBB34_105:
	s_or_b64 exec, exec, s[12:13]
	v_mov_b32_e32 v76, 0
	ds_read_b64 v[76:77], v76 offset:184
	s_waitcnt lgkmcnt(0)
	v_mul_f64 v[71:72], v[71:72], v[76:77]
	buffer_store_dword v72, off, s[0:3], 0 offset:188
	buffer_store_dword v71, off, s[0:3], 0 offset:184
.LBB34_106:
	s_or_b64 exec, exec, s[8:9]
	buffer_load_dword v71, off, s[0:3], 0 offset:176
	buffer_load_dword v72, off, s[0:3], 0 offset:180
	v_cmp_lt_u32_e64 s[6:7], 22, v0
	s_waitcnt vmcnt(0)
	ds_write_b64 v74, v[71:72]
	s_waitcnt lgkmcnt(0)
	; wave barrier
	s_and_saveexec_b64 s[8:9], s[6:7]
	s_cbranch_execz .LBB34_116
; %bb.107:
	s_andn2_b64 vcc, exec, s[10:11]
	s_cbranch_vccnz .LBB34_109
; %bb.108:
	buffer_load_dword v71, v75, s[0:3], 0 offen
	buffer_load_dword v72, v75, s[0:3], 0 offen offset:4
	ds_read_b64 v[76:77], v74
	s_waitcnt vmcnt(0) lgkmcnt(0)
	v_mul_f64 v[71:72], v[71:72], v[76:77]
	s_cbranch_execz .LBB34_110
	s_branch .LBB34_111
.LBB34_109:
                                        ; implicit-def: $vgpr71_vgpr72
.LBB34_110:
	ds_read_b64 v[71:72], v74
.LBB34_111:
	s_and_saveexec_b64 s[12:13], s[4:5]
	s_cbranch_execz .LBB34_115
; %bb.112:
	v_subrev_u32_e32 v76, 23, v0
	s_movk_i32 s38, 0x1d8
	s_mov_b64 s[4:5], 0
.LBB34_113:                             ; =>This Inner Loop Header: Depth=1
	v_mov_b32_e32 v79, s37
	buffer_load_dword v77, v79, s[0:3], 0 offen
	buffer_load_dword v78, v79, s[0:3], 0 offen offset:4
	v_mov_b32_e32 v79, s38
	ds_read_b64 v[79:80], v79
	v_add_u32_e32 v76, -1, v76
	s_add_i32 s38, s38, 8
	s_add_i32 s37, s37, 8
	v_cmp_eq_u32_e32 vcc, 0, v76
	s_or_b64 s[4:5], vcc, s[4:5]
	s_waitcnt vmcnt(0) lgkmcnt(0)
	v_fma_f64 v[71:72], v[77:78], v[79:80], v[71:72]
	s_andn2_b64 exec, exec, s[4:5]
	s_cbranch_execnz .LBB34_113
; %bb.114:
	s_or_b64 exec, exec, s[4:5]
.LBB34_115:
	s_or_b64 exec, exec, s[12:13]
	v_mov_b32_e32 v76, 0
	ds_read_b64 v[76:77], v76 offset:176
	s_waitcnt lgkmcnt(0)
	v_mul_f64 v[71:72], v[71:72], v[76:77]
	buffer_store_dword v72, off, s[0:3], 0 offset:180
	buffer_store_dword v71, off, s[0:3], 0 offset:176
.LBB34_116:
	;; [unrolled: 58-line block ×8, first 2 shown]
	s_or_b64 exec, exec, s[8:9]
	buffer_load_dword v71, off, s[0:3], 0 offset:120
	buffer_load_dword v72, off, s[0:3], 0 offset:124
	v_cmp_lt_u32_e64 s[4:5], 15, v0
	s_waitcnt vmcnt(0)
	ds_write_b64 v74, v[71:72]
	s_waitcnt lgkmcnt(0)
	; wave barrier
	s_and_saveexec_b64 s[8:9], s[4:5]
	s_cbranch_execz .LBB34_186
; %bb.177:
	s_andn2_b64 vcc, exec, s[10:11]
	s_cbranch_vccnz .LBB34_179
; %bb.178:
	buffer_load_dword v71, v75, s[0:3], 0 offen
	buffer_load_dword v72, v75, s[0:3], 0 offen offset:4
	ds_read_b64 v[76:77], v74
	s_waitcnt vmcnt(0) lgkmcnt(0)
	v_mul_f64 v[71:72], v[71:72], v[76:77]
	s_cbranch_execz .LBB34_180
	s_branch .LBB34_181
.LBB34_179:
                                        ; implicit-def: $vgpr71_vgpr72
.LBB34_180:
	ds_read_b64 v[71:72], v74
.LBB34_181:
	s_and_saveexec_b64 s[12:13], s[6:7]
	s_cbranch_execz .LBB34_185
; %bb.182:
	v_add_u32_e32 v76, -16, v0
	s_movk_i32 s30, 0x1a0
	s_mov_b64 s[6:7], 0
.LBB34_183:                             ; =>This Inner Loop Header: Depth=1
	v_mov_b32_e32 v79, s29
	buffer_load_dword v77, v79, s[0:3], 0 offen
	buffer_load_dword v78, v79, s[0:3], 0 offen offset:4
	v_mov_b32_e32 v79, s30
	ds_read_b64 v[79:80], v79
	v_add_u32_e32 v76, -1, v76
	s_add_i32 s30, s30, 8
	s_add_i32 s29, s29, 8
	v_cmp_eq_u32_e32 vcc, 0, v76
	s_or_b64 s[6:7], vcc, s[6:7]
	s_waitcnt vmcnt(0) lgkmcnt(0)
	v_fma_f64 v[71:72], v[77:78], v[79:80], v[71:72]
	s_andn2_b64 exec, exec, s[6:7]
	s_cbranch_execnz .LBB34_183
; %bb.184:
	s_or_b64 exec, exec, s[6:7]
.LBB34_185:
	s_or_b64 exec, exec, s[12:13]
	v_mov_b32_e32 v76, 0
	ds_read_b64 v[76:77], v76 offset:120
	s_waitcnt lgkmcnt(0)
	v_mul_f64 v[71:72], v[71:72], v[76:77]
	buffer_store_dword v72, off, s[0:3], 0 offset:124
	buffer_store_dword v71, off, s[0:3], 0 offset:120
.LBB34_186:
	s_or_b64 exec, exec, s[8:9]
	buffer_load_dword v71, off, s[0:3], 0 offset:112
	buffer_load_dword v72, off, s[0:3], 0 offset:116
	v_cmp_lt_u32_e64 s[6:7], 14, v0
	s_waitcnt vmcnt(0)
	ds_write_b64 v74, v[71:72]
	s_waitcnt lgkmcnt(0)
	; wave barrier
	s_and_saveexec_b64 s[8:9], s[6:7]
	s_cbranch_execz .LBB34_196
; %bb.187:
	s_andn2_b64 vcc, exec, s[10:11]
	s_cbranch_vccnz .LBB34_189
; %bb.188:
	buffer_load_dword v71, v75, s[0:3], 0 offen
	buffer_load_dword v72, v75, s[0:3], 0 offen offset:4
	ds_read_b64 v[76:77], v74
	s_waitcnt vmcnt(0) lgkmcnt(0)
	v_mul_f64 v[71:72], v[71:72], v[76:77]
	s_cbranch_execz .LBB34_190
	s_branch .LBB34_191
.LBB34_189:
                                        ; implicit-def: $vgpr71_vgpr72
.LBB34_190:
	ds_read_b64 v[71:72], v74
.LBB34_191:
	s_and_saveexec_b64 s[12:13], s[4:5]
	s_cbranch_execz .LBB34_195
; %bb.192:
	v_add_u32_e32 v76, -15, v0
	s_movk_i32 s29, 0x198
	s_mov_b64 s[4:5], 0
.LBB34_193:                             ; =>This Inner Loop Header: Depth=1
	v_mov_b32_e32 v79, s28
	buffer_load_dword v77, v79, s[0:3], 0 offen
	buffer_load_dword v78, v79, s[0:3], 0 offen offset:4
	v_mov_b32_e32 v79, s29
	ds_read_b64 v[79:80], v79
	v_add_u32_e32 v76, -1, v76
	s_add_i32 s29, s29, 8
	s_add_i32 s28, s28, 8
	v_cmp_eq_u32_e32 vcc, 0, v76
	s_or_b64 s[4:5], vcc, s[4:5]
	s_waitcnt vmcnt(0) lgkmcnt(0)
	v_fma_f64 v[71:72], v[77:78], v[79:80], v[71:72]
	s_andn2_b64 exec, exec, s[4:5]
	s_cbranch_execnz .LBB34_193
; %bb.194:
	s_or_b64 exec, exec, s[4:5]
.LBB34_195:
	s_or_b64 exec, exec, s[12:13]
	v_mov_b32_e32 v76, 0
	ds_read_b64 v[76:77], v76 offset:112
	s_waitcnt lgkmcnt(0)
	v_mul_f64 v[71:72], v[71:72], v[76:77]
	buffer_store_dword v72, off, s[0:3], 0 offset:116
	buffer_store_dword v71, off, s[0:3], 0 offset:112
.LBB34_196:
	;; [unrolled: 58-line block ×15, first 2 shown]
	s_or_b64 exec, exec, s[8:9]
	buffer_load_dword v71, off, s[0:3], 0
	buffer_load_dword v72, off, s[0:3], 0 offset:4
	v_cmp_ne_u32_e32 vcc, 0, v0
	s_waitcnt vmcnt(0)
	ds_write_b64 v74, v[71:72]
	s_waitcnt lgkmcnt(0)
	; wave barrier
	s_and_saveexec_b64 s[6:7], vcc
	s_cbranch_execz .LBB34_336
; %bb.327:
	s_andn2_b64 vcc, exec, s[10:11]
	s_cbranch_vccnz .LBB34_329
; %bb.328:
	buffer_load_dword v71, v75, s[0:3], 0 offen
	buffer_load_dword v72, v75, s[0:3], 0 offen offset:4
	ds_read_b64 v[76:77], v74
	s_waitcnt vmcnt(0) lgkmcnt(0)
	v_mul_f64 v[71:72], v[71:72], v[76:77]
	s_cbranch_execz .LBB34_330
	s_branch .LBB34_331
.LBB34_329:
                                        ; implicit-def: $vgpr71_vgpr72
.LBB34_330:
	ds_read_b64 v[71:72], v74
.LBB34_331:
	s_and_saveexec_b64 s[8:9], s[4:5]
	s_cbranch_execz .LBB34_335
; %bb.332:
	v_add_u32_e32 v76, -1, v0
	s_movk_i32 s12, 0x128
	s_mov_b64 s[4:5], 0
.LBB34_333:                             ; =>This Inner Loop Header: Depth=1
	v_mov_b32_e32 v79, s14
	buffer_load_dword v77, v79, s[0:3], 0 offen
	buffer_load_dword v78, v79, s[0:3], 0 offen offset:4
	v_mov_b32_e32 v79, s12
	ds_read_b64 v[79:80], v79
	v_add_u32_e32 v76, -1, v76
	s_add_i32 s12, s12, 8
	s_add_i32 s14, s14, 8
	v_cmp_eq_u32_e32 vcc, 0, v76
	s_or_b64 s[4:5], vcc, s[4:5]
	s_waitcnt vmcnt(0) lgkmcnt(0)
	v_fma_f64 v[71:72], v[77:78], v[79:80], v[71:72]
	s_andn2_b64 exec, exec, s[4:5]
	s_cbranch_execnz .LBB34_333
; %bb.334:
	s_or_b64 exec, exec, s[4:5]
.LBB34_335:
	s_or_b64 exec, exec, s[8:9]
	v_mov_b32_e32 v76, 0
	ds_read_b64 v[76:77], v76
	s_waitcnt lgkmcnt(0)
	v_mul_f64 v[71:72], v[71:72], v[76:77]
	buffer_store_dword v72, off, s[0:3], 0 offset:4
	buffer_store_dword v71, off, s[0:3], 0
.LBB34_336:
	s_or_b64 exec, exec, s[6:7]
	s_mov_b64 s[4:5], 0
.LBB34_337:
	s_and_b64 vcc, exec, s[4:5]
	s_cbranch_vccz .LBB34_669
; %bb.338:
	buffer_load_dword v71, off, s[0:3], 0 offset:8
	buffer_load_dword v72, off, s[0:3], 0 offset:12
	v_cmp_eq_u32_e64 s[6:7], 0, v0
	s_waitcnt vmcnt(0)
	ds_write_b64 v74, v[71:72]
	s_waitcnt lgkmcnt(0)
	; wave barrier
	s_and_saveexec_b64 s[4:5], s[6:7]
	s_cbranch_execz .LBB34_344
; %bb.339:
	s_and_b64 vcc, exec, s[10:11]
	s_cbranch_vccz .LBB34_341
; %bb.340:
	buffer_load_dword v71, v75, s[0:3], 0 offen
	buffer_load_dword v72, v75, s[0:3], 0 offen offset:4
	ds_read_b64 v[76:77], v74
	s_waitcnt vmcnt(0) lgkmcnt(0)
	v_mul_f64 v[71:72], v[71:72], v[76:77]
	s_cbranch_execz .LBB34_342
	s_branch .LBB34_343
.LBB34_341:
                                        ; implicit-def: $vgpr71_vgpr72
.LBB34_342:
	ds_read_b64 v[71:72], v74
.LBB34_343:
	v_mov_b32_e32 v76, 0
	ds_read_b64 v[76:77], v76 offset:8
	s_waitcnt lgkmcnt(0)
	v_mul_f64 v[71:72], v[71:72], v[76:77]
	buffer_store_dword v72, off, s[0:3], 0 offset:12
	buffer_store_dword v71, off, s[0:3], 0 offset:8
.LBB34_344:
	s_or_b64 exec, exec, s[4:5]
	buffer_load_dword v71, off, s[0:3], 0 offset:16
	buffer_load_dword v72, off, s[0:3], 0 offset:20
	v_cndmask_b32_e64 v76, 0, 1, s[10:11]
	v_cmp_gt_u32_e32 vcc, 2, v0
	v_cmp_ne_u32_e64 s[4:5], 1, v76
	s_waitcnt vmcnt(0)
	ds_write_b64 v74, v[71:72]
	s_waitcnt lgkmcnt(0)
	; wave barrier
	s_and_saveexec_b64 s[8:9], vcc
	s_cbranch_execz .LBB34_350
; %bb.345:
	s_and_b64 vcc, exec, s[4:5]
	s_cbranch_vccnz .LBB34_347
; %bb.346:
	buffer_load_dword v71, v75, s[0:3], 0 offen
	buffer_load_dword v72, v75, s[0:3], 0 offen offset:4
	ds_read_b64 v[76:77], v74
	s_waitcnt vmcnt(0) lgkmcnt(0)
	v_mul_f64 v[71:72], v[71:72], v[76:77]
	s_cbranch_execz .LBB34_348
	s_branch .LBB34_349
.LBB34_347:
                                        ; implicit-def: $vgpr71_vgpr72
.LBB34_348:
	ds_read_b64 v[71:72], v74
.LBB34_349:
	buffer_load_dword v80, off, s[0:3], 0 offset:8
	buffer_load_dword v81, off, s[0:3], 0 offset:12
	v_mov_b32_e32 v76, 0
	ds_read2_b64 v[76:79], v76 offset0:2 offset1:37
	s_waitcnt vmcnt(0) lgkmcnt(0)
	v_fma_f64 v[78:79], v[80:81], v[78:79], v[71:72]
	v_cndmask_b32_e64 v72, v72, v79, s[6:7]
	v_cndmask_b32_e64 v71, v71, v78, s[6:7]
	v_mul_f64 v[71:72], v[71:72], v[76:77]
	buffer_store_dword v72, off, s[0:3], 0 offset:20
	buffer_store_dword v71, off, s[0:3], 0 offset:16
.LBB34_350:
	s_or_b64 exec, exec, s[8:9]
	buffer_load_dword v71, off, s[0:3], 0 offset:24
	buffer_load_dword v72, off, s[0:3], 0 offset:28
	v_cmp_gt_u32_e32 vcc, 3, v0
	s_waitcnt vmcnt(0)
	ds_write_b64 v74, v[71:72]
	s_waitcnt lgkmcnt(0)
	; wave barrier
	s_and_saveexec_b64 s[8:9], vcc
	s_cbranch_execz .LBB34_358
; %bb.351:
	s_and_b64 vcc, exec, s[4:5]
	s_cbranch_vccnz .LBB34_353
; %bb.352:
	buffer_load_dword v71, v75, s[0:3], 0 offen
	buffer_load_dword v72, v75, s[0:3], 0 offen offset:4
	ds_read_b64 v[76:77], v74
	s_waitcnt vmcnt(0) lgkmcnt(0)
	v_mul_f64 v[71:72], v[71:72], v[76:77]
	s_cbranch_execz .LBB34_354
	s_branch .LBB34_355
.LBB34_353:
                                        ; implicit-def: $vgpr71_vgpr72
.LBB34_354:
	ds_read_b64 v[71:72], v74
.LBB34_355:
	v_cmp_ne_u32_e32 vcc, 2, v0
	s_and_saveexec_b64 s[10:11], vcc
	s_cbranch_execz .LBB34_357
; %bb.356:
	buffer_load_dword v76, v75, s[0:3], 0 offen offset:8
	buffer_load_dword v77, v75, s[0:3], 0 offen offset:12
	buffer_load_dword v78, off, s[0:3], 0 offset:16
	buffer_load_dword v79, off, s[0:3], 0 offset:20
	ds_read_b64 v[80:81], v74 offset:8
	v_mov_b32_e32 v82, 0
	ds_read_b64 v[82:83], v82 offset:304
	s_waitcnt vmcnt(2) lgkmcnt(1)
	v_fma_f64 v[71:72], v[76:77], v[80:81], v[71:72]
	s_waitcnt vmcnt(0) lgkmcnt(0)
	v_fma_f64 v[76:77], v[78:79], v[82:83], v[71:72]
	v_cndmask_b32_e64 v72, v72, v77, s[6:7]
	v_cndmask_b32_e64 v71, v71, v76, s[6:7]
.LBB34_357:
	s_or_b64 exec, exec, s[10:11]
	v_mov_b32_e32 v76, 0
	ds_read_b64 v[76:77], v76 offset:24
	s_waitcnt lgkmcnt(0)
	v_mul_f64 v[71:72], v[71:72], v[76:77]
	buffer_store_dword v72, off, s[0:3], 0 offset:28
	buffer_store_dword v71, off, s[0:3], 0 offset:24
.LBB34_358:
	s_or_b64 exec, exec, s[8:9]
	buffer_load_dword v71, off, s[0:3], 0 offset:32
	buffer_load_dword v72, off, s[0:3], 0 offset:36
	v_cmp_gt_u32_e32 vcc, 4, v0
	s_waitcnt vmcnt(0)
	ds_write_b64 v74, v[71:72]
	s_waitcnt lgkmcnt(0)
	; wave barrier
	s_and_saveexec_b64 s[6:7], vcc
	s_cbranch_execz .LBB34_368
; %bb.359:
	s_and_b64 vcc, exec, s[4:5]
	s_cbranch_vccnz .LBB34_361
; %bb.360:
	buffer_load_dword v71, v75, s[0:3], 0 offen
	buffer_load_dword v72, v75, s[0:3], 0 offen offset:4
	ds_read_b64 v[76:77], v74
	s_waitcnt vmcnt(0) lgkmcnt(0)
	v_mul_f64 v[71:72], v[71:72], v[76:77]
	s_cbranch_execz .LBB34_362
	s_branch .LBB34_363
.LBB34_361:
                                        ; implicit-def: $vgpr71_vgpr72
.LBB34_362:
	ds_read_b64 v[71:72], v74
.LBB34_363:
	v_cmp_ne_u32_e32 vcc, 3, v0
	s_and_saveexec_b64 s[8:9], vcc
	s_cbranch_execz .LBB34_367
; %bb.364:
	s_mov_b32 s10, 0
	v_add_u32_e32 v76, 0x128, v73
	v_add3_u32 v77, v73, s10, 8
	s_mov_b64 s[10:11], 0
	v_mov_b32_e32 v78, v0
.LBB34_365:                             ; =>This Inner Loop Header: Depth=1
	buffer_load_dword v79, v77, s[0:3], 0 offen
	buffer_load_dword v80, v77, s[0:3], 0 offen offset:4
	ds_read_b64 v[81:82], v76
	v_add_u32_e32 v78, 1, v78
	v_cmp_lt_u32_e32 vcc, 2, v78
	v_add_u32_e32 v76, 8, v76
	s_or_b64 s[10:11], vcc, s[10:11]
	v_add_u32_e32 v77, 8, v77
	s_waitcnt vmcnt(0) lgkmcnt(0)
	v_fma_f64 v[71:72], v[79:80], v[81:82], v[71:72]
	s_andn2_b64 exec, exec, s[10:11]
	s_cbranch_execnz .LBB34_365
; %bb.366:
	s_or_b64 exec, exec, s[10:11]
.LBB34_367:
	s_or_b64 exec, exec, s[8:9]
	v_mov_b32_e32 v76, 0
	ds_read_b64 v[76:77], v76 offset:32
	s_waitcnt lgkmcnt(0)
	v_mul_f64 v[71:72], v[71:72], v[76:77]
	buffer_store_dword v72, off, s[0:3], 0 offset:36
	buffer_store_dword v71, off, s[0:3], 0 offset:32
.LBB34_368:
	s_or_b64 exec, exec, s[6:7]
	buffer_load_dword v71, off, s[0:3], 0 offset:40
	buffer_load_dword v72, off, s[0:3], 0 offset:44
	v_cmp_gt_u32_e32 vcc, 5, v0
	s_waitcnt vmcnt(0)
	ds_write_b64 v74, v[71:72]
	s_waitcnt lgkmcnt(0)
	; wave barrier
	s_and_saveexec_b64 s[6:7], vcc
	s_cbranch_execz .LBB34_378
; %bb.369:
	s_and_b64 vcc, exec, s[4:5]
	s_cbranch_vccnz .LBB34_371
; %bb.370:
	buffer_load_dword v71, v75, s[0:3], 0 offen
	buffer_load_dword v72, v75, s[0:3], 0 offen offset:4
	ds_read_b64 v[76:77], v74
	s_waitcnt vmcnt(0) lgkmcnt(0)
	v_mul_f64 v[71:72], v[71:72], v[76:77]
	s_cbranch_execz .LBB34_372
	s_branch .LBB34_373
.LBB34_371:
                                        ; implicit-def: $vgpr71_vgpr72
.LBB34_372:
	ds_read_b64 v[71:72], v74
.LBB34_373:
	v_cmp_ne_u32_e32 vcc, 4, v0
	s_and_saveexec_b64 s[8:9], vcc
	s_cbranch_execz .LBB34_377
; %bb.374:
	s_mov_b32 s10, 0
	v_add_u32_e32 v76, 0x128, v73
	v_add3_u32 v77, v73, s10, 8
	s_mov_b64 s[10:11], 0
	v_mov_b32_e32 v78, v0
.LBB34_375:                             ; =>This Inner Loop Header: Depth=1
	buffer_load_dword v79, v77, s[0:3], 0 offen
	buffer_load_dword v80, v77, s[0:3], 0 offen offset:4
	ds_read_b64 v[81:82], v76
	v_add_u32_e32 v78, 1, v78
	v_cmp_lt_u32_e32 vcc, 3, v78
	v_add_u32_e32 v76, 8, v76
	s_or_b64 s[10:11], vcc, s[10:11]
	v_add_u32_e32 v77, 8, v77
	s_waitcnt vmcnt(0) lgkmcnt(0)
	v_fma_f64 v[71:72], v[79:80], v[81:82], v[71:72]
	s_andn2_b64 exec, exec, s[10:11]
	s_cbranch_execnz .LBB34_375
; %bb.376:
	s_or_b64 exec, exec, s[10:11]
.LBB34_377:
	s_or_b64 exec, exec, s[8:9]
	v_mov_b32_e32 v76, 0
	ds_read_b64 v[76:77], v76 offset:40
	s_waitcnt lgkmcnt(0)
	v_mul_f64 v[71:72], v[71:72], v[76:77]
	buffer_store_dword v72, off, s[0:3], 0 offset:44
	buffer_store_dword v71, off, s[0:3], 0 offset:40
.LBB34_378:
	;; [unrolled: 59-line block ×29, first 2 shown]
	s_or_b64 exec, exec, s[6:7]
	buffer_load_dword v71, off, s[0:3], 0 offset:264
	buffer_load_dword v72, off, s[0:3], 0 offset:268
	v_cmp_gt_u32_e64 s[6:7], 33, v0
	s_waitcnt vmcnt(0)
	ds_write_b64 v74, v[71:72]
	s_waitcnt lgkmcnt(0)
	; wave barrier
	s_and_saveexec_b64 s[8:9], s[6:7]
	s_cbranch_execz .LBB34_658
; %bb.649:
	s_and_b64 vcc, exec, s[4:5]
	s_cbranch_vccnz .LBB34_651
; %bb.650:
	buffer_load_dword v71, v75, s[0:3], 0 offen
	buffer_load_dword v72, v75, s[0:3], 0 offen offset:4
	ds_read_b64 v[76:77], v74
	s_waitcnt vmcnt(0) lgkmcnt(0)
	v_mul_f64 v[71:72], v[71:72], v[76:77]
	s_cbranch_execz .LBB34_652
	s_branch .LBB34_653
.LBB34_651:
                                        ; implicit-def: $vgpr71_vgpr72
.LBB34_652:
	ds_read_b64 v[71:72], v74
.LBB34_653:
	v_cmp_ne_u32_e32 vcc, 32, v0
	s_and_saveexec_b64 s[10:11], vcc
	s_cbranch_execz .LBB34_657
; %bb.654:
	s_mov_b32 s12, 0
	v_add_u32_e32 v76, 0x128, v73
	v_add3_u32 v77, v73, s12, 8
	s_mov_b64 s[12:13], 0
	v_mov_b32_e32 v78, v0
.LBB34_655:                             ; =>This Inner Loop Header: Depth=1
	buffer_load_dword v79, v77, s[0:3], 0 offen
	buffer_load_dword v80, v77, s[0:3], 0 offen offset:4
	ds_read_b64 v[81:82], v76
	v_add_u32_e32 v78, 1, v78
	v_cmp_lt_u32_e32 vcc, 31, v78
	v_add_u32_e32 v76, 8, v76
	s_or_b64 s[12:13], vcc, s[12:13]
	v_add_u32_e32 v77, 8, v77
	s_waitcnt vmcnt(0) lgkmcnt(0)
	v_fma_f64 v[71:72], v[79:80], v[81:82], v[71:72]
	s_andn2_b64 exec, exec, s[12:13]
	s_cbranch_execnz .LBB34_655
; %bb.656:
	s_or_b64 exec, exec, s[12:13]
.LBB34_657:
	s_or_b64 exec, exec, s[10:11]
	v_mov_b32_e32 v76, 0
	ds_read_b64 v[76:77], v76 offset:264
	s_waitcnt lgkmcnt(0)
	v_mul_f64 v[71:72], v[71:72], v[76:77]
	buffer_store_dword v72, off, s[0:3], 0 offset:268
	buffer_store_dword v71, off, s[0:3], 0 offset:264
.LBB34_658:
	s_or_b64 exec, exec, s[8:9]
	buffer_load_dword v71, off, s[0:3], 0 offset:272
	buffer_load_dword v72, off, s[0:3], 0 offset:276
	v_cmp_ne_u32_e32 vcc, 34, v0
	s_waitcnt vmcnt(0)
	ds_write_b64 v74, v[71:72]
	s_waitcnt lgkmcnt(0)
	; wave barrier
	s_and_saveexec_b64 s[8:9], vcc
	s_cbranch_execz .LBB34_668
; %bb.659:
	s_and_b64 vcc, exec, s[4:5]
	s_cbranch_vccnz .LBB34_661
; %bb.660:
	buffer_load_dword v71, v75, s[0:3], 0 offen
	buffer_load_dword v72, v75, s[0:3], 0 offen offset:4
	ds_read_b64 v[75:76], v74
	s_waitcnt vmcnt(0) lgkmcnt(0)
	v_mul_f64 v[71:72], v[71:72], v[75:76]
	s_cbranch_execz .LBB34_662
	s_branch .LBB34_663
.LBB34_661:
                                        ; implicit-def: $vgpr71_vgpr72
.LBB34_662:
	ds_read_b64 v[71:72], v74
.LBB34_663:
	s_and_saveexec_b64 s[4:5], s[6:7]
	s_cbranch_execz .LBB34_667
; %bb.664:
	s_mov_b32 s6, 0
	v_add_u32_e32 v74, 0x128, v73
	v_add3_u32 v73, v73, s6, 8
	s_mov_b64 s[6:7], 0
.LBB34_665:                             ; =>This Inner Loop Header: Depth=1
	buffer_load_dword v75, v73, s[0:3], 0 offen
	buffer_load_dword v76, v73, s[0:3], 0 offen offset:4
	ds_read_b64 v[77:78], v74
	v_add_u32_e32 v0, 1, v0
	v_cmp_lt_u32_e32 vcc, 32, v0
	v_add_u32_e32 v74, 8, v74
	s_or_b64 s[6:7], vcc, s[6:7]
	v_add_u32_e32 v73, 8, v73
	s_waitcnt vmcnt(0) lgkmcnt(0)
	v_fma_f64 v[71:72], v[75:76], v[77:78], v[71:72]
	s_andn2_b64 exec, exec, s[6:7]
	s_cbranch_execnz .LBB34_665
; %bb.666:
	s_or_b64 exec, exec, s[6:7]
.LBB34_667:
	s_or_b64 exec, exec, s[4:5]
	v_mov_b32_e32 v0, 0
	ds_read_b64 v[73:74], v0 offset:272
	s_waitcnt lgkmcnt(0)
	v_mul_f64 v[71:72], v[71:72], v[73:74]
	buffer_store_dword v72, off, s[0:3], 0 offset:276
	buffer_store_dword v71, off, s[0:3], 0 offset:272
.LBB34_668:
	s_or_b64 exec, exec, s[8:9]
.LBB34_669:
	buffer_load_dword v71, off, s[0:3], 0
	buffer_load_dword v72, off, s[0:3], 0 offset:4
	buffer_load_dword v73, off, s[0:3], 0 offset:8
	;; [unrolled: 1-line block ×47, first 2 shown]
	s_waitcnt vmcnt(46)
	global_store_dwordx2 v[69:70], v[71:72], off
	buffer_load_dword v69, off, s[0:3], 0 offset:192
	s_nop 0
	buffer_load_dword v70, off, s[0:3], 0 offset:196
	buffer_load_dword v71, off, s[0:3], 0 offset:200
	;; [unrolled: 1-line block ×7, first 2 shown]
	s_waitcnt vmcnt(53)
	global_store_dwordx2 v[65:66], v[73:74], off
	s_waitcnt vmcnt(52)
	global_store_dwordx2 v[5:6], v[75:76], off
	buffer_load_dword v5, off, s[0:3], 0 offset:224
	s_nop 0
	buffer_load_dword v6, off, s[0:3], 0 offset:228
	buffer_load_dword v65, off, s[0:3], 0 offset:232
	;; [unrolled: 1-line block ×7, first 2 shown]
	s_waitcnt vmcnt(59)
	global_store_dwordx2 v[3:4], v[77:78], off
	buffer_load_dword v3, off, s[0:3], 0 offset:256
	s_nop 0
	buffer_load_dword v4, off, s[0:3], 0 offset:260
	buffer_load_dword v77, off, s[0:3], 0 offset:264
	;; [unrolled: 1-line block ×5, first 2 shown]
	s_waitcnt vmcnt(62)
	global_store_dwordx2 v[1:2], v[79:80], off
	global_store_dwordx2 v[7:8], v[81:82], off
	s_waitcnt vmcnt(62)
	global_store_dwordx2 v[9:10], v[83:84], off
	s_waitcnt vmcnt(61)
	;; [unrolled: 2-line block ×3, first 2 shown]
	global_store_dwordx2 v[13:14], v[87:88], off
	global_store_dwordx2 v[15:16], v[89:90], off
	;; [unrolled: 1-line block ×4, first 2 shown]
	s_waitcnt vmcnt(56)
	global_store_dwordx2 v[21:22], v[95:96], off
	s_waitcnt vmcnt(55)
	global_store_dwordx2 v[23:24], v[97:98], off
	;; [unrolled: 2-line block ×23, first 2 shown]
.LBB34_670:
	s_endpgm
	.section	.rodata,"a",@progbits
	.p2align	6, 0x0
	.amdhsa_kernel _ZN9rocsolver6v33100L18trti2_kernel_smallILi35EdPdEEv13rocblas_fill_17rocblas_diagonal_T1_iil
		.amdhsa_group_segment_fixed_size 568
		.amdhsa_private_segment_fixed_size 288
		.amdhsa_kernarg_size 32
		.amdhsa_user_sgpr_count 6
		.amdhsa_user_sgpr_private_segment_buffer 1
		.amdhsa_user_sgpr_dispatch_ptr 0
		.amdhsa_user_sgpr_queue_ptr 0
		.amdhsa_user_sgpr_kernarg_segment_ptr 1
		.amdhsa_user_sgpr_dispatch_id 0
		.amdhsa_user_sgpr_flat_scratch_init 0
		.amdhsa_user_sgpr_private_segment_size 0
		.amdhsa_uses_dynamic_stack 0
		.amdhsa_system_sgpr_private_segment_wavefront_offset 1
		.amdhsa_system_sgpr_workgroup_id_x 1
		.amdhsa_system_sgpr_workgroup_id_y 0
		.amdhsa_system_sgpr_workgroup_id_z 0
		.amdhsa_system_sgpr_workgroup_info 0
		.amdhsa_system_vgpr_workitem_id 0
		.amdhsa_next_free_vgpr 125
		.amdhsa_next_free_sgpr 48
		.amdhsa_reserve_vcc 1
		.amdhsa_reserve_flat_scratch 0
		.amdhsa_float_round_mode_32 0
		.amdhsa_float_round_mode_16_64 0
		.amdhsa_float_denorm_mode_32 3
		.amdhsa_float_denorm_mode_16_64 3
		.amdhsa_dx10_clamp 1
		.amdhsa_ieee_mode 1
		.amdhsa_fp16_overflow 0
		.amdhsa_exception_fp_ieee_invalid_op 0
		.amdhsa_exception_fp_denorm_src 0
		.amdhsa_exception_fp_ieee_div_zero 0
		.amdhsa_exception_fp_ieee_overflow 0
		.amdhsa_exception_fp_ieee_underflow 0
		.amdhsa_exception_fp_ieee_inexact 0
		.amdhsa_exception_int_div_zero 0
	.end_amdhsa_kernel
	.section	.text._ZN9rocsolver6v33100L18trti2_kernel_smallILi35EdPdEEv13rocblas_fill_17rocblas_diagonal_T1_iil,"axG",@progbits,_ZN9rocsolver6v33100L18trti2_kernel_smallILi35EdPdEEv13rocblas_fill_17rocblas_diagonal_T1_iil,comdat
.Lfunc_end34:
	.size	_ZN9rocsolver6v33100L18trti2_kernel_smallILi35EdPdEEv13rocblas_fill_17rocblas_diagonal_T1_iil, .Lfunc_end34-_ZN9rocsolver6v33100L18trti2_kernel_smallILi35EdPdEEv13rocblas_fill_17rocblas_diagonal_T1_iil
                                        ; -- End function
	.set _ZN9rocsolver6v33100L18trti2_kernel_smallILi35EdPdEEv13rocblas_fill_17rocblas_diagonal_T1_iil.num_vgpr, 125
	.set _ZN9rocsolver6v33100L18trti2_kernel_smallILi35EdPdEEv13rocblas_fill_17rocblas_diagonal_T1_iil.num_agpr, 0
	.set _ZN9rocsolver6v33100L18trti2_kernel_smallILi35EdPdEEv13rocblas_fill_17rocblas_diagonal_T1_iil.numbered_sgpr, 48
	.set _ZN9rocsolver6v33100L18trti2_kernel_smallILi35EdPdEEv13rocblas_fill_17rocblas_diagonal_T1_iil.num_named_barrier, 0
	.set _ZN9rocsolver6v33100L18trti2_kernel_smallILi35EdPdEEv13rocblas_fill_17rocblas_diagonal_T1_iil.private_seg_size, 288
	.set _ZN9rocsolver6v33100L18trti2_kernel_smallILi35EdPdEEv13rocblas_fill_17rocblas_diagonal_T1_iil.uses_vcc, 1
	.set _ZN9rocsolver6v33100L18trti2_kernel_smallILi35EdPdEEv13rocblas_fill_17rocblas_diagonal_T1_iil.uses_flat_scratch, 0
	.set _ZN9rocsolver6v33100L18trti2_kernel_smallILi35EdPdEEv13rocblas_fill_17rocblas_diagonal_T1_iil.has_dyn_sized_stack, 0
	.set _ZN9rocsolver6v33100L18trti2_kernel_smallILi35EdPdEEv13rocblas_fill_17rocblas_diagonal_T1_iil.has_recursion, 0
	.set _ZN9rocsolver6v33100L18trti2_kernel_smallILi35EdPdEEv13rocblas_fill_17rocblas_diagonal_T1_iil.has_indirect_call, 0
	.section	.AMDGPU.csdata,"",@progbits
; Kernel info:
; codeLenInByte = 20404
; TotalNumSgprs: 52
; NumVgprs: 125
; ScratchSize: 288
; MemoryBound: 0
; FloatMode: 240
; IeeeMode: 1
; LDSByteSize: 568 bytes/workgroup (compile time only)
; SGPRBlocks: 6
; VGPRBlocks: 31
; NumSGPRsForWavesPerEU: 52
; NumVGPRsForWavesPerEU: 125
; Occupancy: 2
; WaveLimiterHint : 0
; COMPUTE_PGM_RSRC2:SCRATCH_EN: 1
; COMPUTE_PGM_RSRC2:USER_SGPR: 6
; COMPUTE_PGM_RSRC2:TRAP_HANDLER: 0
; COMPUTE_PGM_RSRC2:TGID_X_EN: 1
; COMPUTE_PGM_RSRC2:TGID_Y_EN: 0
; COMPUTE_PGM_RSRC2:TGID_Z_EN: 0
; COMPUTE_PGM_RSRC2:TIDIG_COMP_CNT: 0
	.section	.text._ZN9rocsolver6v33100L18trti2_kernel_smallILi36EdPdEEv13rocblas_fill_17rocblas_diagonal_T1_iil,"axG",@progbits,_ZN9rocsolver6v33100L18trti2_kernel_smallILi36EdPdEEv13rocblas_fill_17rocblas_diagonal_T1_iil,comdat
	.globl	_ZN9rocsolver6v33100L18trti2_kernel_smallILi36EdPdEEv13rocblas_fill_17rocblas_diagonal_T1_iil ; -- Begin function _ZN9rocsolver6v33100L18trti2_kernel_smallILi36EdPdEEv13rocblas_fill_17rocblas_diagonal_T1_iil
	.p2align	8
	.type	_ZN9rocsolver6v33100L18trti2_kernel_smallILi36EdPdEEv13rocblas_fill_17rocblas_diagonal_T1_iil,@function
_ZN9rocsolver6v33100L18trti2_kernel_smallILi36EdPdEEv13rocblas_fill_17rocblas_diagonal_T1_iil: ; @_ZN9rocsolver6v33100L18trti2_kernel_smallILi36EdPdEEv13rocblas_fill_17rocblas_diagonal_T1_iil
; %bb.0:
	s_add_u32 s0, s0, s7
	s_addc_u32 s1, s1, 0
	v_cmp_gt_u32_e32 vcc, 36, v0
	s_and_saveexec_b64 s[8:9], vcc
	s_cbranch_execz .LBB35_690
; %bb.1:
	s_load_dwordx8 s[8:15], s[4:5], 0x0
	s_ashr_i32 s7, s6, 31
	v_lshlrev_b32_e32 v75, 3, v0
	s_waitcnt lgkmcnt(0)
	s_ashr_i32 s5, s12, 31
	s_mov_b32 s4, s12
	s_mul_hi_u32 s12, s14, s6
	s_mul_i32 s7, s14, s7
	s_add_i32 s7, s12, s7
	s_mul_i32 s12, s15, s6
	s_add_i32 s7, s7, s12
	s_mul_i32 s6, s14, s6
	s_lshl_b64 s[6:7], s[6:7], 3
	s_add_u32 s6, s10, s6
	s_addc_u32 s7, s11, s7
	s_lshl_b64 s[4:5], s[4:5], 3
	s_add_u32 s4, s6, s4
	s_addc_u32 s5, s7, s5
	s_add_i32 s6, s13, s13
	v_add_u32_e32 v1, s6, v0
	v_ashrrev_i32_e32 v2, 31, v1
	v_lshlrev_b64 v[2:3], 3, v[1:2]
	v_mov_b32_e32 v4, s5
	v_add_co_u32_e32 v5, vcc, s4, v2
	v_addc_co_u32_e32 v6, vcc, v4, v3, vcc
	v_add_u32_e32 v3, s13, v1
	v_ashrrev_i32_e32 v4, 31, v3
	v_lshlrev_b64 v[1:2], 3, v[3:4]
	v_mov_b32_e32 v4, s5
	v_add_co_u32_e32 v1, vcc, s4, v1
	v_add_u32_e32 v3, s13, v3
	v_addc_co_u32_e32 v2, vcc, v4, v2, vcc
	v_ashrrev_i32_e32 v4, 31, v3
	v_lshlrev_b64 v[7:8], 3, v[3:4]
	v_add_u32_e32 v9, s13, v3
	v_mov_b32_e32 v4, s5
	v_add_co_u32_e32 v7, vcc, s4, v7
	v_ashrrev_i32_e32 v10, 31, v9
	v_addc_co_u32_e32 v8, vcc, v4, v8, vcc
	v_lshlrev_b64 v[3:4], 3, v[9:10]
	v_add_u32_e32 v11, s13, v9
	v_mov_b32_e32 v10, s5
	v_add_co_u32_e32 v3, vcc, s4, v3
	v_ashrrev_i32_e32 v12, 31, v11
	v_addc_co_u32_e32 v4, vcc, v10, v4, vcc
	;; [unrolled: 6-line block ×6, first 2 shown]
	v_lshlrev_b64 v[17:18], 3, v[19:20]
	v_mov_b32_e32 v21, s5
	v_add_co_u32_e32 v17, vcc, s4, v17
	v_addc_co_u32_e32 v18, vcc, v21, v18, vcc
	v_add_u32_e32 v21, s13, v19
	v_ashrrev_i32_e32 v22, 31, v21
	v_lshlrev_b64 v[19:20], 3, v[21:22]
	v_mov_b32_e32 v23, s5
	v_add_co_u32_e32 v19, vcc, s4, v19
	v_addc_co_u32_e32 v20, vcc, v23, v20, vcc
	v_add_u32_e32 v23, s13, v21
	v_ashrrev_i32_e32 v24, 31, v23
	;; [unrolled: 6-line block ×17, first 2 shown]
	v_lshlrev_b64 v[51:52], 3, v[53:54]
	v_mov_b32_e32 v55, s5
	v_add_co_u32_e32 v51, vcc, s4, v51
	v_addc_co_u32_e32 v52, vcc, v55, v52, vcc
	v_add_u32_e32 v55, s13, v53
	global_load_dwordx2 v[73:74], v75, s[4:5]
	v_mov_b32_e32 v53, s5
	v_add_co_u32_e32 v71, vcc, s4, v75
	s_ashr_i32 s7, s13, 31
	s_mov_b32 s6, s13
	v_addc_co_u32_e32 v72, vcc, 0, v53, vcc
	s_lshl_b64 s[6:7], s[6:7], 3
	v_mov_b32_e32 v53, s7
	v_add_co_u32_e32 v69, vcc, s6, v71
	v_addc_co_u32_e32 v70, vcc, v72, v53, vcc
	global_load_dwordx2 v[76:77], v[69:70], off
	global_load_dwordx2 v[78:79], v[5:6], off
	;; [unrolled: 1-line block ×10, first 2 shown]
	v_ashrrev_i32_e32 v56, 31, v55
	v_lshlrev_b64 v[53:54], 3, v[55:56]
	v_mov_b32_e32 v57, s5
	v_add_co_u32_e32 v53, vcc, s4, v53
	v_addc_co_u32_e32 v54, vcc, v57, v54, vcc
	v_add_u32_e32 v57, s13, v55
	v_ashrrev_i32_e32 v58, 31, v57
	v_lshlrev_b64 v[55:56], 3, v[57:58]
	v_mov_b32_e32 v59, s5
	v_add_co_u32_e32 v55, vcc, s4, v55
	v_addc_co_u32_e32 v56, vcc, v59, v56, vcc
	v_add_u32_e32 v59, s13, v57
	;; [unrolled: 6-line block ×6, first 2 shown]
	v_ashrrev_i32_e32 v68, 31, v67
	v_lshlrev_b64 v[65:66], 3, v[67:68]
	v_add_u32_e32 v67, s13, v67
	v_ashrrev_i32_e32 v68, 31, v67
	v_mov_b32_e32 v96, s5
	v_add_co_u32_e32 v65, vcc, s4, v65
	v_lshlrev_b64 v[67:68], 3, v[67:68]
	v_addc_co_u32_e32 v66, vcc, v96, v66, vcc
	v_add_co_u32_e32 v67, vcc, s4, v67
	v_addc_co_u32_e32 v68, vcc, v96, v68, vcc
	global_load_dwordx2 v[96:97], v[19:20], off
	global_load_dwordx2 v[98:99], v[67:68], off
	;; [unrolled: 1-line block ×14, first 2 shown]
	s_cmpk_lg_i32 s9, 0x84
	s_waitcnt vmcnt(24)
	buffer_store_dword v74, off, s[0:3], 0 offset:4
	buffer_store_dword v73, off, s[0:3], 0
	global_load_dwordx2 v[73:74], v[25:26], off
	s_cselect_b64 s[10:11], -1, 0
	s_waitcnt vmcnt(26)
	buffer_store_dword v77, off, s[0:3], 0 offset:12
	buffer_store_dword v76, off, s[0:3], 0 offset:8
	global_load_dwordx2 v[76:77], v[29:30], off
	s_cmpk_eq_i32 s9, 0x84
	s_waitcnt vmcnt(28)
	buffer_store_dword v79, off, s[0:3], 0 offset:20
	buffer_store_dword v78, off, s[0:3], 0 offset:16
	global_load_dwordx2 v[78:79], v[33:34], off
	s_waitcnt vmcnt(30)
	buffer_store_dword v81, off, s[0:3], 0 offset:28
	buffer_store_dword v80, off, s[0:3], 0 offset:24
	global_load_dwordx2 v[80:81], v[37:38], off
	;; [unrolled: 4-line block ×4, first 2 shown]
	s_nop 0
	buffer_store_dword v87, off, s[0:3], 0 offset:52
	buffer_store_dword v86, off, s[0:3], 0 offset:48
	global_load_dwordx2 v[86:87], v[49:50], off
	s_nop 0
	buffer_store_dword v89, off, s[0:3], 0 offset:60
	buffer_store_dword v88, off, s[0:3], 0 offset:56
	global_load_dwordx2 v[88:89], v[53:54], off
	s_waitcnt vmcnt(40)
	buffer_store_dword v91, off, s[0:3], 0 offset:68
	buffer_store_dword v90, off, s[0:3], 0 offset:64
	global_load_dwordx2 v[90:91], v[57:58], off
	s_waitcnt vmcnt(42)
	;; [unrolled: 4-line block ×4, first 2 shown]
	buffer_store_dword v96, off, s[0:3], 0 offset:88
	buffer_store_dword v97, off, s[0:3], 0 offset:92
	s_waitcnt vmcnt(46)
	buffer_store_dword v100, off, s[0:3], 0 offset:96
	buffer_store_dword v101, off, s[0:3], 0 offset:100
	s_waitcnt vmcnt(47)
	;; [unrolled: 3-line block ×3, first 2 shown]
	buffer_store_dword v74, off, s[0:3], 0 offset:116
	buffer_store_dword v73, off, s[0:3], 0 offset:112
	buffer_store_dword v104, off, s[0:3], 0 offset:120
	buffer_store_dword v105, off, s[0:3], 0 offset:124
	s_waitcnt vmcnt(37)
	buffer_store_dword v76, off, s[0:3], 0 offset:128
	buffer_store_dword v77, off, s[0:3], 0 offset:132
	buffer_store_dword v106, off, s[0:3], 0 offset:136
	buffer_store_dword v107, off, s[0:3], 0 offset:140
	s_waitcnt vmcnt(38)
	;; [unrolled: 5-line block ×10, first 2 shown]
	buffer_store_dword v94, off, s[0:3], 0 offset:272
	buffer_store_dword v95, off, s[0:3], 0 offset:276
	;; [unrolled: 1-line block ×3, first 2 shown]
	v_mov_b32_e32 v73, 0
	v_mov_b32_e32 v74, 0xbff00000
	buffer_store_dword v99, off, s[0:3], 0 offset:284
	s_cbranch_scc1 .LBB35_3
; %bb.2:
	v_mov_b32_e32 v73, 0
	v_lshl_add_u32 v84, v0, 3, v73
	buffer_load_dword v73, v84, s[0:3], 0 offen
	buffer_load_dword v74, v84, s[0:3], 0 offen offset:4
	s_waitcnt vmcnt(0)
	v_div_scale_f64 v[76:77], s[4:5], v[73:74], v[73:74], 1.0
	v_rcp_f64_e32 v[78:79], v[76:77]
	v_fma_f64 v[80:81], -v[76:77], v[78:79], 1.0
	v_fma_f64 v[78:79], v[78:79], v[80:81], v[78:79]
	v_div_scale_f64 v[80:81], vcc, 1.0, v[73:74], 1.0
	v_fma_f64 v[82:83], -v[76:77], v[78:79], 1.0
	v_fma_f64 v[78:79], v[78:79], v[82:83], v[78:79]
	v_mul_f64 v[82:83], v[80:81], v[78:79]
	v_fma_f64 v[76:77], -v[76:77], v[82:83], v[80:81]
	v_div_fmas_f64 v[76:77], v[76:77], v[78:79], v[82:83]
	v_div_fixup_f64 v[73:74], v[76:77], v[73:74], 1.0
	buffer_store_dword v73, v84, s[0:3], 0 offen
	buffer_store_dword v74, v84, s[0:3], 0 offen offset:4
	v_xor_b32_e32 v74, 0x80000000, v74
.LBB35_3:
	s_cmpk_eq_i32 s8, 0x79
	v_add_u32_e32 v76, 0x120, v75
	v_mov_b32_e32 v77, v75
	s_mov_b64 s[4:5], -1
	ds_write_b64 v75, v[73:74]
	s_cbranch_scc1 .LBB35_347
; %bb.4:
	buffer_load_dword v73, off, s[0:3], 0 offset:272
	buffer_load_dword v74, off, s[0:3], 0 offset:276
	s_movk_i32 s12, 0x48
	s_movk_i32 s13, 0x50
	;; [unrolled: 1-line block ×25, first 2 shown]
	v_cmp_eq_u32_e64 s[4:5], 35, v0
	s_waitcnt vmcnt(0)
	ds_write_b64 v76, v[73:74]
	s_waitcnt lgkmcnt(0)
	; wave barrier
	s_and_saveexec_b64 s[6:7], s[4:5]
	s_cbranch_execz .LBB35_10
; %bb.5:
	s_and_b64 vcc, exec, s[10:11]
	s_cbranch_vccz .LBB35_7
; %bb.6:
	buffer_load_dword v73, v77, s[0:3], 0 offen
	buffer_load_dword v74, v77, s[0:3], 0 offen offset:4
	ds_read_b64 v[78:79], v76
	s_waitcnt vmcnt(0) lgkmcnt(0)
	v_mul_f64 v[73:74], v[73:74], v[78:79]
	s_cbranch_execz .LBB35_8
	s_branch .LBB35_9
.LBB35_7:
                                        ; implicit-def: $vgpr73_vgpr74
.LBB35_8:
	ds_read_b64 v[73:74], v76
.LBB35_9:
	v_mov_b32_e32 v78, 0
	ds_read_b64 v[78:79], v78 offset:272
	s_waitcnt lgkmcnt(0)
	v_mul_f64 v[73:74], v[73:74], v[78:79]
	buffer_store_dword v74, off, s[0:3], 0 offset:276
	buffer_store_dword v73, off, s[0:3], 0 offset:272
.LBB35_10:
	s_or_b64 exec, exec, s[6:7]
	buffer_load_dword v73, off, s[0:3], 0 offset:264
	buffer_load_dword v74, off, s[0:3], 0 offset:268
	s_or_b32 s14, 0, 8
	s_mov_b32 s15, 16
	s_mov_b32 s16, 24
	s_mov_b32 s17, 32
	s_mov_b32 s18, 40
	s_mov_b32 s19, 48
	s_mov_b32 s20, 56
	s_mov_b32 s21, 64
	s_mov_b32 s22, s12
	s_mov_b32 s23, s13
	v_cmp_lt_u32_e64 s[6:7], 33, v0
	s_waitcnt vmcnt(0)
	ds_write_b64 v76, v[73:74]
	s_waitcnt lgkmcnt(0)
	; wave barrier
	s_and_saveexec_b64 s[8:9], s[6:7]
	s_cbranch_execz .LBB35_16
; %bb.11:
	s_andn2_b64 vcc, exec, s[10:11]
	s_cbranch_vccnz .LBB35_13
; %bb.12:
	buffer_load_dword v73, v77, s[0:3], 0 offen
	buffer_load_dword v74, v77, s[0:3], 0 offen offset:4
	ds_read_b64 v[78:79], v76
	s_waitcnt vmcnt(0) lgkmcnt(0)
	v_mul_f64 v[73:74], v[73:74], v[78:79]
	s_cbranch_execz .LBB35_14
	s_branch .LBB35_15
.LBB35_13:
                                        ; implicit-def: $vgpr73_vgpr74
.LBB35_14:
	ds_read_b64 v[73:74], v76
.LBB35_15:
	buffer_load_dword v82, off, s[0:3], 0 offset:272
	buffer_load_dword v83, off, s[0:3], 0 offset:276
	v_mov_b32_e32 v78, 0
	ds_read2_b64 v[78:81], v78 offset0:33 offset1:70
	s_waitcnt vmcnt(0) lgkmcnt(0)
	v_fma_f64 v[80:81], v[82:83], v[80:81], v[73:74]
	v_cndmask_b32_e64 v74, v74, v81, s[4:5]
	v_cndmask_b32_e64 v73, v73, v80, s[4:5]
	v_mul_f64 v[73:74], v[73:74], v[78:79]
	buffer_store_dword v74, off, s[0:3], 0 offset:268
	buffer_store_dword v73, off, s[0:3], 0 offset:264
.LBB35_16:
	s_or_b64 exec, exec, s[8:9]
	buffer_load_dword v73, off, s[0:3], 0 offset:256
	buffer_load_dword v74, off, s[0:3], 0 offset:260
	v_cmp_lt_u32_e64 s[4:5], 32, v0
	s_waitcnt vmcnt(0)
	ds_write_b64 v76, v[73:74]
	s_waitcnt lgkmcnt(0)
	; wave barrier
	s_and_saveexec_b64 s[8:9], s[4:5]
	s_cbranch_execz .LBB35_26
; %bb.17:
	s_andn2_b64 vcc, exec, s[10:11]
	s_cbranch_vccnz .LBB35_19
; %bb.18:
	buffer_load_dword v73, v77, s[0:3], 0 offen
	buffer_load_dword v74, v77, s[0:3], 0 offen offset:4
	ds_read_b64 v[78:79], v76
	s_waitcnt vmcnt(0) lgkmcnt(0)
	v_mul_f64 v[73:74], v[73:74], v[78:79]
	s_cbranch_execz .LBB35_20
	s_branch .LBB35_21
.LBB35_19:
                                        ; implicit-def: $vgpr73_vgpr74
.LBB35_20:
	ds_read_b64 v[73:74], v76
.LBB35_21:
	s_and_saveexec_b64 s[12:13], s[6:7]
	s_cbranch_execz .LBB35_25
; %bb.22:
	v_subrev_u32_e32 v78, 33, v0
	s_movk_i32 s48, 0x228
	s_mov_b64 s[6:7], 0
.LBB35_23:                              ; =>This Inner Loop Header: Depth=1
	v_mov_b32_e32 v81, s47
	buffer_load_dword v79, v81, s[0:3], 0 offen
	buffer_load_dword v80, v81, s[0:3], 0 offen offset:4
	v_mov_b32_e32 v81, s48
	ds_read_b64 v[81:82], v81
	v_add_u32_e32 v78, -1, v78
	s_add_i32 s48, s48, 8
	s_add_i32 s47, s47, 8
	v_cmp_eq_u32_e32 vcc, 0, v78
	s_or_b64 s[6:7], vcc, s[6:7]
	s_waitcnt vmcnt(0) lgkmcnt(0)
	v_fma_f64 v[73:74], v[79:80], v[81:82], v[73:74]
	s_andn2_b64 exec, exec, s[6:7]
	s_cbranch_execnz .LBB35_23
; %bb.24:
	s_or_b64 exec, exec, s[6:7]
.LBB35_25:
	s_or_b64 exec, exec, s[12:13]
	v_mov_b32_e32 v78, 0
	ds_read_b64 v[78:79], v78 offset:256
	s_waitcnt lgkmcnt(0)
	v_mul_f64 v[73:74], v[73:74], v[78:79]
	buffer_store_dword v74, off, s[0:3], 0 offset:260
	buffer_store_dword v73, off, s[0:3], 0 offset:256
.LBB35_26:
	s_or_b64 exec, exec, s[8:9]
	buffer_load_dword v73, off, s[0:3], 0 offset:248
	buffer_load_dword v74, off, s[0:3], 0 offset:252
	v_cmp_lt_u32_e64 s[6:7], 31, v0
	s_waitcnt vmcnt(0)
	ds_write_b64 v76, v[73:74]
	s_waitcnt lgkmcnt(0)
	; wave barrier
	s_and_saveexec_b64 s[8:9], s[6:7]
	s_cbranch_execz .LBB35_36
; %bb.27:
	s_andn2_b64 vcc, exec, s[10:11]
	s_cbranch_vccnz .LBB35_29
; %bb.28:
	buffer_load_dword v73, v77, s[0:3], 0 offen
	buffer_load_dword v74, v77, s[0:3], 0 offen offset:4
	ds_read_b64 v[78:79], v76
	s_waitcnt vmcnt(0) lgkmcnt(0)
	v_mul_f64 v[73:74], v[73:74], v[78:79]
	s_cbranch_execz .LBB35_30
	s_branch .LBB35_31
.LBB35_29:
                                        ; implicit-def: $vgpr73_vgpr74
.LBB35_30:
	ds_read_b64 v[73:74], v76
.LBB35_31:
	s_and_saveexec_b64 s[12:13], s[4:5]
	s_cbranch_execz .LBB35_35
; %bb.32:
	v_subrev_u32_e32 v78, 32, v0
	s_movk_i32 s47, 0x220
	s_mov_b64 s[4:5], 0
.LBB35_33:                              ; =>This Inner Loop Header: Depth=1
	v_mov_b32_e32 v81, s46
	buffer_load_dword v79, v81, s[0:3], 0 offen
	buffer_load_dword v80, v81, s[0:3], 0 offen offset:4
	v_mov_b32_e32 v81, s47
	ds_read_b64 v[81:82], v81
	v_add_u32_e32 v78, -1, v78
	s_add_i32 s47, s47, 8
	s_add_i32 s46, s46, 8
	v_cmp_eq_u32_e32 vcc, 0, v78
	s_or_b64 s[4:5], vcc, s[4:5]
	s_waitcnt vmcnt(0) lgkmcnt(0)
	v_fma_f64 v[73:74], v[79:80], v[81:82], v[73:74]
	s_andn2_b64 exec, exec, s[4:5]
	s_cbranch_execnz .LBB35_33
; %bb.34:
	s_or_b64 exec, exec, s[4:5]
.LBB35_35:
	s_or_b64 exec, exec, s[12:13]
	v_mov_b32_e32 v78, 0
	ds_read_b64 v[78:79], v78 offset:248
	s_waitcnt lgkmcnt(0)
	v_mul_f64 v[73:74], v[73:74], v[78:79]
	buffer_store_dword v74, off, s[0:3], 0 offset:252
	buffer_store_dword v73, off, s[0:3], 0 offset:248
.LBB35_36:
	;; [unrolled: 58-line block ×8, first 2 shown]
	s_or_b64 exec, exec, s[8:9]
	buffer_load_dword v73, off, s[0:3], 0 offset:192
	buffer_load_dword v74, off, s[0:3], 0 offset:196
	v_cmp_lt_u32_e64 s[4:5], 24, v0
	s_waitcnt vmcnt(0)
	ds_write_b64 v76, v[73:74]
	s_waitcnt lgkmcnt(0)
	; wave barrier
	s_and_saveexec_b64 s[8:9], s[4:5]
	s_cbranch_execz .LBB35_106
; %bb.97:
	s_andn2_b64 vcc, exec, s[10:11]
	s_cbranch_vccnz .LBB35_99
; %bb.98:
	buffer_load_dword v73, v77, s[0:3], 0 offen
	buffer_load_dword v74, v77, s[0:3], 0 offen offset:4
	ds_read_b64 v[78:79], v76
	s_waitcnt vmcnt(0) lgkmcnt(0)
	v_mul_f64 v[73:74], v[73:74], v[78:79]
	s_cbranch_execz .LBB35_100
	s_branch .LBB35_101
.LBB35_99:
                                        ; implicit-def: $vgpr73_vgpr74
.LBB35_100:
	ds_read_b64 v[73:74], v76
.LBB35_101:
	s_and_saveexec_b64 s[12:13], s[6:7]
	s_cbranch_execz .LBB35_105
; %bb.102:
	v_subrev_u32_e32 v78, 25, v0
	s_movk_i32 s40, 0x1e8
	s_mov_b64 s[6:7], 0
.LBB35_103:                             ; =>This Inner Loop Header: Depth=1
	v_mov_b32_e32 v81, s39
	buffer_load_dword v79, v81, s[0:3], 0 offen
	buffer_load_dword v80, v81, s[0:3], 0 offen offset:4
	v_mov_b32_e32 v81, s40
	ds_read_b64 v[81:82], v81
	v_add_u32_e32 v78, -1, v78
	s_add_i32 s40, s40, 8
	s_add_i32 s39, s39, 8
	v_cmp_eq_u32_e32 vcc, 0, v78
	s_or_b64 s[6:7], vcc, s[6:7]
	s_waitcnt vmcnt(0) lgkmcnt(0)
	v_fma_f64 v[73:74], v[79:80], v[81:82], v[73:74]
	s_andn2_b64 exec, exec, s[6:7]
	s_cbranch_execnz .LBB35_103
; %bb.104:
	s_or_b64 exec, exec, s[6:7]
.LBB35_105:
	s_or_b64 exec, exec, s[12:13]
	v_mov_b32_e32 v78, 0
	ds_read_b64 v[78:79], v78 offset:192
	s_waitcnt lgkmcnt(0)
	v_mul_f64 v[73:74], v[73:74], v[78:79]
	buffer_store_dword v74, off, s[0:3], 0 offset:196
	buffer_store_dword v73, off, s[0:3], 0 offset:192
.LBB35_106:
	s_or_b64 exec, exec, s[8:9]
	buffer_load_dword v73, off, s[0:3], 0 offset:184
	buffer_load_dword v74, off, s[0:3], 0 offset:188
	v_cmp_lt_u32_e64 s[6:7], 23, v0
	s_waitcnt vmcnt(0)
	ds_write_b64 v76, v[73:74]
	s_waitcnt lgkmcnt(0)
	; wave barrier
	s_and_saveexec_b64 s[8:9], s[6:7]
	s_cbranch_execz .LBB35_116
; %bb.107:
	s_andn2_b64 vcc, exec, s[10:11]
	s_cbranch_vccnz .LBB35_109
; %bb.108:
	buffer_load_dword v73, v77, s[0:3], 0 offen
	buffer_load_dword v74, v77, s[0:3], 0 offen offset:4
	ds_read_b64 v[78:79], v76
	s_waitcnt vmcnt(0) lgkmcnt(0)
	v_mul_f64 v[73:74], v[73:74], v[78:79]
	s_cbranch_execz .LBB35_110
	s_branch .LBB35_111
.LBB35_109:
                                        ; implicit-def: $vgpr73_vgpr74
.LBB35_110:
	ds_read_b64 v[73:74], v76
.LBB35_111:
	s_and_saveexec_b64 s[12:13], s[4:5]
	s_cbranch_execz .LBB35_115
; %bb.112:
	v_subrev_u32_e32 v78, 24, v0
	s_movk_i32 s39, 0x1e0
	s_mov_b64 s[4:5], 0
.LBB35_113:                             ; =>This Inner Loop Header: Depth=1
	v_mov_b32_e32 v81, s38
	buffer_load_dword v79, v81, s[0:3], 0 offen
	buffer_load_dword v80, v81, s[0:3], 0 offen offset:4
	v_mov_b32_e32 v81, s39
	ds_read_b64 v[81:82], v81
	v_add_u32_e32 v78, -1, v78
	s_add_i32 s39, s39, 8
	s_add_i32 s38, s38, 8
	v_cmp_eq_u32_e32 vcc, 0, v78
	s_or_b64 s[4:5], vcc, s[4:5]
	s_waitcnt vmcnt(0) lgkmcnt(0)
	v_fma_f64 v[73:74], v[79:80], v[81:82], v[73:74]
	s_andn2_b64 exec, exec, s[4:5]
	s_cbranch_execnz .LBB35_113
; %bb.114:
	s_or_b64 exec, exec, s[4:5]
.LBB35_115:
	s_or_b64 exec, exec, s[12:13]
	v_mov_b32_e32 v78, 0
	ds_read_b64 v[78:79], v78 offset:184
	s_waitcnt lgkmcnt(0)
	v_mul_f64 v[73:74], v[73:74], v[78:79]
	buffer_store_dword v74, off, s[0:3], 0 offset:188
	buffer_store_dword v73, off, s[0:3], 0 offset:184
.LBB35_116:
	;; [unrolled: 58-line block ×9, first 2 shown]
	s_or_b64 exec, exec, s[8:9]
	buffer_load_dword v73, off, s[0:3], 0 offset:120
	buffer_load_dword v74, off, s[0:3], 0 offset:124
	v_cmp_lt_u32_e64 s[6:7], 15, v0
	s_waitcnt vmcnt(0)
	ds_write_b64 v76, v[73:74]
	s_waitcnt lgkmcnt(0)
	; wave barrier
	s_and_saveexec_b64 s[8:9], s[6:7]
	s_cbranch_execz .LBB35_196
; %bb.187:
	s_andn2_b64 vcc, exec, s[10:11]
	s_cbranch_vccnz .LBB35_189
; %bb.188:
	buffer_load_dword v73, v77, s[0:3], 0 offen
	buffer_load_dword v74, v77, s[0:3], 0 offen offset:4
	ds_read_b64 v[78:79], v76
	s_waitcnt vmcnt(0) lgkmcnt(0)
	v_mul_f64 v[73:74], v[73:74], v[78:79]
	s_cbranch_execz .LBB35_190
	s_branch .LBB35_191
.LBB35_189:
                                        ; implicit-def: $vgpr73_vgpr74
.LBB35_190:
	ds_read_b64 v[73:74], v76
.LBB35_191:
	s_and_saveexec_b64 s[12:13], s[4:5]
	s_cbranch_execz .LBB35_195
; %bb.192:
	v_add_u32_e32 v78, -16, v0
	s_movk_i32 s30, 0x1a0
	s_mov_b64 s[4:5], 0
.LBB35_193:                             ; =>This Inner Loop Header: Depth=1
	v_mov_b32_e32 v81, s29
	buffer_load_dword v79, v81, s[0:3], 0 offen
	buffer_load_dword v80, v81, s[0:3], 0 offen offset:4
	v_mov_b32_e32 v81, s30
	ds_read_b64 v[81:82], v81
	v_add_u32_e32 v78, -1, v78
	s_add_i32 s30, s30, 8
	s_add_i32 s29, s29, 8
	v_cmp_eq_u32_e32 vcc, 0, v78
	s_or_b64 s[4:5], vcc, s[4:5]
	s_waitcnt vmcnt(0) lgkmcnt(0)
	v_fma_f64 v[73:74], v[79:80], v[81:82], v[73:74]
	s_andn2_b64 exec, exec, s[4:5]
	s_cbranch_execnz .LBB35_193
; %bb.194:
	s_or_b64 exec, exec, s[4:5]
.LBB35_195:
	s_or_b64 exec, exec, s[12:13]
	v_mov_b32_e32 v78, 0
	ds_read_b64 v[78:79], v78 offset:120
	s_waitcnt lgkmcnt(0)
	v_mul_f64 v[73:74], v[73:74], v[78:79]
	buffer_store_dword v74, off, s[0:3], 0 offset:124
	buffer_store_dword v73, off, s[0:3], 0 offset:120
.LBB35_196:
	s_or_b64 exec, exec, s[8:9]
	buffer_load_dword v73, off, s[0:3], 0 offset:112
	buffer_load_dword v74, off, s[0:3], 0 offset:116
	v_cmp_lt_u32_e64 s[4:5], 14, v0
	s_waitcnt vmcnt(0)
	ds_write_b64 v76, v[73:74]
	s_waitcnt lgkmcnt(0)
	; wave barrier
	s_and_saveexec_b64 s[8:9], s[4:5]
	s_cbranch_execz .LBB35_206
; %bb.197:
	s_andn2_b64 vcc, exec, s[10:11]
	s_cbranch_vccnz .LBB35_199
; %bb.198:
	buffer_load_dword v73, v77, s[0:3], 0 offen
	buffer_load_dword v74, v77, s[0:3], 0 offen offset:4
	ds_read_b64 v[78:79], v76
	s_waitcnt vmcnt(0) lgkmcnt(0)
	v_mul_f64 v[73:74], v[73:74], v[78:79]
	s_cbranch_execz .LBB35_200
	s_branch .LBB35_201
.LBB35_199:
                                        ; implicit-def: $vgpr73_vgpr74
.LBB35_200:
	ds_read_b64 v[73:74], v76
.LBB35_201:
	s_and_saveexec_b64 s[12:13], s[6:7]
	s_cbranch_execz .LBB35_205
; %bb.202:
	v_add_u32_e32 v78, -15, v0
	s_movk_i32 s29, 0x198
	s_mov_b64 s[6:7], 0
.LBB35_203:                             ; =>This Inner Loop Header: Depth=1
	v_mov_b32_e32 v81, s28
	buffer_load_dword v79, v81, s[0:3], 0 offen
	buffer_load_dword v80, v81, s[0:3], 0 offen offset:4
	v_mov_b32_e32 v81, s29
	ds_read_b64 v[81:82], v81
	v_add_u32_e32 v78, -1, v78
	s_add_i32 s29, s29, 8
	s_add_i32 s28, s28, 8
	v_cmp_eq_u32_e32 vcc, 0, v78
	s_or_b64 s[6:7], vcc, s[6:7]
	s_waitcnt vmcnt(0) lgkmcnt(0)
	v_fma_f64 v[73:74], v[79:80], v[81:82], v[73:74]
	s_andn2_b64 exec, exec, s[6:7]
	s_cbranch_execnz .LBB35_203
; %bb.204:
	s_or_b64 exec, exec, s[6:7]
.LBB35_205:
	s_or_b64 exec, exec, s[12:13]
	v_mov_b32_e32 v78, 0
	ds_read_b64 v[78:79], v78 offset:112
	s_waitcnt lgkmcnt(0)
	v_mul_f64 v[73:74], v[73:74], v[78:79]
	buffer_store_dword v74, off, s[0:3], 0 offset:116
	buffer_store_dword v73, off, s[0:3], 0 offset:112
.LBB35_206:
	;; [unrolled: 58-line block ×15, first 2 shown]
	s_or_b64 exec, exec, s[8:9]
	buffer_load_dword v73, off, s[0:3], 0
	buffer_load_dword v74, off, s[0:3], 0 offset:4
	v_cmp_ne_u32_e32 vcc, 0, v0
	s_waitcnt vmcnt(0)
	ds_write_b64 v76, v[73:74]
	s_waitcnt lgkmcnt(0)
	; wave barrier
	s_and_saveexec_b64 s[4:5], vcc
	s_cbranch_execz .LBB35_346
; %bb.337:
	s_andn2_b64 vcc, exec, s[10:11]
	s_cbranch_vccnz .LBB35_339
; %bb.338:
	buffer_load_dword v73, v77, s[0:3], 0 offen
	buffer_load_dword v74, v77, s[0:3], 0 offen offset:4
	ds_read_b64 v[78:79], v76
	s_waitcnt vmcnt(0) lgkmcnt(0)
	v_mul_f64 v[73:74], v[73:74], v[78:79]
	s_cbranch_execz .LBB35_340
	s_branch .LBB35_341
.LBB35_339:
                                        ; implicit-def: $vgpr73_vgpr74
.LBB35_340:
	ds_read_b64 v[73:74], v76
.LBB35_341:
	s_and_saveexec_b64 s[8:9], s[6:7]
	s_cbranch_execz .LBB35_345
; %bb.342:
	v_add_u32_e32 v78, -1, v0
	s_movk_i32 s12, 0x128
	s_mov_b64 s[6:7], 0
.LBB35_343:                             ; =>This Inner Loop Header: Depth=1
	v_mov_b32_e32 v81, s14
	buffer_load_dword v79, v81, s[0:3], 0 offen
	buffer_load_dword v80, v81, s[0:3], 0 offen offset:4
	v_mov_b32_e32 v81, s12
	ds_read_b64 v[81:82], v81
	v_add_u32_e32 v78, -1, v78
	s_add_i32 s12, s12, 8
	s_add_i32 s14, s14, 8
	v_cmp_eq_u32_e32 vcc, 0, v78
	s_or_b64 s[6:7], vcc, s[6:7]
	s_waitcnt vmcnt(0) lgkmcnt(0)
	v_fma_f64 v[73:74], v[79:80], v[81:82], v[73:74]
	s_andn2_b64 exec, exec, s[6:7]
	s_cbranch_execnz .LBB35_343
; %bb.344:
	s_or_b64 exec, exec, s[6:7]
.LBB35_345:
	s_or_b64 exec, exec, s[8:9]
	v_mov_b32_e32 v78, 0
	ds_read_b64 v[78:79], v78
	s_waitcnt lgkmcnt(0)
	v_mul_f64 v[73:74], v[73:74], v[78:79]
	buffer_store_dword v74, off, s[0:3], 0 offset:4
	buffer_store_dword v73, off, s[0:3], 0
.LBB35_346:
	s_or_b64 exec, exec, s[4:5]
	s_mov_b64 s[4:5], 0
.LBB35_347:
	s_and_b64 vcc, exec, s[4:5]
	s_cbranch_vccz .LBB35_689
; %bb.348:
	buffer_load_dword v73, off, s[0:3], 0 offset:8
	buffer_load_dword v74, off, s[0:3], 0 offset:12
	v_cmp_eq_u32_e64 s[6:7], 0, v0
	s_waitcnt vmcnt(0)
	ds_write_b64 v76, v[73:74]
	s_waitcnt lgkmcnt(0)
	; wave barrier
	s_and_saveexec_b64 s[4:5], s[6:7]
	s_cbranch_execz .LBB35_354
; %bb.349:
	s_and_b64 vcc, exec, s[10:11]
	s_cbranch_vccz .LBB35_351
; %bb.350:
	buffer_load_dword v73, v77, s[0:3], 0 offen
	buffer_load_dword v74, v77, s[0:3], 0 offen offset:4
	ds_read_b64 v[78:79], v76
	s_waitcnt vmcnt(0) lgkmcnt(0)
	v_mul_f64 v[73:74], v[73:74], v[78:79]
	s_cbranch_execz .LBB35_352
	s_branch .LBB35_353
.LBB35_351:
                                        ; implicit-def: $vgpr73_vgpr74
.LBB35_352:
	ds_read_b64 v[73:74], v76
.LBB35_353:
	v_mov_b32_e32 v78, 0
	ds_read_b64 v[78:79], v78 offset:8
	s_waitcnt lgkmcnt(0)
	v_mul_f64 v[73:74], v[73:74], v[78:79]
	buffer_store_dword v74, off, s[0:3], 0 offset:12
	buffer_store_dword v73, off, s[0:3], 0 offset:8
.LBB35_354:
	s_or_b64 exec, exec, s[4:5]
	buffer_load_dword v73, off, s[0:3], 0 offset:16
	buffer_load_dword v74, off, s[0:3], 0 offset:20
	v_cndmask_b32_e64 v78, 0, 1, s[10:11]
	v_cmp_gt_u32_e32 vcc, 2, v0
	v_cmp_ne_u32_e64 s[4:5], 1, v78
	s_waitcnt vmcnt(0)
	ds_write_b64 v76, v[73:74]
	s_waitcnt lgkmcnt(0)
	; wave barrier
	s_and_saveexec_b64 s[8:9], vcc
	s_cbranch_execz .LBB35_360
; %bb.355:
	s_and_b64 vcc, exec, s[4:5]
	s_cbranch_vccnz .LBB35_357
; %bb.356:
	buffer_load_dword v73, v77, s[0:3], 0 offen
	buffer_load_dword v74, v77, s[0:3], 0 offen offset:4
	ds_read_b64 v[78:79], v76
	s_waitcnt vmcnt(0) lgkmcnt(0)
	v_mul_f64 v[73:74], v[73:74], v[78:79]
	s_cbranch_execz .LBB35_358
	s_branch .LBB35_359
.LBB35_357:
                                        ; implicit-def: $vgpr73_vgpr74
.LBB35_358:
	ds_read_b64 v[73:74], v76
.LBB35_359:
	buffer_load_dword v82, off, s[0:3], 0 offset:8
	buffer_load_dword v83, off, s[0:3], 0 offset:12
	v_mov_b32_e32 v78, 0
	ds_read2_b64 v[78:81], v78 offset0:2 offset1:37
	s_waitcnt vmcnt(0) lgkmcnt(0)
	v_fma_f64 v[80:81], v[82:83], v[80:81], v[73:74]
	v_cndmask_b32_e64 v74, v74, v81, s[6:7]
	v_cndmask_b32_e64 v73, v73, v80, s[6:7]
	v_mul_f64 v[73:74], v[73:74], v[78:79]
	buffer_store_dword v74, off, s[0:3], 0 offset:20
	buffer_store_dword v73, off, s[0:3], 0 offset:16
.LBB35_360:
	s_or_b64 exec, exec, s[8:9]
	buffer_load_dword v73, off, s[0:3], 0 offset:24
	buffer_load_dword v74, off, s[0:3], 0 offset:28
	v_cmp_gt_u32_e32 vcc, 3, v0
	s_waitcnt vmcnt(0)
	ds_write_b64 v76, v[73:74]
	s_waitcnt lgkmcnt(0)
	; wave barrier
	s_and_saveexec_b64 s[8:9], vcc
	s_cbranch_execz .LBB35_368
; %bb.361:
	s_and_b64 vcc, exec, s[4:5]
	s_cbranch_vccnz .LBB35_363
; %bb.362:
	buffer_load_dword v73, v77, s[0:3], 0 offen
	buffer_load_dword v74, v77, s[0:3], 0 offen offset:4
	ds_read_b64 v[78:79], v76
	s_waitcnt vmcnt(0) lgkmcnt(0)
	v_mul_f64 v[73:74], v[73:74], v[78:79]
	s_cbranch_execz .LBB35_364
	s_branch .LBB35_365
.LBB35_363:
                                        ; implicit-def: $vgpr73_vgpr74
.LBB35_364:
	ds_read_b64 v[73:74], v76
.LBB35_365:
	v_cmp_ne_u32_e32 vcc, 2, v0
	s_and_saveexec_b64 s[10:11], vcc
	s_cbranch_execz .LBB35_367
; %bb.366:
	buffer_load_dword v78, v77, s[0:3], 0 offen offset:8
	buffer_load_dword v79, v77, s[0:3], 0 offen offset:12
	buffer_load_dword v80, off, s[0:3], 0 offset:16
	buffer_load_dword v81, off, s[0:3], 0 offset:20
	ds_read_b64 v[82:83], v76 offset:8
	v_mov_b32_e32 v84, 0
	ds_read_b64 v[84:85], v84 offset:304
	s_waitcnt vmcnt(2) lgkmcnt(1)
	v_fma_f64 v[73:74], v[78:79], v[82:83], v[73:74]
	s_waitcnt vmcnt(0) lgkmcnt(0)
	v_fma_f64 v[78:79], v[80:81], v[84:85], v[73:74]
	v_cndmask_b32_e64 v74, v74, v79, s[6:7]
	v_cndmask_b32_e64 v73, v73, v78, s[6:7]
.LBB35_367:
	s_or_b64 exec, exec, s[10:11]
	v_mov_b32_e32 v78, 0
	ds_read_b64 v[78:79], v78 offset:24
	s_waitcnt lgkmcnt(0)
	v_mul_f64 v[73:74], v[73:74], v[78:79]
	buffer_store_dword v74, off, s[0:3], 0 offset:28
	buffer_store_dword v73, off, s[0:3], 0 offset:24
.LBB35_368:
	s_or_b64 exec, exec, s[8:9]
	buffer_load_dword v73, off, s[0:3], 0 offset:32
	buffer_load_dword v74, off, s[0:3], 0 offset:36
	v_cmp_gt_u32_e32 vcc, 4, v0
	s_waitcnt vmcnt(0)
	ds_write_b64 v76, v[73:74]
	s_waitcnt lgkmcnt(0)
	; wave barrier
	s_and_saveexec_b64 s[6:7], vcc
	s_cbranch_execz .LBB35_378
; %bb.369:
	s_and_b64 vcc, exec, s[4:5]
	s_cbranch_vccnz .LBB35_371
; %bb.370:
	buffer_load_dword v73, v77, s[0:3], 0 offen
	buffer_load_dword v74, v77, s[0:3], 0 offen offset:4
	ds_read_b64 v[78:79], v76
	s_waitcnt vmcnt(0) lgkmcnt(0)
	v_mul_f64 v[73:74], v[73:74], v[78:79]
	s_cbranch_execz .LBB35_372
	s_branch .LBB35_373
.LBB35_371:
                                        ; implicit-def: $vgpr73_vgpr74
.LBB35_372:
	ds_read_b64 v[73:74], v76
.LBB35_373:
	v_cmp_ne_u32_e32 vcc, 3, v0
	s_and_saveexec_b64 s[8:9], vcc
	s_cbranch_execz .LBB35_377
; %bb.374:
	s_mov_b32 s10, 0
	v_add_u32_e32 v78, 0x128, v75
	v_add3_u32 v79, v75, s10, 8
	s_mov_b64 s[10:11], 0
	v_mov_b32_e32 v80, v0
.LBB35_375:                             ; =>This Inner Loop Header: Depth=1
	buffer_load_dword v81, v79, s[0:3], 0 offen
	buffer_load_dword v82, v79, s[0:3], 0 offen offset:4
	ds_read_b64 v[83:84], v78
	v_add_u32_e32 v80, 1, v80
	v_cmp_lt_u32_e32 vcc, 2, v80
	v_add_u32_e32 v78, 8, v78
	s_or_b64 s[10:11], vcc, s[10:11]
	v_add_u32_e32 v79, 8, v79
	s_waitcnt vmcnt(0) lgkmcnt(0)
	v_fma_f64 v[73:74], v[81:82], v[83:84], v[73:74]
	s_andn2_b64 exec, exec, s[10:11]
	s_cbranch_execnz .LBB35_375
; %bb.376:
	s_or_b64 exec, exec, s[10:11]
.LBB35_377:
	s_or_b64 exec, exec, s[8:9]
	v_mov_b32_e32 v78, 0
	ds_read_b64 v[78:79], v78 offset:32
	s_waitcnt lgkmcnt(0)
	v_mul_f64 v[73:74], v[73:74], v[78:79]
	buffer_store_dword v74, off, s[0:3], 0 offset:36
	buffer_store_dword v73, off, s[0:3], 0 offset:32
.LBB35_378:
	s_or_b64 exec, exec, s[6:7]
	buffer_load_dword v73, off, s[0:3], 0 offset:40
	buffer_load_dword v74, off, s[0:3], 0 offset:44
	v_cmp_gt_u32_e32 vcc, 5, v0
	s_waitcnt vmcnt(0)
	ds_write_b64 v76, v[73:74]
	s_waitcnt lgkmcnt(0)
	; wave barrier
	s_and_saveexec_b64 s[6:7], vcc
	s_cbranch_execz .LBB35_388
; %bb.379:
	s_and_b64 vcc, exec, s[4:5]
	s_cbranch_vccnz .LBB35_381
; %bb.380:
	buffer_load_dword v73, v77, s[0:3], 0 offen
	buffer_load_dword v74, v77, s[0:3], 0 offen offset:4
	ds_read_b64 v[78:79], v76
	s_waitcnt vmcnt(0) lgkmcnt(0)
	v_mul_f64 v[73:74], v[73:74], v[78:79]
	s_cbranch_execz .LBB35_382
	s_branch .LBB35_383
.LBB35_381:
                                        ; implicit-def: $vgpr73_vgpr74
.LBB35_382:
	ds_read_b64 v[73:74], v76
.LBB35_383:
	v_cmp_ne_u32_e32 vcc, 4, v0
	s_and_saveexec_b64 s[8:9], vcc
	s_cbranch_execz .LBB35_387
; %bb.384:
	s_mov_b32 s10, 0
	v_add_u32_e32 v78, 0x128, v75
	v_add3_u32 v79, v75, s10, 8
	s_mov_b64 s[10:11], 0
	v_mov_b32_e32 v80, v0
.LBB35_385:                             ; =>This Inner Loop Header: Depth=1
	buffer_load_dword v81, v79, s[0:3], 0 offen
	buffer_load_dword v82, v79, s[0:3], 0 offen offset:4
	ds_read_b64 v[83:84], v78
	v_add_u32_e32 v80, 1, v80
	v_cmp_lt_u32_e32 vcc, 3, v80
	v_add_u32_e32 v78, 8, v78
	s_or_b64 s[10:11], vcc, s[10:11]
	v_add_u32_e32 v79, 8, v79
	s_waitcnt vmcnt(0) lgkmcnt(0)
	v_fma_f64 v[73:74], v[81:82], v[83:84], v[73:74]
	s_andn2_b64 exec, exec, s[10:11]
	s_cbranch_execnz .LBB35_385
; %bb.386:
	s_or_b64 exec, exec, s[10:11]
.LBB35_387:
	s_or_b64 exec, exec, s[8:9]
	v_mov_b32_e32 v78, 0
	ds_read_b64 v[78:79], v78 offset:40
	s_waitcnt lgkmcnt(0)
	v_mul_f64 v[73:74], v[73:74], v[78:79]
	buffer_store_dword v74, off, s[0:3], 0 offset:44
	buffer_store_dword v73, off, s[0:3], 0 offset:40
.LBB35_388:
	s_or_b64 exec, exec, s[6:7]
	buffer_load_dword v73, off, s[0:3], 0 offset:48
	buffer_load_dword v74, off, s[0:3], 0 offset:52
	v_cmp_gt_u32_e32 vcc, 6, v0
	s_waitcnt vmcnt(0)
	ds_write_b64 v76, v[73:74]
	s_waitcnt lgkmcnt(0)
	; wave barrier
	s_and_saveexec_b64 s[6:7], vcc
	s_cbranch_execz .LBB35_398
; %bb.389:
	s_and_b64 vcc, exec, s[4:5]
	s_cbranch_vccnz .LBB35_391
; %bb.390:
	buffer_load_dword v73, v77, s[0:3], 0 offen
	buffer_load_dword v74, v77, s[0:3], 0 offen offset:4
	ds_read_b64 v[78:79], v76
	s_waitcnt vmcnt(0) lgkmcnt(0)
	v_mul_f64 v[73:74], v[73:74], v[78:79]
	s_cbranch_execz .LBB35_392
	s_branch .LBB35_393
.LBB35_391:
                                        ; implicit-def: $vgpr73_vgpr74
.LBB35_392:
	ds_read_b64 v[73:74], v76
.LBB35_393:
	v_cmp_ne_u32_e32 vcc, 5, v0
	s_and_saveexec_b64 s[8:9], vcc
	s_cbranch_execz .LBB35_397
; %bb.394:
	s_mov_b32 s10, 0
	v_add_u32_e32 v78, 0x128, v75
	v_add3_u32 v79, v75, s10, 8
	s_mov_b64 s[10:11], 0
	v_mov_b32_e32 v80, v0
.LBB35_395:                             ; =>This Inner Loop Header: Depth=1
	buffer_load_dword v81, v79, s[0:3], 0 offen
	buffer_load_dword v82, v79, s[0:3], 0 offen offset:4
	ds_read_b64 v[83:84], v78
	v_add_u32_e32 v80, 1, v80
	v_cmp_lt_u32_e32 vcc, 4, v80
	v_add_u32_e32 v78, 8, v78
	s_or_b64 s[10:11], vcc, s[10:11]
	v_add_u32_e32 v79, 8, v79
	s_waitcnt vmcnt(0) lgkmcnt(0)
	v_fma_f64 v[73:74], v[81:82], v[83:84], v[73:74]
	s_andn2_b64 exec, exec, s[10:11]
	s_cbranch_execnz .LBB35_395
; %bb.396:
	s_or_b64 exec, exec, s[10:11]
.LBB35_397:
	s_or_b64 exec, exec, s[8:9]
	v_mov_b32_e32 v78, 0
	ds_read_b64 v[78:79], v78 offset:48
	s_waitcnt lgkmcnt(0)
	v_mul_f64 v[73:74], v[73:74], v[78:79]
	buffer_store_dword v74, off, s[0:3], 0 offset:52
	buffer_store_dword v73, off, s[0:3], 0 offset:48
.LBB35_398:
	s_or_b64 exec, exec, s[6:7]
	buffer_load_dword v73, off, s[0:3], 0 offset:56
	buffer_load_dword v74, off, s[0:3], 0 offset:60
	v_cmp_gt_u32_e32 vcc, 7, v0
	s_waitcnt vmcnt(0)
	ds_write_b64 v76, v[73:74]
	s_waitcnt lgkmcnt(0)
	; wave barrier
	s_and_saveexec_b64 s[6:7], vcc
	s_cbranch_execz .LBB35_408
; %bb.399:
	s_and_b64 vcc, exec, s[4:5]
	s_cbranch_vccnz .LBB35_401
; %bb.400:
	buffer_load_dword v73, v77, s[0:3], 0 offen
	buffer_load_dword v74, v77, s[0:3], 0 offen offset:4
	ds_read_b64 v[78:79], v76
	s_waitcnt vmcnt(0) lgkmcnt(0)
	v_mul_f64 v[73:74], v[73:74], v[78:79]
	s_cbranch_execz .LBB35_402
	s_branch .LBB35_403
.LBB35_401:
                                        ; implicit-def: $vgpr73_vgpr74
.LBB35_402:
	ds_read_b64 v[73:74], v76
.LBB35_403:
	v_cmp_ne_u32_e32 vcc, 6, v0
	s_and_saveexec_b64 s[8:9], vcc
	s_cbranch_execz .LBB35_407
; %bb.404:
	s_mov_b32 s10, 0
	v_add_u32_e32 v78, 0x128, v75
	v_add3_u32 v79, v75, s10, 8
	s_mov_b64 s[10:11], 0
	v_mov_b32_e32 v80, v0
.LBB35_405:                             ; =>This Inner Loop Header: Depth=1
	buffer_load_dword v81, v79, s[0:3], 0 offen
	buffer_load_dword v82, v79, s[0:3], 0 offen offset:4
	ds_read_b64 v[83:84], v78
	v_add_u32_e32 v80, 1, v80
	v_cmp_lt_u32_e32 vcc, 5, v80
	v_add_u32_e32 v78, 8, v78
	s_or_b64 s[10:11], vcc, s[10:11]
	v_add_u32_e32 v79, 8, v79
	s_waitcnt vmcnt(0) lgkmcnt(0)
	v_fma_f64 v[73:74], v[81:82], v[83:84], v[73:74]
	s_andn2_b64 exec, exec, s[10:11]
	s_cbranch_execnz .LBB35_405
; %bb.406:
	s_or_b64 exec, exec, s[10:11]
.LBB35_407:
	s_or_b64 exec, exec, s[8:9]
	v_mov_b32_e32 v78, 0
	ds_read_b64 v[78:79], v78 offset:56
	s_waitcnt lgkmcnt(0)
	v_mul_f64 v[73:74], v[73:74], v[78:79]
	buffer_store_dword v74, off, s[0:3], 0 offset:60
	buffer_store_dword v73, off, s[0:3], 0 offset:56
.LBB35_408:
	s_or_b64 exec, exec, s[6:7]
	buffer_load_dword v73, off, s[0:3], 0 offset:64
	buffer_load_dword v74, off, s[0:3], 0 offset:68
	v_cmp_gt_u32_e32 vcc, 8, v0
	s_waitcnt vmcnt(0)
	ds_write_b64 v76, v[73:74]
	s_waitcnt lgkmcnt(0)
	; wave barrier
	s_and_saveexec_b64 s[6:7], vcc
	s_cbranch_execz .LBB35_418
; %bb.409:
	s_and_b64 vcc, exec, s[4:5]
	s_cbranch_vccnz .LBB35_411
; %bb.410:
	buffer_load_dword v73, v77, s[0:3], 0 offen
	buffer_load_dword v74, v77, s[0:3], 0 offen offset:4
	ds_read_b64 v[78:79], v76
	s_waitcnt vmcnt(0) lgkmcnt(0)
	v_mul_f64 v[73:74], v[73:74], v[78:79]
	s_cbranch_execz .LBB35_412
	s_branch .LBB35_413
.LBB35_411:
                                        ; implicit-def: $vgpr73_vgpr74
.LBB35_412:
	ds_read_b64 v[73:74], v76
.LBB35_413:
	v_cmp_ne_u32_e32 vcc, 7, v0
	s_and_saveexec_b64 s[8:9], vcc
	s_cbranch_execz .LBB35_417
; %bb.414:
	s_mov_b32 s10, 0
	v_add_u32_e32 v78, 0x128, v75
	v_add3_u32 v79, v75, s10, 8
	s_mov_b64 s[10:11], 0
	v_mov_b32_e32 v80, v0
.LBB35_415:                             ; =>This Inner Loop Header: Depth=1
	buffer_load_dword v81, v79, s[0:3], 0 offen
	buffer_load_dword v82, v79, s[0:3], 0 offen offset:4
	ds_read_b64 v[83:84], v78
	v_add_u32_e32 v80, 1, v80
	v_cmp_lt_u32_e32 vcc, 6, v80
	v_add_u32_e32 v78, 8, v78
	s_or_b64 s[10:11], vcc, s[10:11]
	v_add_u32_e32 v79, 8, v79
	s_waitcnt vmcnt(0) lgkmcnt(0)
	v_fma_f64 v[73:74], v[81:82], v[83:84], v[73:74]
	s_andn2_b64 exec, exec, s[10:11]
	s_cbranch_execnz .LBB35_415
; %bb.416:
	s_or_b64 exec, exec, s[10:11]
.LBB35_417:
	s_or_b64 exec, exec, s[8:9]
	v_mov_b32_e32 v78, 0
	ds_read_b64 v[78:79], v78 offset:64
	s_waitcnt lgkmcnt(0)
	v_mul_f64 v[73:74], v[73:74], v[78:79]
	buffer_store_dword v74, off, s[0:3], 0 offset:68
	buffer_store_dword v73, off, s[0:3], 0 offset:64
.LBB35_418:
	s_or_b64 exec, exec, s[6:7]
	buffer_load_dword v73, off, s[0:3], 0 offset:72
	buffer_load_dword v74, off, s[0:3], 0 offset:76
	v_cmp_gt_u32_e32 vcc, 9, v0
	s_waitcnt vmcnt(0)
	ds_write_b64 v76, v[73:74]
	s_waitcnt lgkmcnt(0)
	; wave barrier
	s_and_saveexec_b64 s[6:7], vcc
	s_cbranch_execz .LBB35_428
; %bb.419:
	s_and_b64 vcc, exec, s[4:5]
	s_cbranch_vccnz .LBB35_421
; %bb.420:
	buffer_load_dword v73, v77, s[0:3], 0 offen
	buffer_load_dword v74, v77, s[0:3], 0 offen offset:4
	ds_read_b64 v[78:79], v76
	s_waitcnt vmcnt(0) lgkmcnt(0)
	v_mul_f64 v[73:74], v[73:74], v[78:79]
	s_cbranch_execz .LBB35_422
	s_branch .LBB35_423
.LBB35_421:
                                        ; implicit-def: $vgpr73_vgpr74
.LBB35_422:
	ds_read_b64 v[73:74], v76
.LBB35_423:
	v_cmp_ne_u32_e32 vcc, 8, v0
	s_and_saveexec_b64 s[8:9], vcc
	s_cbranch_execz .LBB35_427
; %bb.424:
	s_mov_b32 s10, 0
	v_add_u32_e32 v78, 0x128, v75
	v_add3_u32 v79, v75, s10, 8
	s_mov_b64 s[10:11], 0
	v_mov_b32_e32 v80, v0
.LBB35_425:                             ; =>This Inner Loop Header: Depth=1
	buffer_load_dword v81, v79, s[0:3], 0 offen
	buffer_load_dword v82, v79, s[0:3], 0 offen offset:4
	ds_read_b64 v[83:84], v78
	v_add_u32_e32 v80, 1, v80
	v_cmp_lt_u32_e32 vcc, 7, v80
	v_add_u32_e32 v78, 8, v78
	s_or_b64 s[10:11], vcc, s[10:11]
	v_add_u32_e32 v79, 8, v79
	s_waitcnt vmcnt(0) lgkmcnt(0)
	v_fma_f64 v[73:74], v[81:82], v[83:84], v[73:74]
	s_andn2_b64 exec, exec, s[10:11]
	s_cbranch_execnz .LBB35_425
; %bb.426:
	s_or_b64 exec, exec, s[10:11]
.LBB35_427:
	s_or_b64 exec, exec, s[8:9]
	v_mov_b32_e32 v78, 0
	ds_read_b64 v[78:79], v78 offset:72
	s_waitcnt lgkmcnt(0)
	v_mul_f64 v[73:74], v[73:74], v[78:79]
	buffer_store_dword v74, off, s[0:3], 0 offset:76
	buffer_store_dword v73, off, s[0:3], 0 offset:72
.LBB35_428:
	s_or_b64 exec, exec, s[6:7]
	buffer_load_dword v73, off, s[0:3], 0 offset:80
	buffer_load_dword v74, off, s[0:3], 0 offset:84
	v_cmp_gt_u32_e32 vcc, 10, v0
	s_waitcnt vmcnt(0)
	ds_write_b64 v76, v[73:74]
	s_waitcnt lgkmcnt(0)
	; wave barrier
	s_and_saveexec_b64 s[6:7], vcc
	s_cbranch_execz .LBB35_438
; %bb.429:
	s_and_b64 vcc, exec, s[4:5]
	s_cbranch_vccnz .LBB35_431
; %bb.430:
	buffer_load_dword v73, v77, s[0:3], 0 offen
	buffer_load_dword v74, v77, s[0:3], 0 offen offset:4
	ds_read_b64 v[78:79], v76
	s_waitcnt vmcnt(0) lgkmcnt(0)
	v_mul_f64 v[73:74], v[73:74], v[78:79]
	s_cbranch_execz .LBB35_432
	s_branch .LBB35_433
.LBB35_431:
                                        ; implicit-def: $vgpr73_vgpr74
.LBB35_432:
	ds_read_b64 v[73:74], v76
.LBB35_433:
	v_cmp_ne_u32_e32 vcc, 9, v0
	s_and_saveexec_b64 s[8:9], vcc
	s_cbranch_execz .LBB35_437
; %bb.434:
	s_mov_b32 s10, 0
	v_add_u32_e32 v78, 0x128, v75
	v_add3_u32 v79, v75, s10, 8
	s_mov_b64 s[10:11], 0
	v_mov_b32_e32 v80, v0
.LBB35_435:                             ; =>This Inner Loop Header: Depth=1
	buffer_load_dword v81, v79, s[0:3], 0 offen
	buffer_load_dword v82, v79, s[0:3], 0 offen offset:4
	ds_read_b64 v[83:84], v78
	v_add_u32_e32 v80, 1, v80
	v_cmp_lt_u32_e32 vcc, 8, v80
	v_add_u32_e32 v78, 8, v78
	s_or_b64 s[10:11], vcc, s[10:11]
	v_add_u32_e32 v79, 8, v79
	s_waitcnt vmcnt(0) lgkmcnt(0)
	v_fma_f64 v[73:74], v[81:82], v[83:84], v[73:74]
	s_andn2_b64 exec, exec, s[10:11]
	s_cbranch_execnz .LBB35_435
; %bb.436:
	s_or_b64 exec, exec, s[10:11]
.LBB35_437:
	s_or_b64 exec, exec, s[8:9]
	v_mov_b32_e32 v78, 0
	ds_read_b64 v[78:79], v78 offset:80
	s_waitcnt lgkmcnt(0)
	v_mul_f64 v[73:74], v[73:74], v[78:79]
	buffer_store_dword v74, off, s[0:3], 0 offset:84
	buffer_store_dword v73, off, s[0:3], 0 offset:80
.LBB35_438:
	s_or_b64 exec, exec, s[6:7]
	buffer_load_dword v73, off, s[0:3], 0 offset:88
	buffer_load_dword v74, off, s[0:3], 0 offset:92
	v_cmp_gt_u32_e32 vcc, 11, v0
	s_waitcnt vmcnt(0)
	ds_write_b64 v76, v[73:74]
	s_waitcnt lgkmcnt(0)
	; wave barrier
	s_and_saveexec_b64 s[6:7], vcc
	s_cbranch_execz .LBB35_448
; %bb.439:
	s_and_b64 vcc, exec, s[4:5]
	s_cbranch_vccnz .LBB35_441
; %bb.440:
	buffer_load_dword v73, v77, s[0:3], 0 offen
	buffer_load_dword v74, v77, s[0:3], 0 offen offset:4
	ds_read_b64 v[78:79], v76
	s_waitcnt vmcnt(0) lgkmcnt(0)
	v_mul_f64 v[73:74], v[73:74], v[78:79]
	s_cbranch_execz .LBB35_442
	s_branch .LBB35_443
.LBB35_441:
                                        ; implicit-def: $vgpr73_vgpr74
.LBB35_442:
	ds_read_b64 v[73:74], v76
.LBB35_443:
	v_cmp_ne_u32_e32 vcc, 10, v0
	s_and_saveexec_b64 s[8:9], vcc
	s_cbranch_execz .LBB35_447
; %bb.444:
	s_mov_b32 s10, 0
	v_add_u32_e32 v78, 0x128, v75
	v_add3_u32 v79, v75, s10, 8
	s_mov_b64 s[10:11], 0
	v_mov_b32_e32 v80, v0
.LBB35_445:                             ; =>This Inner Loop Header: Depth=1
	buffer_load_dword v81, v79, s[0:3], 0 offen
	buffer_load_dword v82, v79, s[0:3], 0 offen offset:4
	ds_read_b64 v[83:84], v78
	v_add_u32_e32 v80, 1, v80
	v_cmp_lt_u32_e32 vcc, 9, v80
	v_add_u32_e32 v78, 8, v78
	s_or_b64 s[10:11], vcc, s[10:11]
	v_add_u32_e32 v79, 8, v79
	s_waitcnt vmcnt(0) lgkmcnt(0)
	v_fma_f64 v[73:74], v[81:82], v[83:84], v[73:74]
	s_andn2_b64 exec, exec, s[10:11]
	s_cbranch_execnz .LBB35_445
; %bb.446:
	s_or_b64 exec, exec, s[10:11]
.LBB35_447:
	s_or_b64 exec, exec, s[8:9]
	v_mov_b32_e32 v78, 0
	ds_read_b64 v[78:79], v78 offset:88
	s_waitcnt lgkmcnt(0)
	v_mul_f64 v[73:74], v[73:74], v[78:79]
	buffer_store_dword v74, off, s[0:3], 0 offset:92
	buffer_store_dword v73, off, s[0:3], 0 offset:88
.LBB35_448:
	s_or_b64 exec, exec, s[6:7]
	buffer_load_dword v73, off, s[0:3], 0 offset:96
	buffer_load_dword v74, off, s[0:3], 0 offset:100
	v_cmp_gt_u32_e32 vcc, 12, v0
	s_waitcnt vmcnt(0)
	ds_write_b64 v76, v[73:74]
	s_waitcnt lgkmcnt(0)
	; wave barrier
	s_and_saveexec_b64 s[6:7], vcc
	s_cbranch_execz .LBB35_458
; %bb.449:
	s_and_b64 vcc, exec, s[4:5]
	s_cbranch_vccnz .LBB35_451
; %bb.450:
	buffer_load_dword v73, v77, s[0:3], 0 offen
	buffer_load_dword v74, v77, s[0:3], 0 offen offset:4
	ds_read_b64 v[78:79], v76
	s_waitcnt vmcnt(0) lgkmcnt(0)
	v_mul_f64 v[73:74], v[73:74], v[78:79]
	s_cbranch_execz .LBB35_452
	s_branch .LBB35_453
.LBB35_451:
                                        ; implicit-def: $vgpr73_vgpr74
.LBB35_452:
	ds_read_b64 v[73:74], v76
.LBB35_453:
	v_cmp_ne_u32_e32 vcc, 11, v0
	s_and_saveexec_b64 s[8:9], vcc
	s_cbranch_execz .LBB35_457
; %bb.454:
	s_mov_b32 s10, 0
	v_add_u32_e32 v78, 0x128, v75
	v_add3_u32 v79, v75, s10, 8
	s_mov_b64 s[10:11], 0
	v_mov_b32_e32 v80, v0
.LBB35_455:                             ; =>This Inner Loop Header: Depth=1
	buffer_load_dword v81, v79, s[0:3], 0 offen
	buffer_load_dword v82, v79, s[0:3], 0 offen offset:4
	ds_read_b64 v[83:84], v78
	v_add_u32_e32 v80, 1, v80
	v_cmp_lt_u32_e32 vcc, 10, v80
	v_add_u32_e32 v78, 8, v78
	s_or_b64 s[10:11], vcc, s[10:11]
	v_add_u32_e32 v79, 8, v79
	s_waitcnt vmcnt(0) lgkmcnt(0)
	v_fma_f64 v[73:74], v[81:82], v[83:84], v[73:74]
	s_andn2_b64 exec, exec, s[10:11]
	s_cbranch_execnz .LBB35_455
; %bb.456:
	s_or_b64 exec, exec, s[10:11]
.LBB35_457:
	s_or_b64 exec, exec, s[8:9]
	v_mov_b32_e32 v78, 0
	ds_read_b64 v[78:79], v78 offset:96
	s_waitcnt lgkmcnt(0)
	v_mul_f64 v[73:74], v[73:74], v[78:79]
	buffer_store_dword v74, off, s[0:3], 0 offset:100
	buffer_store_dword v73, off, s[0:3], 0 offset:96
.LBB35_458:
	s_or_b64 exec, exec, s[6:7]
	buffer_load_dword v73, off, s[0:3], 0 offset:104
	buffer_load_dword v74, off, s[0:3], 0 offset:108
	v_cmp_gt_u32_e32 vcc, 13, v0
	s_waitcnt vmcnt(0)
	ds_write_b64 v76, v[73:74]
	s_waitcnt lgkmcnt(0)
	; wave barrier
	s_and_saveexec_b64 s[6:7], vcc
	s_cbranch_execz .LBB35_468
; %bb.459:
	s_and_b64 vcc, exec, s[4:5]
	s_cbranch_vccnz .LBB35_461
; %bb.460:
	buffer_load_dword v73, v77, s[0:3], 0 offen
	buffer_load_dword v74, v77, s[0:3], 0 offen offset:4
	ds_read_b64 v[78:79], v76
	s_waitcnt vmcnt(0) lgkmcnt(0)
	v_mul_f64 v[73:74], v[73:74], v[78:79]
	s_cbranch_execz .LBB35_462
	s_branch .LBB35_463
.LBB35_461:
                                        ; implicit-def: $vgpr73_vgpr74
.LBB35_462:
	ds_read_b64 v[73:74], v76
.LBB35_463:
	v_cmp_ne_u32_e32 vcc, 12, v0
	s_and_saveexec_b64 s[8:9], vcc
	s_cbranch_execz .LBB35_467
; %bb.464:
	s_mov_b32 s10, 0
	v_add_u32_e32 v78, 0x128, v75
	v_add3_u32 v79, v75, s10, 8
	s_mov_b64 s[10:11], 0
	v_mov_b32_e32 v80, v0
.LBB35_465:                             ; =>This Inner Loop Header: Depth=1
	buffer_load_dword v81, v79, s[0:3], 0 offen
	buffer_load_dword v82, v79, s[0:3], 0 offen offset:4
	ds_read_b64 v[83:84], v78
	v_add_u32_e32 v80, 1, v80
	v_cmp_lt_u32_e32 vcc, 11, v80
	v_add_u32_e32 v78, 8, v78
	s_or_b64 s[10:11], vcc, s[10:11]
	v_add_u32_e32 v79, 8, v79
	s_waitcnt vmcnt(0) lgkmcnt(0)
	v_fma_f64 v[73:74], v[81:82], v[83:84], v[73:74]
	s_andn2_b64 exec, exec, s[10:11]
	s_cbranch_execnz .LBB35_465
; %bb.466:
	s_or_b64 exec, exec, s[10:11]
.LBB35_467:
	s_or_b64 exec, exec, s[8:9]
	v_mov_b32_e32 v78, 0
	ds_read_b64 v[78:79], v78 offset:104
	s_waitcnt lgkmcnt(0)
	v_mul_f64 v[73:74], v[73:74], v[78:79]
	buffer_store_dword v74, off, s[0:3], 0 offset:108
	buffer_store_dword v73, off, s[0:3], 0 offset:104
.LBB35_468:
	s_or_b64 exec, exec, s[6:7]
	buffer_load_dword v73, off, s[0:3], 0 offset:112
	buffer_load_dword v74, off, s[0:3], 0 offset:116
	v_cmp_gt_u32_e32 vcc, 14, v0
	s_waitcnt vmcnt(0)
	ds_write_b64 v76, v[73:74]
	s_waitcnt lgkmcnt(0)
	; wave barrier
	s_and_saveexec_b64 s[6:7], vcc
	s_cbranch_execz .LBB35_478
; %bb.469:
	s_and_b64 vcc, exec, s[4:5]
	s_cbranch_vccnz .LBB35_471
; %bb.470:
	buffer_load_dword v73, v77, s[0:3], 0 offen
	buffer_load_dword v74, v77, s[0:3], 0 offen offset:4
	ds_read_b64 v[78:79], v76
	s_waitcnt vmcnt(0) lgkmcnt(0)
	v_mul_f64 v[73:74], v[73:74], v[78:79]
	s_cbranch_execz .LBB35_472
	s_branch .LBB35_473
.LBB35_471:
                                        ; implicit-def: $vgpr73_vgpr74
.LBB35_472:
	ds_read_b64 v[73:74], v76
.LBB35_473:
	v_cmp_ne_u32_e32 vcc, 13, v0
	s_and_saveexec_b64 s[8:9], vcc
	s_cbranch_execz .LBB35_477
; %bb.474:
	s_mov_b32 s10, 0
	v_add_u32_e32 v78, 0x128, v75
	v_add3_u32 v79, v75, s10, 8
	s_mov_b64 s[10:11], 0
	v_mov_b32_e32 v80, v0
.LBB35_475:                             ; =>This Inner Loop Header: Depth=1
	buffer_load_dword v81, v79, s[0:3], 0 offen
	buffer_load_dword v82, v79, s[0:3], 0 offen offset:4
	ds_read_b64 v[83:84], v78
	v_add_u32_e32 v80, 1, v80
	v_cmp_lt_u32_e32 vcc, 12, v80
	v_add_u32_e32 v78, 8, v78
	s_or_b64 s[10:11], vcc, s[10:11]
	v_add_u32_e32 v79, 8, v79
	s_waitcnt vmcnt(0) lgkmcnt(0)
	v_fma_f64 v[73:74], v[81:82], v[83:84], v[73:74]
	s_andn2_b64 exec, exec, s[10:11]
	s_cbranch_execnz .LBB35_475
; %bb.476:
	s_or_b64 exec, exec, s[10:11]
.LBB35_477:
	s_or_b64 exec, exec, s[8:9]
	v_mov_b32_e32 v78, 0
	ds_read_b64 v[78:79], v78 offset:112
	s_waitcnt lgkmcnt(0)
	v_mul_f64 v[73:74], v[73:74], v[78:79]
	buffer_store_dword v74, off, s[0:3], 0 offset:116
	buffer_store_dword v73, off, s[0:3], 0 offset:112
.LBB35_478:
	s_or_b64 exec, exec, s[6:7]
	buffer_load_dword v73, off, s[0:3], 0 offset:120
	buffer_load_dword v74, off, s[0:3], 0 offset:124
	v_cmp_gt_u32_e32 vcc, 15, v0
	s_waitcnt vmcnt(0)
	ds_write_b64 v76, v[73:74]
	s_waitcnt lgkmcnt(0)
	; wave barrier
	s_and_saveexec_b64 s[6:7], vcc
	s_cbranch_execz .LBB35_488
; %bb.479:
	s_and_b64 vcc, exec, s[4:5]
	s_cbranch_vccnz .LBB35_481
; %bb.480:
	buffer_load_dword v73, v77, s[0:3], 0 offen
	buffer_load_dword v74, v77, s[0:3], 0 offen offset:4
	ds_read_b64 v[78:79], v76
	s_waitcnt vmcnt(0) lgkmcnt(0)
	v_mul_f64 v[73:74], v[73:74], v[78:79]
	s_cbranch_execz .LBB35_482
	s_branch .LBB35_483
.LBB35_481:
                                        ; implicit-def: $vgpr73_vgpr74
.LBB35_482:
	ds_read_b64 v[73:74], v76
.LBB35_483:
	v_cmp_ne_u32_e32 vcc, 14, v0
	s_and_saveexec_b64 s[8:9], vcc
	s_cbranch_execz .LBB35_487
; %bb.484:
	s_mov_b32 s10, 0
	v_add_u32_e32 v78, 0x128, v75
	v_add3_u32 v79, v75, s10, 8
	s_mov_b64 s[10:11], 0
	v_mov_b32_e32 v80, v0
.LBB35_485:                             ; =>This Inner Loop Header: Depth=1
	buffer_load_dword v81, v79, s[0:3], 0 offen
	buffer_load_dword v82, v79, s[0:3], 0 offen offset:4
	ds_read_b64 v[83:84], v78
	v_add_u32_e32 v80, 1, v80
	v_cmp_lt_u32_e32 vcc, 13, v80
	v_add_u32_e32 v78, 8, v78
	s_or_b64 s[10:11], vcc, s[10:11]
	v_add_u32_e32 v79, 8, v79
	s_waitcnt vmcnt(0) lgkmcnt(0)
	v_fma_f64 v[73:74], v[81:82], v[83:84], v[73:74]
	s_andn2_b64 exec, exec, s[10:11]
	s_cbranch_execnz .LBB35_485
; %bb.486:
	s_or_b64 exec, exec, s[10:11]
.LBB35_487:
	s_or_b64 exec, exec, s[8:9]
	v_mov_b32_e32 v78, 0
	ds_read_b64 v[78:79], v78 offset:120
	s_waitcnt lgkmcnt(0)
	v_mul_f64 v[73:74], v[73:74], v[78:79]
	buffer_store_dword v74, off, s[0:3], 0 offset:124
	buffer_store_dword v73, off, s[0:3], 0 offset:120
.LBB35_488:
	s_or_b64 exec, exec, s[6:7]
	buffer_load_dword v73, off, s[0:3], 0 offset:128
	buffer_load_dword v74, off, s[0:3], 0 offset:132
	v_cmp_gt_u32_e32 vcc, 16, v0
	s_waitcnt vmcnt(0)
	ds_write_b64 v76, v[73:74]
	s_waitcnt lgkmcnt(0)
	; wave barrier
	s_and_saveexec_b64 s[6:7], vcc
	s_cbranch_execz .LBB35_498
; %bb.489:
	s_and_b64 vcc, exec, s[4:5]
	s_cbranch_vccnz .LBB35_491
; %bb.490:
	buffer_load_dword v73, v77, s[0:3], 0 offen
	buffer_load_dword v74, v77, s[0:3], 0 offen offset:4
	ds_read_b64 v[78:79], v76
	s_waitcnt vmcnt(0) lgkmcnt(0)
	v_mul_f64 v[73:74], v[73:74], v[78:79]
	s_cbranch_execz .LBB35_492
	s_branch .LBB35_493
.LBB35_491:
                                        ; implicit-def: $vgpr73_vgpr74
.LBB35_492:
	ds_read_b64 v[73:74], v76
.LBB35_493:
	v_cmp_ne_u32_e32 vcc, 15, v0
	s_and_saveexec_b64 s[8:9], vcc
	s_cbranch_execz .LBB35_497
; %bb.494:
	s_mov_b32 s10, 0
	v_add_u32_e32 v78, 0x128, v75
	v_add3_u32 v79, v75, s10, 8
	s_mov_b64 s[10:11], 0
	v_mov_b32_e32 v80, v0
.LBB35_495:                             ; =>This Inner Loop Header: Depth=1
	buffer_load_dword v81, v79, s[0:3], 0 offen
	buffer_load_dword v82, v79, s[0:3], 0 offen offset:4
	ds_read_b64 v[83:84], v78
	v_add_u32_e32 v80, 1, v80
	v_cmp_lt_u32_e32 vcc, 14, v80
	v_add_u32_e32 v78, 8, v78
	s_or_b64 s[10:11], vcc, s[10:11]
	v_add_u32_e32 v79, 8, v79
	s_waitcnt vmcnt(0) lgkmcnt(0)
	v_fma_f64 v[73:74], v[81:82], v[83:84], v[73:74]
	s_andn2_b64 exec, exec, s[10:11]
	s_cbranch_execnz .LBB35_495
; %bb.496:
	s_or_b64 exec, exec, s[10:11]
.LBB35_497:
	s_or_b64 exec, exec, s[8:9]
	v_mov_b32_e32 v78, 0
	ds_read_b64 v[78:79], v78 offset:128
	s_waitcnt lgkmcnt(0)
	v_mul_f64 v[73:74], v[73:74], v[78:79]
	buffer_store_dword v74, off, s[0:3], 0 offset:132
	buffer_store_dword v73, off, s[0:3], 0 offset:128
.LBB35_498:
	s_or_b64 exec, exec, s[6:7]
	buffer_load_dword v73, off, s[0:3], 0 offset:136
	buffer_load_dword v74, off, s[0:3], 0 offset:140
	v_cmp_gt_u32_e32 vcc, 17, v0
	s_waitcnt vmcnt(0)
	ds_write_b64 v76, v[73:74]
	s_waitcnt lgkmcnt(0)
	; wave barrier
	s_and_saveexec_b64 s[6:7], vcc
	s_cbranch_execz .LBB35_508
; %bb.499:
	s_and_b64 vcc, exec, s[4:5]
	s_cbranch_vccnz .LBB35_501
; %bb.500:
	buffer_load_dword v73, v77, s[0:3], 0 offen
	buffer_load_dword v74, v77, s[0:3], 0 offen offset:4
	ds_read_b64 v[78:79], v76
	s_waitcnt vmcnt(0) lgkmcnt(0)
	v_mul_f64 v[73:74], v[73:74], v[78:79]
	s_cbranch_execz .LBB35_502
	s_branch .LBB35_503
.LBB35_501:
                                        ; implicit-def: $vgpr73_vgpr74
.LBB35_502:
	ds_read_b64 v[73:74], v76
.LBB35_503:
	v_cmp_ne_u32_e32 vcc, 16, v0
	s_and_saveexec_b64 s[8:9], vcc
	s_cbranch_execz .LBB35_507
; %bb.504:
	s_mov_b32 s10, 0
	v_add_u32_e32 v78, 0x128, v75
	v_add3_u32 v79, v75, s10, 8
	s_mov_b64 s[10:11], 0
	v_mov_b32_e32 v80, v0
.LBB35_505:                             ; =>This Inner Loop Header: Depth=1
	buffer_load_dword v81, v79, s[0:3], 0 offen
	buffer_load_dword v82, v79, s[0:3], 0 offen offset:4
	ds_read_b64 v[83:84], v78
	v_add_u32_e32 v80, 1, v80
	v_cmp_lt_u32_e32 vcc, 15, v80
	v_add_u32_e32 v78, 8, v78
	s_or_b64 s[10:11], vcc, s[10:11]
	v_add_u32_e32 v79, 8, v79
	s_waitcnt vmcnt(0) lgkmcnt(0)
	v_fma_f64 v[73:74], v[81:82], v[83:84], v[73:74]
	s_andn2_b64 exec, exec, s[10:11]
	s_cbranch_execnz .LBB35_505
; %bb.506:
	s_or_b64 exec, exec, s[10:11]
.LBB35_507:
	s_or_b64 exec, exec, s[8:9]
	v_mov_b32_e32 v78, 0
	ds_read_b64 v[78:79], v78 offset:136
	s_waitcnt lgkmcnt(0)
	v_mul_f64 v[73:74], v[73:74], v[78:79]
	buffer_store_dword v74, off, s[0:3], 0 offset:140
	buffer_store_dword v73, off, s[0:3], 0 offset:136
.LBB35_508:
	s_or_b64 exec, exec, s[6:7]
	buffer_load_dword v73, off, s[0:3], 0 offset:144
	buffer_load_dword v74, off, s[0:3], 0 offset:148
	v_cmp_gt_u32_e32 vcc, 18, v0
	s_waitcnt vmcnt(0)
	ds_write_b64 v76, v[73:74]
	s_waitcnt lgkmcnt(0)
	; wave barrier
	s_and_saveexec_b64 s[6:7], vcc
	s_cbranch_execz .LBB35_518
; %bb.509:
	s_and_b64 vcc, exec, s[4:5]
	s_cbranch_vccnz .LBB35_511
; %bb.510:
	buffer_load_dword v73, v77, s[0:3], 0 offen
	buffer_load_dword v74, v77, s[0:3], 0 offen offset:4
	ds_read_b64 v[78:79], v76
	s_waitcnt vmcnt(0) lgkmcnt(0)
	v_mul_f64 v[73:74], v[73:74], v[78:79]
	s_cbranch_execz .LBB35_512
	s_branch .LBB35_513
.LBB35_511:
                                        ; implicit-def: $vgpr73_vgpr74
.LBB35_512:
	ds_read_b64 v[73:74], v76
.LBB35_513:
	v_cmp_ne_u32_e32 vcc, 17, v0
	s_and_saveexec_b64 s[8:9], vcc
	s_cbranch_execz .LBB35_517
; %bb.514:
	s_mov_b32 s10, 0
	v_add_u32_e32 v78, 0x128, v75
	v_add3_u32 v79, v75, s10, 8
	s_mov_b64 s[10:11], 0
	v_mov_b32_e32 v80, v0
.LBB35_515:                             ; =>This Inner Loop Header: Depth=1
	buffer_load_dword v81, v79, s[0:3], 0 offen
	buffer_load_dword v82, v79, s[0:3], 0 offen offset:4
	ds_read_b64 v[83:84], v78
	v_add_u32_e32 v80, 1, v80
	v_cmp_lt_u32_e32 vcc, 16, v80
	v_add_u32_e32 v78, 8, v78
	s_or_b64 s[10:11], vcc, s[10:11]
	v_add_u32_e32 v79, 8, v79
	s_waitcnt vmcnt(0) lgkmcnt(0)
	v_fma_f64 v[73:74], v[81:82], v[83:84], v[73:74]
	s_andn2_b64 exec, exec, s[10:11]
	s_cbranch_execnz .LBB35_515
; %bb.516:
	s_or_b64 exec, exec, s[10:11]
.LBB35_517:
	s_or_b64 exec, exec, s[8:9]
	v_mov_b32_e32 v78, 0
	ds_read_b64 v[78:79], v78 offset:144
	s_waitcnt lgkmcnt(0)
	v_mul_f64 v[73:74], v[73:74], v[78:79]
	buffer_store_dword v74, off, s[0:3], 0 offset:148
	buffer_store_dword v73, off, s[0:3], 0 offset:144
.LBB35_518:
	s_or_b64 exec, exec, s[6:7]
	buffer_load_dword v73, off, s[0:3], 0 offset:152
	buffer_load_dword v74, off, s[0:3], 0 offset:156
	v_cmp_gt_u32_e32 vcc, 19, v0
	s_waitcnt vmcnt(0)
	ds_write_b64 v76, v[73:74]
	s_waitcnt lgkmcnt(0)
	; wave barrier
	s_and_saveexec_b64 s[6:7], vcc
	s_cbranch_execz .LBB35_528
; %bb.519:
	s_and_b64 vcc, exec, s[4:5]
	s_cbranch_vccnz .LBB35_521
; %bb.520:
	buffer_load_dword v73, v77, s[0:3], 0 offen
	buffer_load_dword v74, v77, s[0:3], 0 offen offset:4
	ds_read_b64 v[78:79], v76
	s_waitcnt vmcnt(0) lgkmcnt(0)
	v_mul_f64 v[73:74], v[73:74], v[78:79]
	s_cbranch_execz .LBB35_522
	s_branch .LBB35_523
.LBB35_521:
                                        ; implicit-def: $vgpr73_vgpr74
.LBB35_522:
	ds_read_b64 v[73:74], v76
.LBB35_523:
	v_cmp_ne_u32_e32 vcc, 18, v0
	s_and_saveexec_b64 s[8:9], vcc
	s_cbranch_execz .LBB35_527
; %bb.524:
	s_mov_b32 s10, 0
	v_add_u32_e32 v78, 0x128, v75
	v_add3_u32 v79, v75, s10, 8
	s_mov_b64 s[10:11], 0
	v_mov_b32_e32 v80, v0
.LBB35_525:                             ; =>This Inner Loop Header: Depth=1
	buffer_load_dword v81, v79, s[0:3], 0 offen
	buffer_load_dword v82, v79, s[0:3], 0 offen offset:4
	ds_read_b64 v[83:84], v78
	v_add_u32_e32 v80, 1, v80
	v_cmp_lt_u32_e32 vcc, 17, v80
	v_add_u32_e32 v78, 8, v78
	s_or_b64 s[10:11], vcc, s[10:11]
	v_add_u32_e32 v79, 8, v79
	s_waitcnt vmcnt(0) lgkmcnt(0)
	v_fma_f64 v[73:74], v[81:82], v[83:84], v[73:74]
	s_andn2_b64 exec, exec, s[10:11]
	s_cbranch_execnz .LBB35_525
; %bb.526:
	s_or_b64 exec, exec, s[10:11]
.LBB35_527:
	s_or_b64 exec, exec, s[8:9]
	v_mov_b32_e32 v78, 0
	ds_read_b64 v[78:79], v78 offset:152
	s_waitcnt lgkmcnt(0)
	v_mul_f64 v[73:74], v[73:74], v[78:79]
	buffer_store_dword v74, off, s[0:3], 0 offset:156
	buffer_store_dword v73, off, s[0:3], 0 offset:152
.LBB35_528:
	s_or_b64 exec, exec, s[6:7]
	buffer_load_dword v73, off, s[0:3], 0 offset:160
	buffer_load_dword v74, off, s[0:3], 0 offset:164
	v_cmp_gt_u32_e32 vcc, 20, v0
	s_waitcnt vmcnt(0)
	ds_write_b64 v76, v[73:74]
	s_waitcnt lgkmcnt(0)
	; wave barrier
	s_and_saveexec_b64 s[6:7], vcc
	s_cbranch_execz .LBB35_538
; %bb.529:
	s_and_b64 vcc, exec, s[4:5]
	s_cbranch_vccnz .LBB35_531
; %bb.530:
	buffer_load_dword v73, v77, s[0:3], 0 offen
	buffer_load_dword v74, v77, s[0:3], 0 offen offset:4
	ds_read_b64 v[78:79], v76
	s_waitcnt vmcnt(0) lgkmcnt(0)
	v_mul_f64 v[73:74], v[73:74], v[78:79]
	s_cbranch_execz .LBB35_532
	s_branch .LBB35_533
.LBB35_531:
                                        ; implicit-def: $vgpr73_vgpr74
.LBB35_532:
	ds_read_b64 v[73:74], v76
.LBB35_533:
	v_cmp_ne_u32_e32 vcc, 19, v0
	s_and_saveexec_b64 s[8:9], vcc
	s_cbranch_execz .LBB35_537
; %bb.534:
	s_mov_b32 s10, 0
	v_add_u32_e32 v78, 0x128, v75
	v_add3_u32 v79, v75, s10, 8
	s_mov_b64 s[10:11], 0
	v_mov_b32_e32 v80, v0
.LBB35_535:                             ; =>This Inner Loop Header: Depth=1
	buffer_load_dword v81, v79, s[0:3], 0 offen
	buffer_load_dword v82, v79, s[0:3], 0 offen offset:4
	ds_read_b64 v[83:84], v78
	v_add_u32_e32 v80, 1, v80
	v_cmp_lt_u32_e32 vcc, 18, v80
	v_add_u32_e32 v78, 8, v78
	s_or_b64 s[10:11], vcc, s[10:11]
	v_add_u32_e32 v79, 8, v79
	s_waitcnt vmcnt(0) lgkmcnt(0)
	v_fma_f64 v[73:74], v[81:82], v[83:84], v[73:74]
	s_andn2_b64 exec, exec, s[10:11]
	s_cbranch_execnz .LBB35_535
; %bb.536:
	s_or_b64 exec, exec, s[10:11]
.LBB35_537:
	s_or_b64 exec, exec, s[8:9]
	v_mov_b32_e32 v78, 0
	ds_read_b64 v[78:79], v78 offset:160
	s_waitcnt lgkmcnt(0)
	v_mul_f64 v[73:74], v[73:74], v[78:79]
	buffer_store_dword v74, off, s[0:3], 0 offset:164
	buffer_store_dword v73, off, s[0:3], 0 offset:160
.LBB35_538:
	s_or_b64 exec, exec, s[6:7]
	buffer_load_dword v73, off, s[0:3], 0 offset:168
	buffer_load_dword v74, off, s[0:3], 0 offset:172
	v_cmp_gt_u32_e32 vcc, 21, v0
	s_waitcnt vmcnt(0)
	ds_write_b64 v76, v[73:74]
	s_waitcnt lgkmcnt(0)
	; wave barrier
	s_and_saveexec_b64 s[6:7], vcc
	s_cbranch_execz .LBB35_548
; %bb.539:
	s_and_b64 vcc, exec, s[4:5]
	s_cbranch_vccnz .LBB35_541
; %bb.540:
	buffer_load_dword v73, v77, s[0:3], 0 offen
	buffer_load_dword v74, v77, s[0:3], 0 offen offset:4
	ds_read_b64 v[78:79], v76
	s_waitcnt vmcnt(0) lgkmcnt(0)
	v_mul_f64 v[73:74], v[73:74], v[78:79]
	s_cbranch_execz .LBB35_542
	s_branch .LBB35_543
.LBB35_541:
                                        ; implicit-def: $vgpr73_vgpr74
.LBB35_542:
	ds_read_b64 v[73:74], v76
.LBB35_543:
	v_cmp_ne_u32_e32 vcc, 20, v0
	s_and_saveexec_b64 s[8:9], vcc
	s_cbranch_execz .LBB35_547
; %bb.544:
	s_mov_b32 s10, 0
	v_add_u32_e32 v78, 0x128, v75
	v_add3_u32 v79, v75, s10, 8
	s_mov_b64 s[10:11], 0
	v_mov_b32_e32 v80, v0
.LBB35_545:                             ; =>This Inner Loop Header: Depth=1
	buffer_load_dword v81, v79, s[0:3], 0 offen
	buffer_load_dword v82, v79, s[0:3], 0 offen offset:4
	ds_read_b64 v[83:84], v78
	v_add_u32_e32 v80, 1, v80
	v_cmp_lt_u32_e32 vcc, 19, v80
	v_add_u32_e32 v78, 8, v78
	s_or_b64 s[10:11], vcc, s[10:11]
	v_add_u32_e32 v79, 8, v79
	s_waitcnt vmcnt(0) lgkmcnt(0)
	v_fma_f64 v[73:74], v[81:82], v[83:84], v[73:74]
	s_andn2_b64 exec, exec, s[10:11]
	s_cbranch_execnz .LBB35_545
; %bb.546:
	s_or_b64 exec, exec, s[10:11]
.LBB35_547:
	s_or_b64 exec, exec, s[8:9]
	v_mov_b32_e32 v78, 0
	ds_read_b64 v[78:79], v78 offset:168
	s_waitcnt lgkmcnt(0)
	v_mul_f64 v[73:74], v[73:74], v[78:79]
	buffer_store_dword v74, off, s[0:3], 0 offset:172
	buffer_store_dword v73, off, s[0:3], 0 offset:168
.LBB35_548:
	s_or_b64 exec, exec, s[6:7]
	buffer_load_dword v73, off, s[0:3], 0 offset:176
	buffer_load_dword v74, off, s[0:3], 0 offset:180
	v_cmp_gt_u32_e32 vcc, 22, v0
	s_waitcnt vmcnt(0)
	ds_write_b64 v76, v[73:74]
	s_waitcnt lgkmcnt(0)
	; wave barrier
	s_and_saveexec_b64 s[6:7], vcc
	s_cbranch_execz .LBB35_558
; %bb.549:
	s_and_b64 vcc, exec, s[4:5]
	s_cbranch_vccnz .LBB35_551
; %bb.550:
	buffer_load_dword v73, v77, s[0:3], 0 offen
	buffer_load_dword v74, v77, s[0:3], 0 offen offset:4
	ds_read_b64 v[78:79], v76
	s_waitcnt vmcnt(0) lgkmcnt(0)
	v_mul_f64 v[73:74], v[73:74], v[78:79]
	s_cbranch_execz .LBB35_552
	s_branch .LBB35_553
.LBB35_551:
                                        ; implicit-def: $vgpr73_vgpr74
.LBB35_552:
	ds_read_b64 v[73:74], v76
.LBB35_553:
	v_cmp_ne_u32_e32 vcc, 21, v0
	s_and_saveexec_b64 s[8:9], vcc
	s_cbranch_execz .LBB35_557
; %bb.554:
	s_mov_b32 s10, 0
	v_add_u32_e32 v78, 0x128, v75
	v_add3_u32 v79, v75, s10, 8
	s_mov_b64 s[10:11], 0
	v_mov_b32_e32 v80, v0
.LBB35_555:                             ; =>This Inner Loop Header: Depth=1
	buffer_load_dword v81, v79, s[0:3], 0 offen
	buffer_load_dword v82, v79, s[0:3], 0 offen offset:4
	ds_read_b64 v[83:84], v78
	v_add_u32_e32 v80, 1, v80
	v_cmp_lt_u32_e32 vcc, 20, v80
	v_add_u32_e32 v78, 8, v78
	s_or_b64 s[10:11], vcc, s[10:11]
	v_add_u32_e32 v79, 8, v79
	s_waitcnt vmcnt(0) lgkmcnt(0)
	v_fma_f64 v[73:74], v[81:82], v[83:84], v[73:74]
	s_andn2_b64 exec, exec, s[10:11]
	s_cbranch_execnz .LBB35_555
; %bb.556:
	s_or_b64 exec, exec, s[10:11]
.LBB35_557:
	s_or_b64 exec, exec, s[8:9]
	v_mov_b32_e32 v78, 0
	ds_read_b64 v[78:79], v78 offset:176
	s_waitcnt lgkmcnt(0)
	v_mul_f64 v[73:74], v[73:74], v[78:79]
	buffer_store_dword v74, off, s[0:3], 0 offset:180
	buffer_store_dword v73, off, s[0:3], 0 offset:176
.LBB35_558:
	s_or_b64 exec, exec, s[6:7]
	buffer_load_dword v73, off, s[0:3], 0 offset:184
	buffer_load_dword v74, off, s[0:3], 0 offset:188
	v_cmp_gt_u32_e32 vcc, 23, v0
	s_waitcnt vmcnt(0)
	ds_write_b64 v76, v[73:74]
	s_waitcnt lgkmcnt(0)
	; wave barrier
	s_and_saveexec_b64 s[6:7], vcc
	s_cbranch_execz .LBB35_568
; %bb.559:
	s_and_b64 vcc, exec, s[4:5]
	s_cbranch_vccnz .LBB35_561
; %bb.560:
	buffer_load_dword v73, v77, s[0:3], 0 offen
	buffer_load_dword v74, v77, s[0:3], 0 offen offset:4
	ds_read_b64 v[78:79], v76
	s_waitcnt vmcnt(0) lgkmcnt(0)
	v_mul_f64 v[73:74], v[73:74], v[78:79]
	s_cbranch_execz .LBB35_562
	s_branch .LBB35_563
.LBB35_561:
                                        ; implicit-def: $vgpr73_vgpr74
.LBB35_562:
	ds_read_b64 v[73:74], v76
.LBB35_563:
	v_cmp_ne_u32_e32 vcc, 22, v0
	s_and_saveexec_b64 s[8:9], vcc
	s_cbranch_execz .LBB35_567
; %bb.564:
	s_mov_b32 s10, 0
	v_add_u32_e32 v78, 0x128, v75
	v_add3_u32 v79, v75, s10, 8
	s_mov_b64 s[10:11], 0
	v_mov_b32_e32 v80, v0
.LBB35_565:                             ; =>This Inner Loop Header: Depth=1
	buffer_load_dword v81, v79, s[0:3], 0 offen
	buffer_load_dword v82, v79, s[0:3], 0 offen offset:4
	ds_read_b64 v[83:84], v78
	v_add_u32_e32 v80, 1, v80
	v_cmp_lt_u32_e32 vcc, 21, v80
	v_add_u32_e32 v78, 8, v78
	s_or_b64 s[10:11], vcc, s[10:11]
	v_add_u32_e32 v79, 8, v79
	s_waitcnt vmcnt(0) lgkmcnt(0)
	v_fma_f64 v[73:74], v[81:82], v[83:84], v[73:74]
	s_andn2_b64 exec, exec, s[10:11]
	s_cbranch_execnz .LBB35_565
; %bb.566:
	s_or_b64 exec, exec, s[10:11]
.LBB35_567:
	s_or_b64 exec, exec, s[8:9]
	v_mov_b32_e32 v78, 0
	ds_read_b64 v[78:79], v78 offset:184
	s_waitcnt lgkmcnt(0)
	v_mul_f64 v[73:74], v[73:74], v[78:79]
	buffer_store_dword v74, off, s[0:3], 0 offset:188
	buffer_store_dword v73, off, s[0:3], 0 offset:184
.LBB35_568:
	s_or_b64 exec, exec, s[6:7]
	buffer_load_dword v73, off, s[0:3], 0 offset:192
	buffer_load_dword v74, off, s[0:3], 0 offset:196
	v_cmp_gt_u32_e32 vcc, 24, v0
	s_waitcnt vmcnt(0)
	ds_write_b64 v76, v[73:74]
	s_waitcnt lgkmcnt(0)
	; wave barrier
	s_and_saveexec_b64 s[6:7], vcc
	s_cbranch_execz .LBB35_578
; %bb.569:
	s_and_b64 vcc, exec, s[4:5]
	s_cbranch_vccnz .LBB35_571
; %bb.570:
	buffer_load_dword v73, v77, s[0:3], 0 offen
	buffer_load_dword v74, v77, s[0:3], 0 offen offset:4
	ds_read_b64 v[78:79], v76
	s_waitcnt vmcnt(0) lgkmcnt(0)
	v_mul_f64 v[73:74], v[73:74], v[78:79]
	s_cbranch_execz .LBB35_572
	s_branch .LBB35_573
.LBB35_571:
                                        ; implicit-def: $vgpr73_vgpr74
.LBB35_572:
	ds_read_b64 v[73:74], v76
.LBB35_573:
	v_cmp_ne_u32_e32 vcc, 23, v0
	s_and_saveexec_b64 s[8:9], vcc
	s_cbranch_execz .LBB35_577
; %bb.574:
	s_mov_b32 s10, 0
	v_add_u32_e32 v78, 0x128, v75
	v_add3_u32 v79, v75, s10, 8
	s_mov_b64 s[10:11], 0
	v_mov_b32_e32 v80, v0
.LBB35_575:                             ; =>This Inner Loop Header: Depth=1
	buffer_load_dword v81, v79, s[0:3], 0 offen
	buffer_load_dword v82, v79, s[0:3], 0 offen offset:4
	ds_read_b64 v[83:84], v78
	v_add_u32_e32 v80, 1, v80
	v_cmp_lt_u32_e32 vcc, 22, v80
	v_add_u32_e32 v78, 8, v78
	s_or_b64 s[10:11], vcc, s[10:11]
	v_add_u32_e32 v79, 8, v79
	s_waitcnt vmcnt(0) lgkmcnt(0)
	v_fma_f64 v[73:74], v[81:82], v[83:84], v[73:74]
	s_andn2_b64 exec, exec, s[10:11]
	s_cbranch_execnz .LBB35_575
; %bb.576:
	s_or_b64 exec, exec, s[10:11]
.LBB35_577:
	s_or_b64 exec, exec, s[8:9]
	v_mov_b32_e32 v78, 0
	ds_read_b64 v[78:79], v78 offset:192
	s_waitcnt lgkmcnt(0)
	v_mul_f64 v[73:74], v[73:74], v[78:79]
	buffer_store_dword v74, off, s[0:3], 0 offset:196
	buffer_store_dword v73, off, s[0:3], 0 offset:192
.LBB35_578:
	s_or_b64 exec, exec, s[6:7]
	buffer_load_dword v73, off, s[0:3], 0 offset:200
	buffer_load_dword v74, off, s[0:3], 0 offset:204
	v_cmp_gt_u32_e32 vcc, 25, v0
	s_waitcnt vmcnt(0)
	ds_write_b64 v76, v[73:74]
	s_waitcnt lgkmcnt(0)
	; wave barrier
	s_and_saveexec_b64 s[6:7], vcc
	s_cbranch_execz .LBB35_588
; %bb.579:
	s_and_b64 vcc, exec, s[4:5]
	s_cbranch_vccnz .LBB35_581
; %bb.580:
	buffer_load_dword v73, v77, s[0:3], 0 offen
	buffer_load_dword v74, v77, s[0:3], 0 offen offset:4
	ds_read_b64 v[78:79], v76
	s_waitcnt vmcnt(0) lgkmcnt(0)
	v_mul_f64 v[73:74], v[73:74], v[78:79]
	s_cbranch_execz .LBB35_582
	s_branch .LBB35_583
.LBB35_581:
                                        ; implicit-def: $vgpr73_vgpr74
.LBB35_582:
	ds_read_b64 v[73:74], v76
.LBB35_583:
	v_cmp_ne_u32_e32 vcc, 24, v0
	s_and_saveexec_b64 s[8:9], vcc
	s_cbranch_execz .LBB35_587
; %bb.584:
	s_mov_b32 s10, 0
	v_add_u32_e32 v78, 0x128, v75
	v_add3_u32 v79, v75, s10, 8
	s_mov_b64 s[10:11], 0
	v_mov_b32_e32 v80, v0
.LBB35_585:                             ; =>This Inner Loop Header: Depth=1
	buffer_load_dword v81, v79, s[0:3], 0 offen
	buffer_load_dword v82, v79, s[0:3], 0 offen offset:4
	ds_read_b64 v[83:84], v78
	v_add_u32_e32 v80, 1, v80
	v_cmp_lt_u32_e32 vcc, 23, v80
	v_add_u32_e32 v78, 8, v78
	s_or_b64 s[10:11], vcc, s[10:11]
	v_add_u32_e32 v79, 8, v79
	s_waitcnt vmcnt(0) lgkmcnt(0)
	v_fma_f64 v[73:74], v[81:82], v[83:84], v[73:74]
	s_andn2_b64 exec, exec, s[10:11]
	s_cbranch_execnz .LBB35_585
; %bb.586:
	s_or_b64 exec, exec, s[10:11]
.LBB35_587:
	s_or_b64 exec, exec, s[8:9]
	v_mov_b32_e32 v78, 0
	ds_read_b64 v[78:79], v78 offset:200
	s_waitcnt lgkmcnt(0)
	v_mul_f64 v[73:74], v[73:74], v[78:79]
	buffer_store_dword v74, off, s[0:3], 0 offset:204
	buffer_store_dword v73, off, s[0:3], 0 offset:200
.LBB35_588:
	s_or_b64 exec, exec, s[6:7]
	buffer_load_dword v73, off, s[0:3], 0 offset:208
	buffer_load_dword v74, off, s[0:3], 0 offset:212
	v_cmp_gt_u32_e32 vcc, 26, v0
	s_waitcnt vmcnt(0)
	ds_write_b64 v76, v[73:74]
	s_waitcnt lgkmcnt(0)
	; wave barrier
	s_and_saveexec_b64 s[6:7], vcc
	s_cbranch_execz .LBB35_598
; %bb.589:
	s_and_b64 vcc, exec, s[4:5]
	s_cbranch_vccnz .LBB35_591
; %bb.590:
	buffer_load_dword v73, v77, s[0:3], 0 offen
	buffer_load_dword v74, v77, s[0:3], 0 offen offset:4
	ds_read_b64 v[78:79], v76
	s_waitcnt vmcnt(0) lgkmcnt(0)
	v_mul_f64 v[73:74], v[73:74], v[78:79]
	s_cbranch_execz .LBB35_592
	s_branch .LBB35_593
.LBB35_591:
                                        ; implicit-def: $vgpr73_vgpr74
.LBB35_592:
	ds_read_b64 v[73:74], v76
.LBB35_593:
	v_cmp_ne_u32_e32 vcc, 25, v0
	s_and_saveexec_b64 s[8:9], vcc
	s_cbranch_execz .LBB35_597
; %bb.594:
	s_mov_b32 s10, 0
	v_add_u32_e32 v78, 0x128, v75
	v_add3_u32 v79, v75, s10, 8
	s_mov_b64 s[10:11], 0
	v_mov_b32_e32 v80, v0
.LBB35_595:                             ; =>This Inner Loop Header: Depth=1
	buffer_load_dword v81, v79, s[0:3], 0 offen
	buffer_load_dword v82, v79, s[0:3], 0 offen offset:4
	ds_read_b64 v[83:84], v78
	v_add_u32_e32 v80, 1, v80
	v_cmp_lt_u32_e32 vcc, 24, v80
	v_add_u32_e32 v78, 8, v78
	s_or_b64 s[10:11], vcc, s[10:11]
	v_add_u32_e32 v79, 8, v79
	s_waitcnt vmcnt(0) lgkmcnt(0)
	v_fma_f64 v[73:74], v[81:82], v[83:84], v[73:74]
	s_andn2_b64 exec, exec, s[10:11]
	s_cbranch_execnz .LBB35_595
; %bb.596:
	s_or_b64 exec, exec, s[10:11]
.LBB35_597:
	s_or_b64 exec, exec, s[8:9]
	v_mov_b32_e32 v78, 0
	ds_read_b64 v[78:79], v78 offset:208
	s_waitcnt lgkmcnt(0)
	v_mul_f64 v[73:74], v[73:74], v[78:79]
	buffer_store_dword v74, off, s[0:3], 0 offset:212
	buffer_store_dword v73, off, s[0:3], 0 offset:208
.LBB35_598:
	s_or_b64 exec, exec, s[6:7]
	buffer_load_dword v73, off, s[0:3], 0 offset:216
	buffer_load_dword v74, off, s[0:3], 0 offset:220
	v_cmp_gt_u32_e32 vcc, 27, v0
	s_waitcnt vmcnt(0)
	ds_write_b64 v76, v[73:74]
	s_waitcnt lgkmcnt(0)
	; wave barrier
	s_and_saveexec_b64 s[6:7], vcc
	s_cbranch_execz .LBB35_608
; %bb.599:
	s_and_b64 vcc, exec, s[4:5]
	s_cbranch_vccnz .LBB35_601
; %bb.600:
	buffer_load_dword v73, v77, s[0:3], 0 offen
	buffer_load_dword v74, v77, s[0:3], 0 offen offset:4
	ds_read_b64 v[78:79], v76
	s_waitcnt vmcnt(0) lgkmcnt(0)
	v_mul_f64 v[73:74], v[73:74], v[78:79]
	s_cbranch_execz .LBB35_602
	s_branch .LBB35_603
.LBB35_601:
                                        ; implicit-def: $vgpr73_vgpr74
.LBB35_602:
	ds_read_b64 v[73:74], v76
.LBB35_603:
	v_cmp_ne_u32_e32 vcc, 26, v0
	s_and_saveexec_b64 s[8:9], vcc
	s_cbranch_execz .LBB35_607
; %bb.604:
	s_mov_b32 s10, 0
	v_add_u32_e32 v78, 0x128, v75
	v_add3_u32 v79, v75, s10, 8
	s_mov_b64 s[10:11], 0
	v_mov_b32_e32 v80, v0
.LBB35_605:                             ; =>This Inner Loop Header: Depth=1
	buffer_load_dword v81, v79, s[0:3], 0 offen
	buffer_load_dword v82, v79, s[0:3], 0 offen offset:4
	ds_read_b64 v[83:84], v78
	v_add_u32_e32 v80, 1, v80
	v_cmp_lt_u32_e32 vcc, 25, v80
	v_add_u32_e32 v78, 8, v78
	s_or_b64 s[10:11], vcc, s[10:11]
	v_add_u32_e32 v79, 8, v79
	s_waitcnt vmcnt(0) lgkmcnt(0)
	v_fma_f64 v[73:74], v[81:82], v[83:84], v[73:74]
	s_andn2_b64 exec, exec, s[10:11]
	s_cbranch_execnz .LBB35_605
; %bb.606:
	s_or_b64 exec, exec, s[10:11]
.LBB35_607:
	s_or_b64 exec, exec, s[8:9]
	v_mov_b32_e32 v78, 0
	ds_read_b64 v[78:79], v78 offset:216
	s_waitcnt lgkmcnt(0)
	v_mul_f64 v[73:74], v[73:74], v[78:79]
	buffer_store_dword v74, off, s[0:3], 0 offset:220
	buffer_store_dword v73, off, s[0:3], 0 offset:216
.LBB35_608:
	s_or_b64 exec, exec, s[6:7]
	buffer_load_dword v73, off, s[0:3], 0 offset:224
	buffer_load_dword v74, off, s[0:3], 0 offset:228
	v_cmp_gt_u32_e32 vcc, 28, v0
	s_waitcnt vmcnt(0)
	ds_write_b64 v76, v[73:74]
	s_waitcnt lgkmcnt(0)
	; wave barrier
	s_and_saveexec_b64 s[6:7], vcc
	s_cbranch_execz .LBB35_618
; %bb.609:
	s_and_b64 vcc, exec, s[4:5]
	s_cbranch_vccnz .LBB35_611
; %bb.610:
	buffer_load_dword v73, v77, s[0:3], 0 offen
	buffer_load_dword v74, v77, s[0:3], 0 offen offset:4
	ds_read_b64 v[78:79], v76
	s_waitcnt vmcnt(0) lgkmcnt(0)
	v_mul_f64 v[73:74], v[73:74], v[78:79]
	s_cbranch_execz .LBB35_612
	s_branch .LBB35_613
.LBB35_611:
                                        ; implicit-def: $vgpr73_vgpr74
.LBB35_612:
	ds_read_b64 v[73:74], v76
.LBB35_613:
	v_cmp_ne_u32_e32 vcc, 27, v0
	s_and_saveexec_b64 s[8:9], vcc
	s_cbranch_execz .LBB35_617
; %bb.614:
	s_mov_b32 s10, 0
	v_add_u32_e32 v78, 0x128, v75
	v_add3_u32 v79, v75, s10, 8
	s_mov_b64 s[10:11], 0
	v_mov_b32_e32 v80, v0
.LBB35_615:                             ; =>This Inner Loop Header: Depth=1
	buffer_load_dword v81, v79, s[0:3], 0 offen
	buffer_load_dword v82, v79, s[0:3], 0 offen offset:4
	ds_read_b64 v[83:84], v78
	v_add_u32_e32 v80, 1, v80
	v_cmp_lt_u32_e32 vcc, 26, v80
	v_add_u32_e32 v78, 8, v78
	s_or_b64 s[10:11], vcc, s[10:11]
	v_add_u32_e32 v79, 8, v79
	s_waitcnt vmcnt(0) lgkmcnt(0)
	v_fma_f64 v[73:74], v[81:82], v[83:84], v[73:74]
	s_andn2_b64 exec, exec, s[10:11]
	s_cbranch_execnz .LBB35_615
; %bb.616:
	s_or_b64 exec, exec, s[10:11]
.LBB35_617:
	s_or_b64 exec, exec, s[8:9]
	v_mov_b32_e32 v78, 0
	ds_read_b64 v[78:79], v78 offset:224
	s_waitcnt lgkmcnt(0)
	v_mul_f64 v[73:74], v[73:74], v[78:79]
	buffer_store_dword v74, off, s[0:3], 0 offset:228
	buffer_store_dword v73, off, s[0:3], 0 offset:224
.LBB35_618:
	s_or_b64 exec, exec, s[6:7]
	buffer_load_dword v73, off, s[0:3], 0 offset:232
	buffer_load_dword v74, off, s[0:3], 0 offset:236
	v_cmp_gt_u32_e32 vcc, 29, v0
	s_waitcnt vmcnt(0)
	ds_write_b64 v76, v[73:74]
	s_waitcnt lgkmcnt(0)
	; wave barrier
	s_and_saveexec_b64 s[6:7], vcc
	s_cbranch_execz .LBB35_628
; %bb.619:
	s_and_b64 vcc, exec, s[4:5]
	s_cbranch_vccnz .LBB35_621
; %bb.620:
	buffer_load_dword v73, v77, s[0:3], 0 offen
	buffer_load_dword v74, v77, s[0:3], 0 offen offset:4
	ds_read_b64 v[78:79], v76
	s_waitcnt vmcnt(0) lgkmcnt(0)
	v_mul_f64 v[73:74], v[73:74], v[78:79]
	s_cbranch_execz .LBB35_622
	s_branch .LBB35_623
.LBB35_621:
                                        ; implicit-def: $vgpr73_vgpr74
.LBB35_622:
	ds_read_b64 v[73:74], v76
.LBB35_623:
	v_cmp_ne_u32_e32 vcc, 28, v0
	s_and_saveexec_b64 s[8:9], vcc
	s_cbranch_execz .LBB35_627
; %bb.624:
	s_mov_b32 s10, 0
	v_add_u32_e32 v78, 0x128, v75
	v_add3_u32 v79, v75, s10, 8
	s_mov_b64 s[10:11], 0
	v_mov_b32_e32 v80, v0
.LBB35_625:                             ; =>This Inner Loop Header: Depth=1
	buffer_load_dword v81, v79, s[0:3], 0 offen
	buffer_load_dword v82, v79, s[0:3], 0 offen offset:4
	ds_read_b64 v[83:84], v78
	v_add_u32_e32 v80, 1, v80
	v_cmp_lt_u32_e32 vcc, 27, v80
	v_add_u32_e32 v78, 8, v78
	s_or_b64 s[10:11], vcc, s[10:11]
	v_add_u32_e32 v79, 8, v79
	s_waitcnt vmcnt(0) lgkmcnt(0)
	v_fma_f64 v[73:74], v[81:82], v[83:84], v[73:74]
	s_andn2_b64 exec, exec, s[10:11]
	s_cbranch_execnz .LBB35_625
; %bb.626:
	s_or_b64 exec, exec, s[10:11]
.LBB35_627:
	s_or_b64 exec, exec, s[8:9]
	v_mov_b32_e32 v78, 0
	ds_read_b64 v[78:79], v78 offset:232
	s_waitcnt lgkmcnt(0)
	v_mul_f64 v[73:74], v[73:74], v[78:79]
	buffer_store_dword v74, off, s[0:3], 0 offset:236
	buffer_store_dword v73, off, s[0:3], 0 offset:232
.LBB35_628:
	s_or_b64 exec, exec, s[6:7]
	buffer_load_dword v73, off, s[0:3], 0 offset:240
	buffer_load_dword v74, off, s[0:3], 0 offset:244
	v_cmp_gt_u32_e32 vcc, 30, v0
	s_waitcnt vmcnt(0)
	ds_write_b64 v76, v[73:74]
	s_waitcnt lgkmcnt(0)
	; wave barrier
	s_and_saveexec_b64 s[6:7], vcc
	s_cbranch_execz .LBB35_638
; %bb.629:
	s_and_b64 vcc, exec, s[4:5]
	s_cbranch_vccnz .LBB35_631
; %bb.630:
	buffer_load_dword v73, v77, s[0:3], 0 offen
	buffer_load_dword v74, v77, s[0:3], 0 offen offset:4
	ds_read_b64 v[78:79], v76
	s_waitcnt vmcnt(0) lgkmcnt(0)
	v_mul_f64 v[73:74], v[73:74], v[78:79]
	s_cbranch_execz .LBB35_632
	s_branch .LBB35_633
.LBB35_631:
                                        ; implicit-def: $vgpr73_vgpr74
.LBB35_632:
	ds_read_b64 v[73:74], v76
.LBB35_633:
	v_cmp_ne_u32_e32 vcc, 29, v0
	s_and_saveexec_b64 s[8:9], vcc
	s_cbranch_execz .LBB35_637
; %bb.634:
	s_mov_b32 s10, 0
	v_add_u32_e32 v78, 0x128, v75
	v_add3_u32 v79, v75, s10, 8
	s_mov_b64 s[10:11], 0
	v_mov_b32_e32 v80, v0
.LBB35_635:                             ; =>This Inner Loop Header: Depth=1
	buffer_load_dword v81, v79, s[0:3], 0 offen
	buffer_load_dword v82, v79, s[0:3], 0 offen offset:4
	ds_read_b64 v[83:84], v78
	v_add_u32_e32 v80, 1, v80
	v_cmp_lt_u32_e32 vcc, 28, v80
	v_add_u32_e32 v78, 8, v78
	s_or_b64 s[10:11], vcc, s[10:11]
	v_add_u32_e32 v79, 8, v79
	s_waitcnt vmcnt(0) lgkmcnt(0)
	v_fma_f64 v[73:74], v[81:82], v[83:84], v[73:74]
	s_andn2_b64 exec, exec, s[10:11]
	s_cbranch_execnz .LBB35_635
; %bb.636:
	s_or_b64 exec, exec, s[10:11]
.LBB35_637:
	s_or_b64 exec, exec, s[8:9]
	v_mov_b32_e32 v78, 0
	ds_read_b64 v[78:79], v78 offset:240
	s_waitcnt lgkmcnt(0)
	v_mul_f64 v[73:74], v[73:74], v[78:79]
	buffer_store_dword v74, off, s[0:3], 0 offset:244
	buffer_store_dword v73, off, s[0:3], 0 offset:240
.LBB35_638:
	s_or_b64 exec, exec, s[6:7]
	buffer_load_dword v73, off, s[0:3], 0 offset:248
	buffer_load_dword v74, off, s[0:3], 0 offset:252
	v_cmp_gt_u32_e32 vcc, 31, v0
	s_waitcnt vmcnt(0)
	ds_write_b64 v76, v[73:74]
	s_waitcnt lgkmcnt(0)
	; wave barrier
	s_and_saveexec_b64 s[6:7], vcc
	s_cbranch_execz .LBB35_648
; %bb.639:
	s_and_b64 vcc, exec, s[4:5]
	s_cbranch_vccnz .LBB35_641
; %bb.640:
	buffer_load_dword v73, v77, s[0:3], 0 offen
	buffer_load_dword v74, v77, s[0:3], 0 offen offset:4
	ds_read_b64 v[78:79], v76
	s_waitcnt vmcnt(0) lgkmcnt(0)
	v_mul_f64 v[73:74], v[73:74], v[78:79]
	s_cbranch_execz .LBB35_642
	s_branch .LBB35_643
.LBB35_641:
                                        ; implicit-def: $vgpr73_vgpr74
.LBB35_642:
	ds_read_b64 v[73:74], v76
.LBB35_643:
	v_cmp_ne_u32_e32 vcc, 30, v0
	s_and_saveexec_b64 s[8:9], vcc
	s_cbranch_execz .LBB35_647
; %bb.644:
	s_mov_b32 s10, 0
	v_add_u32_e32 v78, 0x128, v75
	v_add3_u32 v79, v75, s10, 8
	s_mov_b64 s[10:11], 0
	v_mov_b32_e32 v80, v0
.LBB35_645:                             ; =>This Inner Loop Header: Depth=1
	buffer_load_dword v81, v79, s[0:3], 0 offen
	buffer_load_dword v82, v79, s[0:3], 0 offen offset:4
	ds_read_b64 v[83:84], v78
	v_add_u32_e32 v80, 1, v80
	v_cmp_lt_u32_e32 vcc, 29, v80
	v_add_u32_e32 v78, 8, v78
	s_or_b64 s[10:11], vcc, s[10:11]
	v_add_u32_e32 v79, 8, v79
	s_waitcnt vmcnt(0) lgkmcnt(0)
	v_fma_f64 v[73:74], v[81:82], v[83:84], v[73:74]
	s_andn2_b64 exec, exec, s[10:11]
	s_cbranch_execnz .LBB35_645
; %bb.646:
	s_or_b64 exec, exec, s[10:11]
.LBB35_647:
	s_or_b64 exec, exec, s[8:9]
	v_mov_b32_e32 v78, 0
	ds_read_b64 v[78:79], v78 offset:248
	s_waitcnt lgkmcnt(0)
	v_mul_f64 v[73:74], v[73:74], v[78:79]
	buffer_store_dword v74, off, s[0:3], 0 offset:252
	buffer_store_dword v73, off, s[0:3], 0 offset:248
.LBB35_648:
	s_or_b64 exec, exec, s[6:7]
	buffer_load_dword v73, off, s[0:3], 0 offset:256
	buffer_load_dword v74, off, s[0:3], 0 offset:260
	v_cmp_gt_u32_e32 vcc, 32, v0
	s_waitcnt vmcnt(0)
	ds_write_b64 v76, v[73:74]
	s_waitcnt lgkmcnt(0)
	; wave barrier
	s_and_saveexec_b64 s[6:7], vcc
	s_cbranch_execz .LBB35_658
; %bb.649:
	s_and_b64 vcc, exec, s[4:5]
	s_cbranch_vccnz .LBB35_651
; %bb.650:
	buffer_load_dword v73, v77, s[0:3], 0 offen
	buffer_load_dword v74, v77, s[0:3], 0 offen offset:4
	ds_read_b64 v[78:79], v76
	s_waitcnt vmcnt(0) lgkmcnt(0)
	v_mul_f64 v[73:74], v[73:74], v[78:79]
	s_cbranch_execz .LBB35_652
	s_branch .LBB35_653
.LBB35_651:
                                        ; implicit-def: $vgpr73_vgpr74
.LBB35_652:
	ds_read_b64 v[73:74], v76
.LBB35_653:
	v_cmp_ne_u32_e32 vcc, 31, v0
	s_and_saveexec_b64 s[8:9], vcc
	s_cbranch_execz .LBB35_657
; %bb.654:
	s_mov_b32 s10, 0
	v_add_u32_e32 v78, 0x128, v75
	v_add3_u32 v79, v75, s10, 8
	s_mov_b64 s[10:11], 0
	v_mov_b32_e32 v80, v0
.LBB35_655:                             ; =>This Inner Loop Header: Depth=1
	buffer_load_dword v81, v79, s[0:3], 0 offen
	buffer_load_dword v82, v79, s[0:3], 0 offen offset:4
	ds_read_b64 v[83:84], v78
	v_add_u32_e32 v80, 1, v80
	v_cmp_lt_u32_e32 vcc, 30, v80
	v_add_u32_e32 v78, 8, v78
	s_or_b64 s[10:11], vcc, s[10:11]
	v_add_u32_e32 v79, 8, v79
	s_waitcnt vmcnt(0) lgkmcnt(0)
	v_fma_f64 v[73:74], v[81:82], v[83:84], v[73:74]
	s_andn2_b64 exec, exec, s[10:11]
	s_cbranch_execnz .LBB35_655
; %bb.656:
	s_or_b64 exec, exec, s[10:11]
.LBB35_657:
	s_or_b64 exec, exec, s[8:9]
	v_mov_b32_e32 v78, 0
	ds_read_b64 v[78:79], v78 offset:256
	s_waitcnt lgkmcnt(0)
	v_mul_f64 v[73:74], v[73:74], v[78:79]
	buffer_store_dword v74, off, s[0:3], 0 offset:260
	buffer_store_dword v73, off, s[0:3], 0 offset:256
.LBB35_658:
	s_or_b64 exec, exec, s[6:7]
	buffer_load_dword v73, off, s[0:3], 0 offset:264
	buffer_load_dword v74, off, s[0:3], 0 offset:268
	v_cmp_gt_u32_e32 vcc, 33, v0
	s_waitcnt vmcnt(0)
	ds_write_b64 v76, v[73:74]
	s_waitcnt lgkmcnt(0)
	; wave barrier
	s_and_saveexec_b64 s[6:7], vcc
	s_cbranch_execz .LBB35_668
; %bb.659:
	s_and_b64 vcc, exec, s[4:5]
	s_cbranch_vccnz .LBB35_661
; %bb.660:
	buffer_load_dword v73, v77, s[0:3], 0 offen
	buffer_load_dword v74, v77, s[0:3], 0 offen offset:4
	ds_read_b64 v[78:79], v76
	s_waitcnt vmcnt(0) lgkmcnt(0)
	v_mul_f64 v[73:74], v[73:74], v[78:79]
	s_cbranch_execz .LBB35_662
	s_branch .LBB35_663
.LBB35_661:
                                        ; implicit-def: $vgpr73_vgpr74
.LBB35_662:
	ds_read_b64 v[73:74], v76
.LBB35_663:
	v_cmp_ne_u32_e32 vcc, 32, v0
	s_and_saveexec_b64 s[8:9], vcc
	s_cbranch_execz .LBB35_667
; %bb.664:
	s_mov_b32 s10, 0
	v_add_u32_e32 v78, 0x128, v75
	v_add3_u32 v79, v75, s10, 8
	s_mov_b64 s[10:11], 0
	v_mov_b32_e32 v80, v0
.LBB35_665:                             ; =>This Inner Loop Header: Depth=1
	buffer_load_dword v81, v79, s[0:3], 0 offen
	buffer_load_dword v82, v79, s[0:3], 0 offen offset:4
	ds_read_b64 v[83:84], v78
	v_add_u32_e32 v80, 1, v80
	v_cmp_lt_u32_e32 vcc, 31, v80
	v_add_u32_e32 v78, 8, v78
	s_or_b64 s[10:11], vcc, s[10:11]
	v_add_u32_e32 v79, 8, v79
	s_waitcnt vmcnt(0) lgkmcnt(0)
	v_fma_f64 v[73:74], v[81:82], v[83:84], v[73:74]
	s_andn2_b64 exec, exec, s[10:11]
	s_cbranch_execnz .LBB35_665
; %bb.666:
	s_or_b64 exec, exec, s[10:11]
.LBB35_667:
	s_or_b64 exec, exec, s[8:9]
	v_mov_b32_e32 v78, 0
	ds_read_b64 v[78:79], v78 offset:264
	s_waitcnt lgkmcnt(0)
	v_mul_f64 v[73:74], v[73:74], v[78:79]
	buffer_store_dword v74, off, s[0:3], 0 offset:268
	buffer_store_dword v73, off, s[0:3], 0 offset:264
.LBB35_668:
	s_or_b64 exec, exec, s[6:7]
	buffer_load_dword v73, off, s[0:3], 0 offset:272
	buffer_load_dword v74, off, s[0:3], 0 offset:276
	v_cmp_gt_u32_e64 s[6:7], 34, v0
	s_waitcnt vmcnt(0)
	ds_write_b64 v76, v[73:74]
	s_waitcnt lgkmcnt(0)
	; wave barrier
	s_and_saveexec_b64 s[8:9], s[6:7]
	s_cbranch_execz .LBB35_678
; %bb.669:
	s_and_b64 vcc, exec, s[4:5]
	s_cbranch_vccnz .LBB35_671
; %bb.670:
	buffer_load_dword v73, v77, s[0:3], 0 offen
	buffer_load_dword v74, v77, s[0:3], 0 offen offset:4
	ds_read_b64 v[78:79], v76
	s_waitcnt vmcnt(0) lgkmcnt(0)
	v_mul_f64 v[73:74], v[73:74], v[78:79]
	s_cbranch_execz .LBB35_672
	s_branch .LBB35_673
.LBB35_671:
                                        ; implicit-def: $vgpr73_vgpr74
.LBB35_672:
	ds_read_b64 v[73:74], v76
.LBB35_673:
	v_cmp_ne_u32_e32 vcc, 33, v0
	s_and_saveexec_b64 s[10:11], vcc
	s_cbranch_execz .LBB35_677
; %bb.674:
	s_mov_b32 s12, 0
	v_add_u32_e32 v78, 0x128, v75
	v_add3_u32 v79, v75, s12, 8
	s_mov_b64 s[12:13], 0
	v_mov_b32_e32 v80, v0
.LBB35_675:                             ; =>This Inner Loop Header: Depth=1
	buffer_load_dword v81, v79, s[0:3], 0 offen
	buffer_load_dword v82, v79, s[0:3], 0 offen offset:4
	ds_read_b64 v[83:84], v78
	v_add_u32_e32 v80, 1, v80
	v_cmp_lt_u32_e32 vcc, 32, v80
	v_add_u32_e32 v78, 8, v78
	s_or_b64 s[12:13], vcc, s[12:13]
	v_add_u32_e32 v79, 8, v79
	s_waitcnt vmcnt(0) lgkmcnt(0)
	v_fma_f64 v[73:74], v[81:82], v[83:84], v[73:74]
	s_andn2_b64 exec, exec, s[12:13]
	s_cbranch_execnz .LBB35_675
; %bb.676:
	s_or_b64 exec, exec, s[12:13]
.LBB35_677:
	s_or_b64 exec, exec, s[10:11]
	v_mov_b32_e32 v78, 0
	ds_read_b64 v[78:79], v78 offset:272
	s_waitcnt lgkmcnt(0)
	v_mul_f64 v[73:74], v[73:74], v[78:79]
	buffer_store_dword v74, off, s[0:3], 0 offset:276
	buffer_store_dword v73, off, s[0:3], 0 offset:272
.LBB35_678:
	s_or_b64 exec, exec, s[8:9]
	buffer_load_dword v73, off, s[0:3], 0 offset:280
	buffer_load_dword v74, off, s[0:3], 0 offset:284
	v_cmp_ne_u32_e32 vcc, 35, v0
	s_waitcnt vmcnt(0)
	ds_write_b64 v76, v[73:74]
	s_waitcnt lgkmcnt(0)
	; wave barrier
	s_and_saveexec_b64 s[8:9], vcc
	s_cbranch_execz .LBB35_688
; %bb.679:
	s_and_b64 vcc, exec, s[4:5]
	s_cbranch_vccnz .LBB35_681
; %bb.680:
	buffer_load_dword v73, v77, s[0:3], 0 offen
	buffer_load_dword v74, v77, s[0:3], 0 offen offset:4
	ds_read_b64 v[77:78], v76
	s_waitcnt vmcnt(0) lgkmcnt(0)
	v_mul_f64 v[73:74], v[73:74], v[77:78]
	s_cbranch_execz .LBB35_682
	s_branch .LBB35_683
.LBB35_681:
                                        ; implicit-def: $vgpr73_vgpr74
.LBB35_682:
	ds_read_b64 v[73:74], v76
.LBB35_683:
	s_and_saveexec_b64 s[4:5], s[6:7]
	s_cbranch_execz .LBB35_687
; %bb.684:
	s_mov_b32 s6, 0
	v_add_u32_e32 v76, 0x128, v75
	v_add3_u32 v75, v75, s6, 8
	s_mov_b64 s[6:7], 0
.LBB35_685:                             ; =>This Inner Loop Header: Depth=1
	buffer_load_dword v77, v75, s[0:3], 0 offen
	buffer_load_dword v78, v75, s[0:3], 0 offen offset:4
	ds_read_b64 v[79:80], v76
	v_add_u32_e32 v0, 1, v0
	v_cmp_lt_u32_e32 vcc, 33, v0
	v_add_u32_e32 v76, 8, v76
	s_or_b64 s[6:7], vcc, s[6:7]
	v_add_u32_e32 v75, 8, v75
	s_waitcnt vmcnt(0) lgkmcnt(0)
	v_fma_f64 v[73:74], v[77:78], v[79:80], v[73:74]
	s_andn2_b64 exec, exec, s[6:7]
	s_cbranch_execnz .LBB35_685
; %bb.686:
	s_or_b64 exec, exec, s[6:7]
.LBB35_687:
	s_or_b64 exec, exec, s[4:5]
	v_mov_b32_e32 v0, 0
	ds_read_b64 v[75:76], v0 offset:280
	s_waitcnt lgkmcnt(0)
	v_mul_f64 v[73:74], v[73:74], v[75:76]
	buffer_store_dword v74, off, s[0:3], 0 offset:284
	buffer_store_dword v73, off, s[0:3], 0 offset:280
.LBB35_688:
	s_or_b64 exec, exec, s[8:9]
.LBB35_689:
	buffer_load_dword v73, off, s[0:3], 0
	buffer_load_dword v74, off, s[0:3], 0 offset:4
	buffer_load_dword v75, off, s[0:3], 0 offset:8
	;; [unrolled: 1-line block ×47, first 2 shown]
	s_waitcnt vmcnt(46)
	global_store_dwordx2 v[71:72], v[73:74], off
	buffer_load_dword v71, off, s[0:3], 0 offset:192
	s_nop 0
	buffer_load_dword v72, off, s[0:3], 0 offset:196
	buffer_load_dword v73, off, s[0:3], 0 offset:200
	;; [unrolled: 1-line block ×7, first 2 shown]
	s_waitcnt vmcnt(53)
	global_store_dwordx2 v[69:70], v[75:76], off
	s_waitcnt vmcnt(52)
	global_store_dwordx2 v[5:6], v[77:78], off
	buffer_load_dword v5, off, s[0:3], 0 offset:224
	s_nop 0
	buffer_load_dword v6, off, s[0:3], 0 offset:228
	buffer_load_dword v69, off, s[0:3], 0 offset:232
	;; [unrolled: 1-line block ×7, first 2 shown]
	s_waitcnt vmcnt(59)
	global_store_dwordx2 v[1:2], v[79:80], off
	s_waitcnt vmcnt(58)
	global_store_dwordx2 v[7:8], v[81:82], off
	buffer_load_dword v0, off, s[0:3], 0 offset:256
	buffer_load_dword v1, off, s[0:3], 0 offset:260
	s_nop 0
	buffer_load_dword v7, off, s[0:3], 0 offset:264
	buffer_load_dword v8, off, s[0:3], 0 offset:268
	;; [unrolled: 1-line block ×6, first 2 shown]
	s_waitcnt vmcnt(62)
	global_store_dwordx2 v[3:4], v[83:84], off
	global_store_dwordx2 v[9:10], v[85:86], off
	s_waitcnt vmcnt(62)
	global_store_dwordx2 v[11:12], v[87:88], off
	s_waitcnt vmcnt(56)
	global_store_dwordx2 v[13:14], v[89:90], off
	global_store_dwordx2 v[15:16], v[91:92], off
	;; [unrolled: 1-line block ×4, first 2 shown]
	s_waitcnt vmcnt(58)
	global_store_dwordx2 v[21:22], v[97:98], off
	s_waitcnt vmcnt(57)
	global_store_dwordx2 v[23:24], v[99:100], off
	;; [unrolled: 2-line block ×24, first 2 shown]
.LBB35_690:
	s_endpgm
	.section	.rodata,"a",@progbits
	.p2align	6, 0x0
	.amdhsa_kernel _ZN9rocsolver6v33100L18trti2_kernel_smallILi36EdPdEEv13rocblas_fill_17rocblas_diagonal_T1_iil
		.amdhsa_group_segment_fixed_size 576
		.amdhsa_private_segment_fixed_size 304
		.amdhsa_kernarg_size 32
		.amdhsa_user_sgpr_count 6
		.amdhsa_user_sgpr_private_segment_buffer 1
		.amdhsa_user_sgpr_dispatch_ptr 0
		.amdhsa_user_sgpr_queue_ptr 0
		.amdhsa_user_sgpr_kernarg_segment_ptr 1
		.amdhsa_user_sgpr_dispatch_id 0
		.amdhsa_user_sgpr_flat_scratch_init 0
		.amdhsa_user_sgpr_private_segment_size 0
		.amdhsa_uses_dynamic_stack 0
		.amdhsa_system_sgpr_private_segment_wavefront_offset 1
		.amdhsa_system_sgpr_workgroup_id_x 1
		.amdhsa_system_sgpr_workgroup_id_y 0
		.amdhsa_system_sgpr_workgroup_id_z 0
		.amdhsa_system_sgpr_workgroup_info 0
		.amdhsa_system_vgpr_workitem_id 0
		.amdhsa_next_free_vgpr 125
		.amdhsa_next_free_sgpr 49
		.amdhsa_reserve_vcc 1
		.amdhsa_reserve_flat_scratch 0
		.amdhsa_float_round_mode_32 0
		.amdhsa_float_round_mode_16_64 0
		.amdhsa_float_denorm_mode_32 3
		.amdhsa_float_denorm_mode_16_64 3
		.amdhsa_dx10_clamp 1
		.amdhsa_ieee_mode 1
		.amdhsa_fp16_overflow 0
		.amdhsa_exception_fp_ieee_invalid_op 0
		.amdhsa_exception_fp_denorm_src 0
		.amdhsa_exception_fp_ieee_div_zero 0
		.amdhsa_exception_fp_ieee_overflow 0
		.amdhsa_exception_fp_ieee_underflow 0
		.amdhsa_exception_fp_ieee_inexact 0
		.amdhsa_exception_int_div_zero 0
	.end_amdhsa_kernel
	.section	.text._ZN9rocsolver6v33100L18trti2_kernel_smallILi36EdPdEEv13rocblas_fill_17rocblas_diagonal_T1_iil,"axG",@progbits,_ZN9rocsolver6v33100L18trti2_kernel_smallILi36EdPdEEv13rocblas_fill_17rocblas_diagonal_T1_iil,comdat
.Lfunc_end35:
	.size	_ZN9rocsolver6v33100L18trti2_kernel_smallILi36EdPdEEv13rocblas_fill_17rocblas_diagonal_T1_iil, .Lfunc_end35-_ZN9rocsolver6v33100L18trti2_kernel_smallILi36EdPdEEv13rocblas_fill_17rocblas_diagonal_T1_iil
                                        ; -- End function
	.set _ZN9rocsolver6v33100L18trti2_kernel_smallILi36EdPdEEv13rocblas_fill_17rocblas_diagonal_T1_iil.num_vgpr, 125
	.set _ZN9rocsolver6v33100L18trti2_kernel_smallILi36EdPdEEv13rocblas_fill_17rocblas_diagonal_T1_iil.num_agpr, 0
	.set _ZN9rocsolver6v33100L18trti2_kernel_smallILi36EdPdEEv13rocblas_fill_17rocblas_diagonal_T1_iil.numbered_sgpr, 49
	.set _ZN9rocsolver6v33100L18trti2_kernel_smallILi36EdPdEEv13rocblas_fill_17rocblas_diagonal_T1_iil.num_named_barrier, 0
	.set _ZN9rocsolver6v33100L18trti2_kernel_smallILi36EdPdEEv13rocblas_fill_17rocblas_diagonal_T1_iil.private_seg_size, 304
	.set _ZN9rocsolver6v33100L18trti2_kernel_smallILi36EdPdEEv13rocblas_fill_17rocblas_diagonal_T1_iil.uses_vcc, 1
	.set _ZN9rocsolver6v33100L18trti2_kernel_smallILi36EdPdEEv13rocblas_fill_17rocblas_diagonal_T1_iil.uses_flat_scratch, 0
	.set _ZN9rocsolver6v33100L18trti2_kernel_smallILi36EdPdEEv13rocblas_fill_17rocblas_diagonal_T1_iil.has_dyn_sized_stack, 0
	.set _ZN9rocsolver6v33100L18trti2_kernel_smallILi36EdPdEEv13rocblas_fill_17rocblas_diagonal_T1_iil.has_recursion, 0
	.set _ZN9rocsolver6v33100L18trti2_kernel_smallILi36EdPdEEv13rocblas_fill_17rocblas_diagonal_T1_iil.has_indirect_call, 0
	.section	.AMDGPU.csdata,"",@progbits
; Kernel info:
; codeLenInByte = 20992
; TotalNumSgprs: 53
; NumVgprs: 125
; ScratchSize: 304
; MemoryBound: 0
; FloatMode: 240
; IeeeMode: 1
; LDSByteSize: 576 bytes/workgroup (compile time only)
; SGPRBlocks: 6
; VGPRBlocks: 31
; NumSGPRsForWavesPerEU: 53
; NumVGPRsForWavesPerEU: 125
; Occupancy: 2
; WaveLimiterHint : 0
; COMPUTE_PGM_RSRC2:SCRATCH_EN: 1
; COMPUTE_PGM_RSRC2:USER_SGPR: 6
; COMPUTE_PGM_RSRC2:TRAP_HANDLER: 0
; COMPUTE_PGM_RSRC2:TGID_X_EN: 1
; COMPUTE_PGM_RSRC2:TGID_Y_EN: 0
; COMPUTE_PGM_RSRC2:TGID_Z_EN: 0
; COMPUTE_PGM_RSRC2:TIDIG_COMP_CNT: 0
	.section	.text._ZN9rocsolver6v33100L18trti2_kernel_smallILi37EdPdEEv13rocblas_fill_17rocblas_diagonal_T1_iil,"axG",@progbits,_ZN9rocsolver6v33100L18trti2_kernel_smallILi37EdPdEEv13rocblas_fill_17rocblas_diagonal_T1_iil,comdat
	.globl	_ZN9rocsolver6v33100L18trti2_kernel_smallILi37EdPdEEv13rocblas_fill_17rocblas_diagonal_T1_iil ; -- Begin function _ZN9rocsolver6v33100L18trti2_kernel_smallILi37EdPdEEv13rocblas_fill_17rocblas_diagonal_T1_iil
	.p2align	8
	.type	_ZN9rocsolver6v33100L18trti2_kernel_smallILi37EdPdEEv13rocblas_fill_17rocblas_diagonal_T1_iil,@function
_ZN9rocsolver6v33100L18trti2_kernel_smallILi37EdPdEEv13rocblas_fill_17rocblas_diagonal_T1_iil: ; @_ZN9rocsolver6v33100L18trti2_kernel_smallILi37EdPdEEv13rocblas_fill_17rocblas_diagonal_T1_iil
; %bb.0:
	s_add_u32 s0, s0, s7
	s_addc_u32 s1, s1, 0
	v_cmp_gt_u32_e32 vcc, 37, v0
	s_and_saveexec_b64 s[8:9], vcc
	s_cbranch_execz .LBB36_710
; %bb.1:
	s_load_dwordx8 s[8:15], s[4:5], 0x0
	s_ashr_i32 s7, s6, 31
	v_lshlrev_b32_e32 v77, 3, v0
	s_waitcnt lgkmcnt(0)
	s_ashr_i32 s5, s12, 31
	s_mov_b32 s4, s12
	s_mul_hi_u32 s12, s14, s6
	s_mul_i32 s7, s14, s7
	s_add_i32 s7, s12, s7
	s_mul_i32 s12, s15, s6
	s_add_i32 s7, s7, s12
	s_mul_i32 s6, s14, s6
	s_lshl_b64 s[6:7], s[6:7], 3
	s_add_u32 s6, s10, s6
	s_addc_u32 s7, s11, s7
	s_lshl_b64 s[4:5], s[4:5], 3
	s_add_u32 s4, s6, s4
	s_addc_u32 s5, s7, s5
	s_add_i32 s6, s13, s13
	v_add_u32_e32 v3, s6, v0
	v_ashrrev_i32_e32 v4, 31, v3
	v_lshlrev_b64 v[1:2], 3, v[3:4]
	v_mov_b32_e32 v4, s5
	v_add_co_u32_e32 v1, vcc, s4, v1
	v_add_u32_e32 v3, s13, v3
	v_addc_co_u32_e32 v2, vcc, v4, v2, vcc
	v_ashrrev_i32_e32 v4, 31, v3
	v_lshlrev_b64 v[4:5], 3, v[3:4]
	v_mov_b32_e32 v6, s5
	v_add_co_u32_e32 v7, vcc, s4, v4
	v_addc_co_u32_e32 v8, vcc, v6, v5, vcc
	v_add_u32_e32 v5, s13, v3
	v_ashrrev_i32_e32 v6, 31, v5
	v_lshlrev_b64 v[3:4], 3, v[5:6]
	v_mov_b32_e32 v6, s5
	v_add_co_u32_e32 v3, vcc, s4, v3
	v_add_u32_e32 v5, s13, v5
	v_addc_co_u32_e32 v4, vcc, v6, v4, vcc
	v_ashrrev_i32_e32 v6, 31, v5
	v_lshlrev_b64 v[9:10], 3, v[5:6]
	v_add_u32_e32 v11, s13, v5
	v_mov_b32_e32 v6, s5
	v_add_co_u32_e32 v9, vcc, s4, v9
	v_ashrrev_i32_e32 v12, 31, v11
	v_addc_co_u32_e32 v10, vcc, v6, v10, vcc
	v_lshlrev_b64 v[5:6], 3, v[11:12]
	v_add_u32_e32 v13, s13, v11
	v_mov_b32_e32 v12, s5
	v_add_co_u32_e32 v5, vcc, s4, v5
	v_ashrrev_i32_e32 v14, 31, v13
	v_addc_co_u32_e32 v6, vcc, v12, v6, vcc
	;; [unrolled: 6-line block ×5, first 2 shown]
	v_lshlrev_b64 v[17:18], 3, v[19:20]
	v_mov_b32_e32 v21, s5
	v_add_co_u32_e32 v17, vcc, s4, v17
	v_addc_co_u32_e32 v18, vcc, v21, v18, vcc
	v_add_u32_e32 v21, s13, v19
	v_ashrrev_i32_e32 v22, 31, v21
	v_lshlrev_b64 v[19:20], 3, v[21:22]
	v_mov_b32_e32 v23, s5
	v_add_co_u32_e32 v19, vcc, s4, v19
	v_addc_co_u32_e32 v20, vcc, v23, v20, vcc
	v_add_u32_e32 v23, s13, v21
	v_ashrrev_i32_e32 v24, 31, v23
	;; [unrolled: 6-line block ×18, first 2 shown]
	v_lshlrev_b64 v[53:54], 3, v[55:56]
	v_mov_b32_e32 v56, s5
	v_add_co_u32_e32 v71, vcc, s4, v77
	s_ashr_i32 s7, s13, 31
	s_mov_b32 s6, s13
	v_addc_co_u32_e32 v72, vcc, 0, v56, vcc
	s_lshl_b64 s[6:7], s[6:7], 3
	global_load_dwordx2 v[75:76], v77, s[4:5]
	global_load_dwordx2 v[80:81], v[1:2], off
	v_mov_b32_e32 v56, s7
	v_add_co_u32_e32 v73, vcc, s6, v71
	v_addc_co_u32_e32 v74, vcc, v72, v56, vcc
	global_load_dwordx2 v[78:79], v[73:74], off
	global_load_dwordx2 v[82:83], v[7:8], off
	;; [unrolled: 1-line block ×11, first 2 shown]
	v_mov_b32_e32 v57, s5
	v_add_co_u32_e32 v53, vcc, s4, v53
	v_addc_co_u32_e32 v54, vcc, v57, v54, vcc
	v_add_u32_e32 v57, s13, v55
	v_ashrrev_i32_e32 v58, 31, v57
	v_lshlrev_b64 v[55:56], 3, v[57:58]
	v_mov_b32_e32 v59, s5
	v_add_co_u32_e32 v55, vcc, s4, v55
	v_addc_co_u32_e32 v56, vcc, v59, v56, vcc
	v_add_u32_e32 v59, s13, v57
	v_ashrrev_i32_e32 v60, 31, v59
	v_lshlrev_b64 v[57:58], 3, v[59:60]
	;; [unrolled: 6-line block ×7, first 2 shown]
	v_add_u32_e32 v69, s13, v69
	v_ashrrev_i32_e32 v70, 31, v69
	v_mov_b32_e32 v102, s5
	v_add_co_u32_e32 v67, vcc, s4, v67
	v_lshlrev_b64 v[69:70], 3, v[69:70]
	v_addc_co_u32_e32 v68, vcc, v102, v68, vcc
	s_waitcnt vmcnt(12)
	buffer_store_dword v76, off, s[0:3], 0 offset:4
	buffer_store_dword v75, off, s[0:3], 0
	s_waitcnt vmcnt(12)
	buffer_store_dword v79, off, s[0:3], 0 offset:12
	v_add_co_u32_e32 v69, vcc, s4, v69
	global_load_dwordx2 v[75:76], v[23:24], off
	v_addc_co_u32_e32 v70, vcc, v102, v70, vcc
	buffer_store_dword v78, off, s[0:3], 0 offset:8
	global_load_dwordx2 v[78:79], v[25:26], off
	s_cmpk_lg_i32 s9, 0x84
	s_waitcnt vmcnt(7)
	buffer_store_dword v98, off, s[0:3], 0 offset:88
	global_load_dwordx2 v[120:121], v[63:64], off
	global_load_dwordx2 v[122:123], v[67:68], off
	;; [unrolled: 1-line block ×11, first 2 shown]
	s_cselect_b64 s[10:11], -1, 0
	buffer_store_dword v99, off, s[0:3], 0 offset:92
	global_load_dwordx2 v[98:99], v[65:66], off
	s_cmpk_eq_i32 s9, 0x84
	s_waitcnt vmcnt(20)
	buffer_store_dword v100, off, s[0:3], 0 offset:96
	buffer_store_dword v101, off, s[0:3], 0 offset:100
	global_load_dwordx2 v[100:101], v[69:70], off
	s_nop 0
	buffer_store_dword v81, off, s[0:3], 0 offset:20
	buffer_store_dword v80, off, s[0:3], 0 offset:16
	global_load_dwordx2 v[80:81], v[29:30], off
	s_nop 0
	;; [unrolled: 4-line block ×9, first 2 shown]
	buffer_store_dword v96, off, s[0:3], 0 offset:80
	buffer_store_dword v97, off, s[0:3], 0 offset:84
	global_load_dwordx2 v[96:97], v[61:62], off
	s_waitcnt vmcnt(46)
	buffer_store_dword v75, off, s[0:3], 0 offset:104
	buffer_store_dword v76, off, s[0:3], 0 offset:108
	s_waitcnt vmcnt(46)
	buffer_store_dword v79, off, s[0:3], 0 offset:116
	buffer_store_dword v78, off, s[0:3], 0 offset:112
	;; [unrolled: 3-line block ×4, first 2 shown]
	buffer_store_dword v104, off, s[0:3], 0 offset:136
	buffer_store_dword v105, off, s[0:3], 0 offset:140
	s_waitcnt vmcnt(31)
	buffer_store_dword v82, off, s[0:3], 0 offset:144
	buffer_store_dword v83, off, s[0:3], 0 offset:148
	buffer_store_dword v107, off, s[0:3], 0 offset:156
	buffer_store_dword v106, off, s[0:3], 0 offset:152
	s_waitcnt vmcnt(32)
	buffer_store_dword v85, off, s[0:3], 0 offset:164
	buffer_store_dword v84, off, s[0:3], 0 offset:160
	buffer_store_dword v108, off, s[0:3], 0 offset:168
	buffer_store_dword v109, off, s[0:3], 0 offset:172
	s_waitcnt vmcnt(33)
	buffer_store_dword v86, off, s[0:3], 0 offset:176
	buffer_store_dword v87, off, s[0:3], 0 offset:180
	buffer_store_dword v110, off, s[0:3], 0 offset:184
	buffer_store_dword v111, off, s[0:3], 0 offset:188
	s_waitcnt vmcnt(34)
	buffer_store_dword v88, off, s[0:3], 0 offset:192
	buffer_store_dword v89, off, s[0:3], 0 offset:196
	buffer_store_dword v113, off, s[0:3], 0 offset:204
	buffer_store_dword v112, off, s[0:3], 0 offset:200
	s_waitcnt vmcnt(35)
	buffer_store_dword v91, off, s[0:3], 0 offset:212
	buffer_store_dword v90, off, s[0:3], 0 offset:208
	buffer_store_dword v114, off, s[0:3], 0 offset:216
	buffer_store_dword v115, off, s[0:3], 0 offset:220
	s_waitcnt vmcnt(36)
	buffer_store_dword v92, off, s[0:3], 0 offset:224
	buffer_store_dword v93, off, s[0:3], 0 offset:228
	buffer_store_dword v116, off, s[0:3], 0 offset:232
	buffer_store_dword v117, off, s[0:3], 0 offset:236
	s_waitcnt vmcnt(37)
	buffer_store_dword v94, off, s[0:3], 0 offset:240
	buffer_store_dword v95, off, s[0:3], 0 offset:244
	buffer_store_dword v119, off, s[0:3], 0 offset:252
	buffer_store_dword v118, off, s[0:3], 0 offset:248
	s_waitcnt vmcnt(38)
	buffer_store_dword v97, off, s[0:3], 0 offset:260
	buffer_store_dword v96, off, s[0:3], 0 offset:256
	buffer_store_dword v120, off, s[0:3], 0 offset:264
	buffer_store_dword v121, off, s[0:3], 0 offset:268
	;; [unrolled: 1-line block ×7, first 2 shown]
	v_mov_b32_e32 v75, 0
	v_mov_b32_e32 v76, 0xbff00000
	buffer_store_dword v101, off, s[0:3], 0 offset:292
	s_cbranch_scc1 .LBB36_3
; %bb.2:
	v_mov_b32_e32 v75, 0
	v_lshl_add_u32 v86, v0, 3, v75
	buffer_load_dword v75, v86, s[0:3], 0 offen
	buffer_load_dword v76, v86, s[0:3], 0 offen offset:4
	s_waitcnt vmcnt(0)
	v_div_scale_f64 v[78:79], s[4:5], v[75:76], v[75:76], 1.0
	v_rcp_f64_e32 v[80:81], v[78:79]
	v_fma_f64 v[82:83], -v[78:79], v[80:81], 1.0
	v_fma_f64 v[80:81], v[80:81], v[82:83], v[80:81]
	v_div_scale_f64 v[82:83], vcc, 1.0, v[75:76], 1.0
	v_fma_f64 v[84:85], -v[78:79], v[80:81], 1.0
	v_fma_f64 v[80:81], v[80:81], v[84:85], v[80:81]
	v_mul_f64 v[84:85], v[82:83], v[80:81]
	v_fma_f64 v[78:79], -v[78:79], v[84:85], v[82:83]
	v_div_fmas_f64 v[78:79], v[78:79], v[80:81], v[84:85]
	v_div_fixup_f64 v[75:76], v[78:79], v[75:76], 1.0
	buffer_store_dword v75, v86, s[0:3], 0 offen
	buffer_store_dword v76, v86, s[0:3], 0 offen offset:4
	v_xor_b32_e32 v76, 0x80000000, v76
.LBB36_3:
	s_cmpk_eq_i32 s8, 0x79
	v_add_u32_e32 v78, 0x130, v77
	v_mov_b32_e32 v79, v77
	s_mov_b64 s[4:5], -1
	ds_write_b64 v77, v[75:76]
	s_cbranch_scc1 .LBB36_357
; %bb.4:
	buffer_load_dword v75, off, s[0:3], 0 offset:280
	buffer_load_dword v76, off, s[0:3], 0 offset:284
	s_movk_i32 s12, 0x48
	s_movk_i32 s13, 0x50
	;; [unrolled: 1-line block ×26, first 2 shown]
	v_cmp_eq_u32_e64 s[4:5], 36, v0
	s_waitcnt vmcnt(0)
	ds_write_b64 v78, v[75:76]
	s_waitcnt lgkmcnt(0)
	; wave barrier
	s_and_saveexec_b64 s[6:7], s[4:5]
	s_cbranch_execz .LBB36_10
; %bb.5:
	s_and_b64 vcc, exec, s[10:11]
	s_cbranch_vccz .LBB36_7
; %bb.6:
	buffer_load_dword v75, v79, s[0:3], 0 offen
	buffer_load_dword v76, v79, s[0:3], 0 offen offset:4
	ds_read_b64 v[80:81], v78
	s_waitcnt vmcnt(0) lgkmcnt(0)
	v_mul_f64 v[75:76], v[75:76], v[80:81]
	s_cbranch_execz .LBB36_8
	s_branch .LBB36_9
.LBB36_7:
                                        ; implicit-def: $vgpr75_vgpr76
.LBB36_8:
	ds_read_b64 v[75:76], v78
.LBB36_9:
	v_mov_b32_e32 v80, 0
	ds_read_b64 v[80:81], v80 offset:280
	s_waitcnt lgkmcnt(0)
	v_mul_f64 v[75:76], v[75:76], v[80:81]
	buffer_store_dword v76, off, s[0:3], 0 offset:284
	buffer_store_dword v75, off, s[0:3], 0 offset:280
.LBB36_10:
	s_or_b64 exec, exec, s[6:7]
	buffer_load_dword v75, off, s[0:3], 0 offset:272
	buffer_load_dword v76, off, s[0:3], 0 offset:276
	s_or_b32 s14, 0, 8
	s_mov_b32 s15, 16
	s_mov_b32 s16, 24
	;; [unrolled: 1-line block ×9, first 2 shown]
	v_cmp_lt_u32_e64 s[6:7], 34, v0
	s_waitcnt vmcnt(0)
	ds_write_b64 v78, v[75:76]
	s_waitcnt lgkmcnt(0)
	; wave barrier
	s_and_saveexec_b64 s[8:9], s[6:7]
	s_cbranch_execz .LBB36_16
; %bb.11:
	s_andn2_b64 vcc, exec, s[10:11]
	s_cbranch_vccnz .LBB36_13
; %bb.12:
	buffer_load_dword v75, v79, s[0:3], 0 offen
	buffer_load_dword v76, v79, s[0:3], 0 offen offset:4
	ds_read_b64 v[80:81], v78
	s_waitcnt vmcnt(0) lgkmcnt(0)
	v_mul_f64 v[75:76], v[75:76], v[80:81]
	s_cbranch_execz .LBB36_14
	s_branch .LBB36_15
.LBB36_13:
                                        ; implicit-def: $vgpr75_vgpr76
.LBB36_14:
	ds_read_b64 v[75:76], v78
.LBB36_15:
	buffer_load_dword v84, off, s[0:3], 0 offset:280
	buffer_load_dword v85, off, s[0:3], 0 offset:284
	v_mov_b32_e32 v80, 0
	ds_read2_b64 v[80:83], v80 offset0:34 offset1:73
	s_waitcnt vmcnt(0) lgkmcnt(0)
	v_fma_f64 v[82:83], v[84:85], v[82:83], v[75:76]
	v_cndmask_b32_e64 v76, v76, v83, s[4:5]
	v_cndmask_b32_e64 v75, v75, v82, s[4:5]
	v_mul_f64 v[75:76], v[75:76], v[80:81]
	buffer_store_dword v76, off, s[0:3], 0 offset:276
	buffer_store_dword v75, off, s[0:3], 0 offset:272
.LBB36_16:
	s_or_b64 exec, exec, s[8:9]
	buffer_load_dword v75, off, s[0:3], 0 offset:264
	buffer_load_dword v76, off, s[0:3], 0 offset:268
	v_cmp_lt_u32_e64 s[4:5], 33, v0
	s_waitcnt vmcnt(0)
	ds_write_b64 v78, v[75:76]
	s_waitcnt lgkmcnt(0)
	; wave barrier
	s_and_saveexec_b64 s[8:9], s[4:5]
	s_cbranch_execz .LBB36_26
; %bb.17:
	s_andn2_b64 vcc, exec, s[10:11]
	s_cbranch_vccnz .LBB36_19
; %bb.18:
	buffer_load_dword v75, v79, s[0:3], 0 offen
	buffer_load_dword v76, v79, s[0:3], 0 offen offset:4
	ds_read_b64 v[80:81], v78
	s_waitcnt vmcnt(0) lgkmcnt(0)
	v_mul_f64 v[75:76], v[75:76], v[80:81]
	s_cbranch_execz .LBB36_20
	s_branch .LBB36_21
.LBB36_19:
                                        ; implicit-def: $vgpr75_vgpr76
.LBB36_20:
	ds_read_b64 v[75:76], v78
.LBB36_21:
	s_and_saveexec_b64 s[12:13], s[6:7]
	s_cbranch_execz .LBB36_25
; %bb.22:
	v_subrev_u32_e32 v80, 34, v0
	s_movk_i32 s49, 0x240
	s_mov_b64 s[6:7], 0
.LBB36_23:                              ; =>This Inner Loop Header: Depth=1
	v_mov_b32_e32 v83, s48
	buffer_load_dword v81, v83, s[0:3], 0 offen
	buffer_load_dword v82, v83, s[0:3], 0 offen offset:4
	v_mov_b32_e32 v83, s49
	ds_read_b64 v[83:84], v83
	v_add_u32_e32 v80, -1, v80
	s_add_i32 s49, s49, 8
	s_add_i32 s48, s48, 8
	v_cmp_eq_u32_e32 vcc, 0, v80
	s_or_b64 s[6:7], vcc, s[6:7]
	s_waitcnt vmcnt(0) lgkmcnt(0)
	v_fma_f64 v[75:76], v[81:82], v[83:84], v[75:76]
	s_andn2_b64 exec, exec, s[6:7]
	s_cbranch_execnz .LBB36_23
; %bb.24:
	s_or_b64 exec, exec, s[6:7]
.LBB36_25:
	s_or_b64 exec, exec, s[12:13]
	v_mov_b32_e32 v80, 0
	ds_read_b64 v[80:81], v80 offset:264
	s_waitcnt lgkmcnt(0)
	v_mul_f64 v[75:76], v[75:76], v[80:81]
	buffer_store_dword v76, off, s[0:3], 0 offset:268
	buffer_store_dword v75, off, s[0:3], 0 offset:264
.LBB36_26:
	s_or_b64 exec, exec, s[8:9]
	buffer_load_dword v75, off, s[0:3], 0 offset:256
	buffer_load_dword v76, off, s[0:3], 0 offset:260
	v_cmp_lt_u32_e64 s[6:7], 32, v0
	s_waitcnt vmcnt(0)
	ds_write_b64 v78, v[75:76]
	s_waitcnt lgkmcnt(0)
	; wave barrier
	s_and_saveexec_b64 s[8:9], s[6:7]
	s_cbranch_execz .LBB36_36
; %bb.27:
	s_andn2_b64 vcc, exec, s[10:11]
	s_cbranch_vccnz .LBB36_29
; %bb.28:
	buffer_load_dword v75, v79, s[0:3], 0 offen
	buffer_load_dword v76, v79, s[0:3], 0 offen offset:4
	ds_read_b64 v[80:81], v78
	s_waitcnt vmcnt(0) lgkmcnt(0)
	v_mul_f64 v[75:76], v[75:76], v[80:81]
	s_cbranch_execz .LBB36_30
	s_branch .LBB36_31
.LBB36_29:
                                        ; implicit-def: $vgpr75_vgpr76
.LBB36_30:
	ds_read_b64 v[75:76], v78
.LBB36_31:
	s_and_saveexec_b64 s[12:13], s[4:5]
	s_cbranch_execz .LBB36_35
; %bb.32:
	v_subrev_u32_e32 v80, 33, v0
	s_movk_i32 s48, 0x238
	s_mov_b64 s[4:5], 0
.LBB36_33:                              ; =>This Inner Loop Header: Depth=1
	v_mov_b32_e32 v83, s47
	buffer_load_dword v81, v83, s[0:3], 0 offen
	buffer_load_dword v82, v83, s[0:3], 0 offen offset:4
	v_mov_b32_e32 v83, s48
	ds_read_b64 v[83:84], v83
	v_add_u32_e32 v80, -1, v80
	s_add_i32 s48, s48, 8
	s_add_i32 s47, s47, 8
	v_cmp_eq_u32_e32 vcc, 0, v80
	s_or_b64 s[4:5], vcc, s[4:5]
	s_waitcnt vmcnt(0) lgkmcnt(0)
	v_fma_f64 v[75:76], v[81:82], v[83:84], v[75:76]
	s_andn2_b64 exec, exec, s[4:5]
	s_cbranch_execnz .LBB36_33
; %bb.34:
	s_or_b64 exec, exec, s[4:5]
.LBB36_35:
	s_or_b64 exec, exec, s[12:13]
	v_mov_b32_e32 v80, 0
	ds_read_b64 v[80:81], v80 offset:256
	s_waitcnt lgkmcnt(0)
	v_mul_f64 v[75:76], v[75:76], v[80:81]
	buffer_store_dword v76, off, s[0:3], 0 offset:260
	buffer_store_dword v75, off, s[0:3], 0 offset:256
.LBB36_36:
	;; [unrolled: 58-line block ×8, first 2 shown]
	s_or_b64 exec, exec, s[8:9]
	buffer_load_dword v75, off, s[0:3], 0 offset:200
	buffer_load_dword v76, off, s[0:3], 0 offset:204
	v_cmp_lt_u32_e64 s[4:5], 25, v0
	s_waitcnt vmcnt(0)
	ds_write_b64 v78, v[75:76]
	s_waitcnt lgkmcnt(0)
	; wave barrier
	s_and_saveexec_b64 s[8:9], s[4:5]
	s_cbranch_execz .LBB36_106
; %bb.97:
	s_andn2_b64 vcc, exec, s[10:11]
	s_cbranch_vccnz .LBB36_99
; %bb.98:
	buffer_load_dword v75, v79, s[0:3], 0 offen
	buffer_load_dword v76, v79, s[0:3], 0 offen offset:4
	ds_read_b64 v[80:81], v78
	s_waitcnt vmcnt(0) lgkmcnt(0)
	v_mul_f64 v[75:76], v[75:76], v[80:81]
	s_cbranch_execz .LBB36_100
	s_branch .LBB36_101
.LBB36_99:
                                        ; implicit-def: $vgpr75_vgpr76
.LBB36_100:
	ds_read_b64 v[75:76], v78
.LBB36_101:
	s_and_saveexec_b64 s[12:13], s[6:7]
	s_cbranch_execz .LBB36_105
; %bb.102:
	v_subrev_u32_e32 v80, 26, v0
	s_movk_i32 s41, 0x200
	s_mov_b64 s[6:7], 0
.LBB36_103:                             ; =>This Inner Loop Header: Depth=1
	v_mov_b32_e32 v83, s40
	buffer_load_dword v81, v83, s[0:3], 0 offen
	buffer_load_dword v82, v83, s[0:3], 0 offen offset:4
	v_mov_b32_e32 v83, s41
	ds_read_b64 v[83:84], v83
	v_add_u32_e32 v80, -1, v80
	s_add_i32 s41, s41, 8
	s_add_i32 s40, s40, 8
	v_cmp_eq_u32_e32 vcc, 0, v80
	s_or_b64 s[6:7], vcc, s[6:7]
	s_waitcnt vmcnt(0) lgkmcnt(0)
	v_fma_f64 v[75:76], v[81:82], v[83:84], v[75:76]
	s_andn2_b64 exec, exec, s[6:7]
	s_cbranch_execnz .LBB36_103
; %bb.104:
	s_or_b64 exec, exec, s[6:7]
.LBB36_105:
	s_or_b64 exec, exec, s[12:13]
	v_mov_b32_e32 v80, 0
	ds_read_b64 v[80:81], v80 offset:200
	s_waitcnt lgkmcnt(0)
	v_mul_f64 v[75:76], v[75:76], v[80:81]
	buffer_store_dword v76, off, s[0:3], 0 offset:204
	buffer_store_dword v75, off, s[0:3], 0 offset:200
.LBB36_106:
	s_or_b64 exec, exec, s[8:9]
	buffer_load_dword v75, off, s[0:3], 0 offset:192
	buffer_load_dword v76, off, s[0:3], 0 offset:196
	v_cmp_lt_u32_e64 s[6:7], 24, v0
	s_waitcnt vmcnt(0)
	ds_write_b64 v78, v[75:76]
	s_waitcnt lgkmcnt(0)
	; wave barrier
	s_and_saveexec_b64 s[8:9], s[6:7]
	s_cbranch_execz .LBB36_116
; %bb.107:
	s_andn2_b64 vcc, exec, s[10:11]
	s_cbranch_vccnz .LBB36_109
; %bb.108:
	buffer_load_dword v75, v79, s[0:3], 0 offen
	buffer_load_dword v76, v79, s[0:3], 0 offen offset:4
	ds_read_b64 v[80:81], v78
	s_waitcnt vmcnt(0) lgkmcnt(0)
	v_mul_f64 v[75:76], v[75:76], v[80:81]
	s_cbranch_execz .LBB36_110
	s_branch .LBB36_111
.LBB36_109:
                                        ; implicit-def: $vgpr75_vgpr76
.LBB36_110:
	ds_read_b64 v[75:76], v78
.LBB36_111:
	s_and_saveexec_b64 s[12:13], s[4:5]
	s_cbranch_execz .LBB36_115
; %bb.112:
	v_subrev_u32_e32 v80, 25, v0
	s_movk_i32 s40, 0x1f8
	s_mov_b64 s[4:5], 0
.LBB36_113:                             ; =>This Inner Loop Header: Depth=1
	v_mov_b32_e32 v83, s39
	buffer_load_dword v81, v83, s[0:3], 0 offen
	buffer_load_dword v82, v83, s[0:3], 0 offen offset:4
	v_mov_b32_e32 v83, s40
	ds_read_b64 v[83:84], v83
	v_add_u32_e32 v80, -1, v80
	s_add_i32 s40, s40, 8
	s_add_i32 s39, s39, 8
	v_cmp_eq_u32_e32 vcc, 0, v80
	s_or_b64 s[4:5], vcc, s[4:5]
	s_waitcnt vmcnt(0) lgkmcnt(0)
	v_fma_f64 v[75:76], v[81:82], v[83:84], v[75:76]
	s_andn2_b64 exec, exec, s[4:5]
	s_cbranch_execnz .LBB36_113
; %bb.114:
	s_or_b64 exec, exec, s[4:5]
.LBB36_115:
	s_or_b64 exec, exec, s[12:13]
	v_mov_b32_e32 v80, 0
	ds_read_b64 v[80:81], v80 offset:192
	s_waitcnt lgkmcnt(0)
	v_mul_f64 v[75:76], v[75:76], v[80:81]
	buffer_store_dword v76, off, s[0:3], 0 offset:196
	buffer_store_dword v75, off, s[0:3], 0 offset:192
.LBB36_116:
	;; [unrolled: 58-line block ×10, first 2 shown]
	s_or_b64 exec, exec, s[8:9]
	buffer_load_dword v75, off, s[0:3], 0 offset:120
	buffer_load_dword v76, off, s[0:3], 0 offset:124
	v_cmp_lt_u32_e64 s[4:5], 15, v0
	s_waitcnt vmcnt(0)
	ds_write_b64 v78, v[75:76]
	s_waitcnt lgkmcnt(0)
	; wave barrier
	s_and_saveexec_b64 s[8:9], s[4:5]
	s_cbranch_execz .LBB36_206
; %bb.197:
	s_andn2_b64 vcc, exec, s[10:11]
	s_cbranch_vccnz .LBB36_199
; %bb.198:
	buffer_load_dword v75, v79, s[0:3], 0 offen
	buffer_load_dword v76, v79, s[0:3], 0 offen offset:4
	ds_read_b64 v[80:81], v78
	s_waitcnt vmcnt(0) lgkmcnt(0)
	v_mul_f64 v[75:76], v[75:76], v[80:81]
	s_cbranch_execz .LBB36_200
	s_branch .LBB36_201
.LBB36_199:
                                        ; implicit-def: $vgpr75_vgpr76
.LBB36_200:
	ds_read_b64 v[75:76], v78
.LBB36_201:
	s_and_saveexec_b64 s[12:13], s[6:7]
	s_cbranch_execz .LBB36_205
; %bb.202:
	v_add_u32_e32 v80, -16, v0
	s_movk_i32 s30, 0x1b0
	s_mov_b64 s[6:7], 0
.LBB36_203:                             ; =>This Inner Loop Header: Depth=1
	v_mov_b32_e32 v83, s29
	buffer_load_dword v81, v83, s[0:3], 0 offen
	buffer_load_dword v82, v83, s[0:3], 0 offen offset:4
	v_mov_b32_e32 v83, s30
	ds_read_b64 v[83:84], v83
	v_add_u32_e32 v80, -1, v80
	s_add_i32 s30, s30, 8
	s_add_i32 s29, s29, 8
	v_cmp_eq_u32_e32 vcc, 0, v80
	s_or_b64 s[6:7], vcc, s[6:7]
	s_waitcnt vmcnt(0) lgkmcnt(0)
	v_fma_f64 v[75:76], v[81:82], v[83:84], v[75:76]
	s_andn2_b64 exec, exec, s[6:7]
	s_cbranch_execnz .LBB36_203
; %bb.204:
	s_or_b64 exec, exec, s[6:7]
.LBB36_205:
	s_or_b64 exec, exec, s[12:13]
	v_mov_b32_e32 v80, 0
	ds_read_b64 v[80:81], v80 offset:120
	s_waitcnt lgkmcnt(0)
	v_mul_f64 v[75:76], v[75:76], v[80:81]
	buffer_store_dword v76, off, s[0:3], 0 offset:124
	buffer_store_dword v75, off, s[0:3], 0 offset:120
.LBB36_206:
	s_or_b64 exec, exec, s[8:9]
	buffer_load_dword v75, off, s[0:3], 0 offset:112
	buffer_load_dword v76, off, s[0:3], 0 offset:116
	v_cmp_lt_u32_e64 s[6:7], 14, v0
	s_waitcnt vmcnt(0)
	ds_write_b64 v78, v[75:76]
	s_waitcnt lgkmcnt(0)
	; wave barrier
	s_and_saveexec_b64 s[8:9], s[6:7]
	s_cbranch_execz .LBB36_216
; %bb.207:
	s_andn2_b64 vcc, exec, s[10:11]
	s_cbranch_vccnz .LBB36_209
; %bb.208:
	buffer_load_dword v75, v79, s[0:3], 0 offen
	buffer_load_dword v76, v79, s[0:3], 0 offen offset:4
	ds_read_b64 v[80:81], v78
	s_waitcnt vmcnt(0) lgkmcnt(0)
	v_mul_f64 v[75:76], v[75:76], v[80:81]
	s_cbranch_execz .LBB36_210
	s_branch .LBB36_211
.LBB36_209:
                                        ; implicit-def: $vgpr75_vgpr76
.LBB36_210:
	ds_read_b64 v[75:76], v78
.LBB36_211:
	s_and_saveexec_b64 s[12:13], s[4:5]
	s_cbranch_execz .LBB36_215
; %bb.212:
	v_add_u32_e32 v80, -15, v0
	s_movk_i32 s29, 0x1a8
	s_mov_b64 s[4:5], 0
.LBB36_213:                             ; =>This Inner Loop Header: Depth=1
	v_mov_b32_e32 v83, s28
	buffer_load_dword v81, v83, s[0:3], 0 offen
	buffer_load_dword v82, v83, s[0:3], 0 offen offset:4
	v_mov_b32_e32 v83, s29
	ds_read_b64 v[83:84], v83
	v_add_u32_e32 v80, -1, v80
	s_add_i32 s29, s29, 8
	s_add_i32 s28, s28, 8
	v_cmp_eq_u32_e32 vcc, 0, v80
	s_or_b64 s[4:5], vcc, s[4:5]
	s_waitcnt vmcnt(0) lgkmcnt(0)
	v_fma_f64 v[75:76], v[81:82], v[83:84], v[75:76]
	s_andn2_b64 exec, exec, s[4:5]
	s_cbranch_execnz .LBB36_213
; %bb.214:
	s_or_b64 exec, exec, s[4:5]
.LBB36_215:
	s_or_b64 exec, exec, s[12:13]
	v_mov_b32_e32 v80, 0
	ds_read_b64 v[80:81], v80 offset:112
	s_waitcnt lgkmcnt(0)
	v_mul_f64 v[75:76], v[75:76], v[80:81]
	buffer_store_dword v76, off, s[0:3], 0 offset:116
	buffer_store_dword v75, off, s[0:3], 0 offset:112
.LBB36_216:
	;; [unrolled: 58-line block ×15, first 2 shown]
	s_or_b64 exec, exec, s[8:9]
	buffer_load_dword v75, off, s[0:3], 0
	buffer_load_dword v76, off, s[0:3], 0 offset:4
	v_cmp_ne_u32_e32 vcc, 0, v0
	s_waitcnt vmcnt(0)
	ds_write_b64 v78, v[75:76]
	s_waitcnt lgkmcnt(0)
	; wave barrier
	s_and_saveexec_b64 s[6:7], vcc
	s_cbranch_execz .LBB36_356
; %bb.347:
	s_andn2_b64 vcc, exec, s[10:11]
	s_cbranch_vccnz .LBB36_349
; %bb.348:
	buffer_load_dword v75, v79, s[0:3], 0 offen
	buffer_load_dword v76, v79, s[0:3], 0 offen offset:4
	ds_read_b64 v[80:81], v78
	s_waitcnt vmcnt(0) lgkmcnt(0)
	v_mul_f64 v[75:76], v[75:76], v[80:81]
	s_cbranch_execz .LBB36_350
	s_branch .LBB36_351
.LBB36_349:
                                        ; implicit-def: $vgpr75_vgpr76
.LBB36_350:
	ds_read_b64 v[75:76], v78
.LBB36_351:
	s_and_saveexec_b64 s[8:9], s[4:5]
	s_cbranch_execz .LBB36_355
; %bb.352:
	v_add_u32_e32 v80, -1, v0
	s_movk_i32 s12, 0x138
	s_mov_b64 s[4:5], 0
.LBB36_353:                             ; =>This Inner Loop Header: Depth=1
	v_mov_b32_e32 v83, s14
	buffer_load_dword v81, v83, s[0:3], 0 offen
	buffer_load_dword v82, v83, s[0:3], 0 offen offset:4
	v_mov_b32_e32 v83, s12
	ds_read_b64 v[83:84], v83
	v_add_u32_e32 v80, -1, v80
	s_add_i32 s12, s12, 8
	s_add_i32 s14, s14, 8
	v_cmp_eq_u32_e32 vcc, 0, v80
	s_or_b64 s[4:5], vcc, s[4:5]
	s_waitcnt vmcnt(0) lgkmcnt(0)
	v_fma_f64 v[75:76], v[81:82], v[83:84], v[75:76]
	s_andn2_b64 exec, exec, s[4:5]
	s_cbranch_execnz .LBB36_353
; %bb.354:
	s_or_b64 exec, exec, s[4:5]
.LBB36_355:
	s_or_b64 exec, exec, s[8:9]
	v_mov_b32_e32 v80, 0
	ds_read_b64 v[80:81], v80
	s_waitcnt lgkmcnt(0)
	v_mul_f64 v[75:76], v[75:76], v[80:81]
	buffer_store_dword v76, off, s[0:3], 0 offset:4
	buffer_store_dword v75, off, s[0:3], 0
.LBB36_356:
	s_or_b64 exec, exec, s[6:7]
	s_mov_b64 s[4:5], 0
.LBB36_357:
	s_and_b64 vcc, exec, s[4:5]
	s_cbranch_vccz .LBB36_709
; %bb.358:
	buffer_load_dword v75, off, s[0:3], 0 offset:8
	buffer_load_dword v76, off, s[0:3], 0 offset:12
	v_cmp_eq_u32_e64 s[6:7], 0, v0
	s_waitcnt vmcnt(0)
	ds_write_b64 v78, v[75:76]
	s_waitcnt lgkmcnt(0)
	; wave barrier
	s_and_saveexec_b64 s[4:5], s[6:7]
	s_cbranch_execz .LBB36_364
; %bb.359:
	s_and_b64 vcc, exec, s[10:11]
	s_cbranch_vccz .LBB36_361
; %bb.360:
	buffer_load_dword v75, v79, s[0:3], 0 offen
	buffer_load_dword v76, v79, s[0:3], 0 offen offset:4
	ds_read_b64 v[80:81], v78
	s_waitcnt vmcnt(0) lgkmcnt(0)
	v_mul_f64 v[75:76], v[75:76], v[80:81]
	s_cbranch_execz .LBB36_362
	s_branch .LBB36_363
.LBB36_361:
                                        ; implicit-def: $vgpr75_vgpr76
.LBB36_362:
	ds_read_b64 v[75:76], v78
.LBB36_363:
	v_mov_b32_e32 v80, 0
	ds_read_b64 v[80:81], v80 offset:8
	s_waitcnt lgkmcnt(0)
	v_mul_f64 v[75:76], v[75:76], v[80:81]
	buffer_store_dword v76, off, s[0:3], 0 offset:12
	buffer_store_dword v75, off, s[0:3], 0 offset:8
.LBB36_364:
	s_or_b64 exec, exec, s[4:5]
	buffer_load_dword v75, off, s[0:3], 0 offset:16
	buffer_load_dword v76, off, s[0:3], 0 offset:20
	v_cndmask_b32_e64 v80, 0, 1, s[10:11]
	v_cmp_gt_u32_e32 vcc, 2, v0
	v_cmp_ne_u32_e64 s[4:5], 1, v80
	s_waitcnt vmcnt(0)
	ds_write_b64 v78, v[75:76]
	s_waitcnt lgkmcnt(0)
	; wave barrier
	s_and_saveexec_b64 s[8:9], vcc
	s_cbranch_execz .LBB36_370
; %bb.365:
	s_and_b64 vcc, exec, s[4:5]
	s_cbranch_vccnz .LBB36_367
; %bb.366:
	buffer_load_dword v75, v79, s[0:3], 0 offen
	buffer_load_dword v76, v79, s[0:3], 0 offen offset:4
	ds_read_b64 v[80:81], v78
	s_waitcnt vmcnt(0) lgkmcnt(0)
	v_mul_f64 v[75:76], v[75:76], v[80:81]
	s_cbranch_execz .LBB36_368
	s_branch .LBB36_369
.LBB36_367:
                                        ; implicit-def: $vgpr75_vgpr76
.LBB36_368:
	ds_read_b64 v[75:76], v78
.LBB36_369:
	buffer_load_dword v84, off, s[0:3], 0 offset:8
	buffer_load_dword v85, off, s[0:3], 0 offset:12
	v_mov_b32_e32 v80, 0
	ds_read2_b64 v[80:83], v80 offset0:2 offset1:39
	s_waitcnt vmcnt(0) lgkmcnt(0)
	v_fma_f64 v[82:83], v[84:85], v[82:83], v[75:76]
	v_cndmask_b32_e64 v76, v76, v83, s[6:7]
	v_cndmask_b32_e64 v75, v75, v82, s[6:7]
	v_mul_f64 v[75:76], v[75:76], v[80:81]
	buffer_store_dword v76, off, s[0:3], 0 offset:20
	buffer_store_dword v75, off, s[0:3], 0 offset:16
.LBB36_370:
	s_or_b64 exec, exec, s[8:9]
	buffer_load_dword v75, off, s[0:3], 0 offset:24
	buffer_load_dword v76, off, s[0:3], 0 offset:28
	v_cmp_gt_u32_e32 vcc, 3, v0
	s_waitcnt vmcnt(0)
	ds_write_b64 v78, v[75:76]
	s_waitcnt lgkmcnt(0)
	; wave barrier
	s_and_saveexec_b64 s[8:9], vcc
	s_cbranch_execz .LBB36_378
; %bb.371:
	s_and_b64 vcc, exec, s[4:5]
	s_cbranch_vccnz .LBB36_373
; %bb.372:
	buffer_load_dword v75, v79, s[0:3], 0 offen
	buffer_load_dword v76, v79, s[0:3], 0 offen offset:4
	ds_read_b64 v[80:81], v78
	s_waitcnt vmcnt(0) lgkmcnt(0)
	v_mul_f64 v[75:76], v[75:76], v[80:81]
	s_cbranch_execz .LBB36_374
	s_branch .LBB36_375
.LBB36_373:
                                        ; implicit-def: $vgpr75_vgpr76
.LBB36_374:
	ds_read_b64 v[75:76], v78
.LBB36_375:
	v_cmp_ne_u32_e32 vcc, 2, v0
	s_and_saveexec_b64 s[10:11], vcc
	s_cbranch_execz .LBB36_377
; %bb.376:
	buffer_load_dword v80, v79, s[0:3], 0 offen offset:8
	buffer_load_dword v81, v79, s[0:3], 0 offen offset:12
	buffer_load_dword v82, off, s[0:3], 0 offset:16
	buffer_load_dword v83, off, s[0:3], 0 offset:20
	ds_read_b64 v[84:85], v78 offset:8
	v_mov_b32_e32 v86, 0
	ds_read_b64 v[86:87], v86 offset:320
	s_waitcnt vmcnt(2) lgkmcnt(1)
	v_fma_f64 v[75:76], v[80:81], v[84:85], v[75:76]
	s_waitcnt vmcnt(0) lgkmcnt(0)
	v_fma_f64 v[80:81], v[82:83], v[86:87], v[75:76]
	v_cndmask_b32_e64 v76, v76, v81, s[6:7]
	v_cndmask_b32_e64 v75, v75, v80, s[6:7]
.LBB36_377:
	s_or_b64 exec, exec, s[10:11]
	v_mov_b32_e32 v80, 0
	ds_read_b64 v[80:81], v80 offset:24
	s_waitcnt lgkmcnt(0)
	v_mul_f64 v[75:76], v[75:76], v[80:81]
	buffer_store_dword v76, off, s[0:3], 0 offset:28
	buffer_store_dword v75, off, s[0:3], 0 offset:24
.LBB36_378:
	s_or_b64 exec, exec, s[8:9]
	buffer_load_dword v75, off, s[0:3], 0 offset:32
	buffer_load_dword v76, off, s[0:3], 0 offset:36
	v_cmp_gt_u32_e32 vcc, 4, v0
	s_waitcnt vmcnt(0)
	ds_write_b64 v78, v[75:76]
	s_waitcnt lgkmcnt(0)
	; wave barrier
	s_and_saveexec_b64 s[6:7], vcc
	s_cbranch_execz .LBB36_388
; %bb.379:
	s_and_b64 vcc, exec, s[4:5]
	s_cbranch_vccnz .LBB36_381
; %bb.380:
	buffer_load_dword v75, v79, s[0:3], 0 offen
	buffer_load_dword v76, v79, s[0:3], 0 offen offset:4
	ds_read_b64 v[80:81], v78
	s_waitcnt vmcnt(0) lgkmcnt(0)
	v_mul_f64 v[75:76], v[75:76], v[80:81]
	s_cbranch_execz .LBB36_382
	s_branch .LBB36_383
.LBB36_381:
                                        ; implicit-def: $vgpr75_vgpr76
.LBB36_382:
	ds_read_b64 v[75:76], v78
.LBB36_383:
	v_cmp_ne_u32_e32 vcc, 3, v0
	s_and_saveexec_b64 s[8:9], vcc
	s_cbranch_execz .LBB36_387
; %bb.384:
	s_mov_b32 s10, 0
	v_add_u32_e32 v80, 0x138, v77
	v_add3_u32 v81, v77, s10, 8
	s_mov_b64 s[10:11], 0
	v_mov_b32_e32 v82, v0
.LBB36_385:                             ; =>This Inner Loop Header: Depth=1
	buffer_load_dword v83, v81, s[0:3], 0 offen
	buffer_load_dword v84, v81, s[0:3], 0 offen offset:4
	ds_read_b64 v[85:86], v80
	v_add_u32_e32 v82, 1, v82
	v_cmp_lt_u32_e32 vcc, 2, v82
	v_add_u32_e32 v80, 8, v80
	s_or_b64 s[10:11], vcc, s[10:11]
	v_add_u32_e32 v81, 8, v81
	s_waitcnt vmcnt(0) lgkmcnt(0)
	v_fma_f64 v[75:76], v[83:84], v[85:86], v[75:76]
	s_andn2_b64 exec, exec, s[10:11]
	s_cbranch_execnz .LBB36_385
; %bb.386:
	s_or_b64 exec, exec, s[10:11]
.LBB36_387:
	s_or_b64 exec, exec, s[8:9]
	v_mov_b32_e32 v80, 0
	ds_read_b64 v[80:81], v80 offset:32
	s_waitcnt lgkmcnt(0)
	v_mul_f64 v[75:76], v[75:76], v[80:81]
	buffer_store_dword v76, off, s[0:3], 0 offset:36
	buffer_store_dword v75, off, s[0:3], 0 offset:32
.LBB36_388:
	s_or_b64 exec, exec, s[6:7]
	buffer_load_dword v75, off, s[0:3], 0 offset:40
	buffer_load_dword v76, off, s[0:3], 0 offset:44
	v_cmp_gt_u32_e32 vcc, 5, v0
	s_waitcnt vmcnt(0)
	ds_write_b64 v78, v[75:76]
	s_waitcnt lgkmcnt(0)
	; wave barrier
	s_and_saveexec_b64 s[6:7], vcc
	s_cbranch_execz .LBB36_398
; %bb.389:
	s_and_b64 vcc, exec, s[4:5]
	s_cbranch_vccnz .LBB36_391
; %bb.390:
	buffer_load_dword v75, v79, s[0:3], 0 offen
	buffer_load_dword v76, v79, s[0:3], 0 offen offset:4
	ds_read_b64 v[80:81], v78
	s_waitcnt vmcnt(0) lgkmcnt(0)
	v_mul_f64 v[75:76], v[75:76], v[80:81]
	s_cbranch_execz .LBB36_392
	s_branch .LBB36_393
.LBB36_391:
                                        ; implicit-def: $vgpr75_vgpr76
.LBB36_392:
	ds_read_b64 v[75:76], v78
.LBB36_393:
	v_cmp_ne_u32_e32 vcc, 4, v0
	s_and_saveexec_b64 s[8:9], vcc
	s_cbranch_execz .LBB36_397
; %bb.394:
	s_mov_b32 s10, 0
	v_add_u32_e32 v80, 0x138, v77
	v_add3_u32 v81, v77, s10, 8
	s_mov_b64 s[10:11], 0
	v_mov_b32_e32 v82, v0
.LBB36_395:                             ; =>This Inner Loop Header: Depth=1
	buffer_load_dword v83, v81, s[0:3], 0 offen
	buffer_load_dword v84, v81, s[0:3], 0 offen offset:4
	ds_read_b64 v[85:86], v80
	v_add_u32_e32 v82, 1, v82
	v_cmp_lt_u32_e32 vcc, 3, v82
	v_add_u32_e32 v80, 8, v80
	s_or_b64 s[10:11], vcc, s[10:11]
	v_add_u32_e32 v81, 8, v81
	s_waitcnt vmcnt(0) lgkmcnt(0)
	v_fma_f64 v[75:76], v[83:84], v[85:86], v[75:76]
	s_andn2_b64 exec, exec, s[10:11]
	s_cbranch_execnz .LBB36_395
; %bb.396:
	s_or_b64 exec, exec, s[10:11]
.LBB36_397:
	s_or_b64 exec, exec, s[8:9]
	v_mov_b32_e32 v80, 0
	ds_read_b64 v[80:81], v80 offset:40
	s_waitcnt lgkmcnt(0)
	v_mul_f64 v[75:76], v[75:76], v[80:81]
	buffer_store_dword v76, off, s[0:3], 0 offset:44
	buffer_store_dword v75, off, s[0:3], 0 offset:40
.LBB36_398:
	;; [unrolled: 59-line block ×31, first 2 shown]
	s_or_b64 exec, exec, s[6:7]
	buffer_load_dword v75, off, s[0:3], 0 offset:280
	buffer_load_dword v76, off, s[0:3], 0 offset:284
	v_cmp_gt_u32_e64 s[6:7], 35, v0
	s_waitcnt vmcnt(0)
	ds_write_b64 v78, v[75:76]
	s_waitcnt lgkmcnt(0)
	; wave barrier
	s_and_saveexec_b64 s[8:9], s[6:7]
	s_cbranch_execz .LBB36_698
; %bb.689:
	s_and_b64 vcc, exec, s[4:5]
	s_cbranch_vccnz .LBB36_691
; %bb.690:
	buffer_load_dword v75, v79, s[0:3], 0 offen
	buffer_load_dword v76, v79, s[0:3], 0 offen offset:4
	ds_read_b64 v[80:81], v78
	s_waitcnt vmcnt(0) lgkmcnt(0)
	v_mul_f64 v[75:76], v[75:76], v[80:81]
	s_cbranch_execz .LBB36_692
	s_branch .LBB36_693
.LBB36_691:
                                        ; implicit-def: $vgpr75_vgpr76
.LBB36_692:
	ds_read_b64 v[75:76], v78
.LBB36_693:
	v_cmp_ne_u32_e32 vcc, 34, v0
	s_and_saveexec_b64 s[10:11], vcc
	s_cbranch_execz .LBB36_697
; %bb.694:
	s_mov_b32 s12, 0
	v_add_u32_e32 v80, 0x138, v77
	v_add3_u32 v81, v77, s12, 8
	s_mov_b64 s[12:13], 0
	v_mov_b32_e32 v82, v0
.LBB36_695:                             ; =>This Inner Loop Header: Depth=1
	buffer_load_dword v83, v81, s[0:3], 0 offen
	buffer_load_dword v84, v81, s[0:3], 0 offen offset:4
	ds_read_b64 v[85:86], v80
	v_add_u32_e32 v82, 1, v82
	v_cmp_lt_u32_e32 vcc, 33, v82
	v_add_u32_e32 v80, 8, v80
	s_or_b64 s[12:13], vcc, s[12:13]
	v_add_u32_e32 v81, 8, v81
	s_waitcnt vmcnt(0) lgkmcnt(0)
	v_fma_f64 v[75:76], v[83:84], v[85:86], v[75:76]
	s_andn2_b64 exec, exec, s[12:13]
	s_cbranch_execnz .LBB36_695
; %bb.696:
	s_or_b64 exec, exec, s[12:13]
.LBB36_697:
	s_or_b64 exec, exec, s[10:11]
	v_mov_b32_e32 v80, 0
	ds_read_b64 v[80:81], v80 offset:280
	s_waitcnt lgkmcnt(0)
	v_mul_f64 v[75:76], v[75:76], v[80:81]
	buffer_store_dword v76, off, s[0:3], 0 offset:284
	buffer_store_dword v75, off, s[0:3], 0 offset:280
.LBB36_698:
	s_or_b64 exec, exec, s[8:9]
	buffer_load_dword v75, off, s[0:3], 0 offset:288
	buffer_load_dword v76, off, s[0:3], 0 offset:292
	v_cmp_ne_u32_e32 vcc, 36, v0
	s_waitcnt vmcnt(0)
	ds_write_b64 v78, v[75:76]
	s_waitcnt lgkmcnt(0)
	; wave barrier
	s_and_saveexec_b64 s[8:9], vcc
	s_cbranch_execz .LBB36_708
; %bb.699:
	s_and_b64 vcc, exec, s[4:5]
	s_cbranch_vccnz .LBB36_701
; %bb.700:
	buffer_load_dword v75, v79, s[0:3], 0 offen
	buffer_load_dword v76, v79, s[0:3], 0 offen offset:4
	ds_read_b64 v[79:80], v78
	s_waitcnt vmcnt(0) lgkmcnt(0)
	v_mul_f64 v[75:76], v[75:76], v[79:80]
	s_cbranch_execz .LBB36_702
	s_branch .LBB36_703
.LBB36_701:
                                        ; implicit-def: $vgpr75_vgpr76
.LBB36_702:
	ds_read_b64 v[75:76], v78
.LBB36_703:
	s_and_saveexec_b64 s[4:5], s[6:7]
	s_cbranch_execz .LBB36_707
; %bb.704:
	s_mov_b32 s6, 0
	v_add_u32_e32 v78, 0x138, v77
	v_add3_u32 v77, v77, s6, 8
	s_mov_b64 s[6:7], 0
.LBB36_705:                             ; =>This Inner Loop Header: Depth=1
	buffer_load_dword v79, v77, s[0:3], 0 offen
	buffer_load_dword v80, v77, s[0:3], 0 offen offset:4
	ds_read_b64 v[81:82], v78
	v_add_u32_e32 v0, 1, v0
	v_cmp_lt_u32_e32 vcc, 34, v0
	v_add_u32_e32 v78, 8, v78
	s_or_b64 s[6:7], vcc, s[6:7]
	v_add_u32_e32 v77, 8, v77
	s_waitcnt vmcnt(0) lgkmcnt(0)
	v_fma_f64 v[75:76], v[79:80], v[81:82], v[75:76]
	s_andn2_b64 exec, exec, s[6:7]
	s_cbranch_execnz .LBB36_705
; %bb.706:
	s_or_b64 exec, exec, s[6:7]
.LBB36_707:
	s_or_b64 exec, exec, s[4:5]
	v_mov_b32_e32 v0, 0
	ds_read_b64 v[77:78], v0 offset:288
	s_waitcnt lgkmcnt(0)
	v_mul_f64 v[75:76], v[75:76], v[77:78]
	buffer_store_dword v76, off, s[0:3], 0 offset:292
	buffer_store_dword v75, off, s[0:3], 0 offset:288
.LBB36_708:
	s_or_b64 exec, exec, s[8:9]
.LBB36_709:
	buffer_load_dword v75, off, s[0:3], 0
	buffer_load_dword v76, off, s[0:3], 0 offset:4
	buffer_load_dword v77, off, s[0:3], 0 offset:8
	;; [unrolled: 1-line block ×47, first 2 shown]
	s_waitcnt vmcnt(46)
	global_store_dwordx2 v[71:72], v[75:76], off
	s_waitcnt vmcnt(45)
	global_store_dwordx2 v[73:74], v[77:78], off
	buffer_load_dword v71, off, s[0:3], 0 offset:192
	buffer_load_dword v72, off, s[0:3], 0 offset:196
	s_nop 0
	buffer_load_dword v73, off, s[0:3], 0 offset:200
	buffer_load_dword v74, off, s[0:3], 0 offset:204
	buffer_load_dword v75, off, s[0:3], 0 offset:208
	buffer_load_dword v76, off, s[0:3], 0 offset:212
	buffer_load_dword v77, off, s[0:3], 0 offset:216
	buffer_load_dword v78, off, s[0:3], 0 offset:220
	s_waitcnt vmcnt(52)
	global_store_dwordx2 v[1:2], v[79:80], off
	s_waitcnt vmcnt(51)
	global_store_dwordx2 v[7:8], v[81:82], off
	buffer_load_dword v0, off, s[0:3], 0 offset:224
	buffer_load_dword v1, off, s[0:3], 0 offset:228
	s_nop 0
	buffer_load_dword v7, off, s[0:3], 0 offset:232
	buffer_load_dword v8, off, s[0:3], 0 offset:236
	buffer_load_dword v79, off, s[0:3], 0 offset:240
	buffer_load_dword v80, off, s[0:3], 0 offset:244
	buffer_load_dword v81, off, s[0:3], 0 offset:248
	buffer_load_dword v82, off, s[0:3], 0 offset:252
	;; [unrolled: 13-line block ×3, first 2 shown]
	buffer_load_dword v123, off, s[0:3], 0 offset:288
	buffer_load_dword v124, off, s[0:3], 0 offset:292
	s_waitcnt vmcnt(62)
	global_store_dwordx2 v[5:6], v[87:88], off
	global_store_dwordx2 v[11:12], v[89:90], off
	s_waitcnt vmcnt(58)
	global_store_dwordx2 v[13:14], v[91:92], off
	global_store_dwordx2 v[15:16], v[93:94], off
	;; [unrolled: 1-line block ×4, first 2 shown]
	s_waitcnt vmcnt(60)
	global_store_dwordx2 v[21:22], v[99:100], off
	s_waitcnt vmcnt(59)
	global_store_dwordx2 v[23:24], v[101:102], off
	;; [unrolled: 2-line block ×25, first 2 shown]
.LBB36_710:
	s_endpgm
	.section	.rodata,"a",@progbits
	.p2align	6, 0x0
	.amdhsa_kernel _ZN9rocsolver6v33100L18trti2_kernel_smallILi37EdPdEEv13rocblas_fill_17rocblas_diagonal_T1_iil
		.amdhsa_group_segment_fixed_size 600
		.amdhsa_private_segment_fixed_size 304
		.amdhsa_kernarg_size 32
		.amdhsa_user_sgpr_count 6
		.amdhsa_user_sgpr_private_segment_buffer 1
		.amdhsa_user_sgpr_dispatch_ptr 0
		.amdhsa_user_sgpr_queue_ptr 0
		.amdhsa_user_sgpr_kernarg_segment_ptr 1
		.amdhsa_user_sgpr_dispatch_id 0
		.amdhsa_user_sgpr_flat_scratch_init 0
		.amdhsa_user_sgpr_private_segment_size 0
		.amdhsa_uses_dynamic_stack 0
		.amdhsa_system_sgpr_private_segment_wavefront_offset 1
		.amdhsa_system_sgpr_workgroup_id_x 1
		.amdhsa_system_sgpr_workgroup_id_y 0
		.amdhsa_system_sgpr_workgroup_id_z 0
		.amdhsa_system_sgpr_workgroup_info 0
		.amdhsa_system_vgpr_workitem_id 0
		.amdhsa_next_free_vgpr 125
		.amdhsa_next_free_sgpr 50
		.amdhsa_reserve_vcc 1
		.amdhsa_reserve_flat_scratch 0
		.amdhsa_float_round_mode_32 0
		.amdhsa_float_round_mode_16_64 0
		.amdhsa_float_denorm_mode_32 3
		.amdhsa_float_denorm_mode_16_64 3
		.amdhsa_dx10_clamp 1
		.amdhsa_ieee_mode 1
		.amdhsa_fp16_overflow 0
		.amdhsa_exception_fp_ieee_invalid_op 0
		.amdhsa_exception_fp_denorm_src 0
		.amdhsa_exception_fp_ieee_div_zero 0
		.amdhsa_exception_fp_ieee_overflow 0
		.amdhsa_exception_fp_ieee_underflow 0
		.amdhsa_exception_fp_ieee_inexact 0
		.amdhsa_exception_int_div_zero 0
	.end_amdhsa_kernel
	.section	.text._ZN9rocsolver6v33100L18trti2_kernel_smallILi37EdPdEEv13rocblas_fill_17rocblas_diagonal_T1_iil,"axG",@progbits,_ZN9rocsolver6v33100L18trti2_kernel_smallILi37EdPdEEv13rocblas_fill_17rocblas_diagonal_T1_iil,comdat
.Lfunc_end36:
	.size	_ZN9rocsolver6v33100L18trti2_kernel_smallILi37EdPdEEv13rocblas_fill_17rocblas_diagonal_T1_iil, .Lfunc_end36-_ZN9rocsolver6v33100L18trti2_kernel_smallILi37EdPdEEv13rocblas_fill_17rocblas_diagonal_T1_iil
                                        ; -- End function
	.set _ZN9rocsolver6v33100L18trti2_kernel_smallILi37EdPdEEv13rocblas_fill_17rocblas_diagonal_T1_iil.num_vgpr, 125
	.set _ZN9rocsolver6v33100L18trti2_kernel_smallILi37EdPdEEv13rocblas_fill_17rocblas_diagonal_T1_iil.num_agpr, 0
	.set _ZN9rocsolver6v33100L18trti2_kernel_smallILi37EdPdEEv13rocblas_fill_17rocblas_diagonal_T1_iil.numbered_sgpr, 50
	.set _ZN9rocsolver6v33100L18trti2_kernel_smallILi37EdPdEEv13rocblas_fill_17rocblas_diagonal_T1_iil.num_named_barrier, 0
	.set _ZN9rocsolver6v33100L18trti2_kernel_smallILi37EdPdEEv13rocblas_fill_17rocblas_diagonal_T1_iil.private_seg_size, 304
	.set _ZN9rocsolver6v33100L18trti2_kernel_smallILi37EdPdEEv13rocblas_fill_17rocblas_diagonal_T1_iil.uses_vcc, 1
	.set _ZN9rocsolver6v33100L18trti2_kernel_smallILi37EdPdEEv13rocblas_fill_17rocblas_diagonal_T1_iil.uses_flat_scratch, 0
	.set _ZN9rocsolver6v33100L18trti2_kernel_smallILi37EdPdEEv13rocblas_fill_17rocblas_diagonal_T1_iil.has_dyn_sized_stack, 0
	.set _ZN9rocsolver6v33100L18trti2_kernel_smallILi37EdPdEEv13rocblas_fill_17rocblas_diagonal_T1_iil.has_recursion, 0
	.set _ZN9rocsolver6v33100L18trti2_kernel_smallILi37EdPdEEv13rocblas_fill_17rocblas_diagonal_T1_iil.has_indirect_call, 0
	.section	.AMDGPU.csdata,"",@progbits
; Kernel info:
; codeLenInByte = 21588
; TotalNumSgprs: 54
; NumVgprs: 125
; ScratchSize: 304
; MemoryBound: 0
; FloatMode: 240
; IeeeMode: 1
; LDSByteSize: 600 bytes/workgroup (compile time only)
; SGPRBlocks: 6
; VGPRBlocks: 31
; NumSGPRsForWavesPerEU: 54
; NumVGPRsForWavesPerEU: 125
; Occupancy: 2
; WaveLimiterHint : 0
; COMPUTE_PGM_RSRC2:SCRATCH_EN: 1
; COMPUTE_PGM_RSRC2:USER_SGPR: 6
; COMPUTE_PGM_RSRC2:TRAP_HANDLER: 0
; COMPUTE_PGM_RSRC2:TGID_X_EN: 1
; COMPUTE_PGM_RSRC2:TGID_Y_EN: 0
; COMPUTE_PGM_RSRC2:TGID_Z_EN: 0
; COMPUTE_PGM_RSRC2:TIDIG_COMP_CNT: 0
	.section	.text._ZN9rocsolver6v33100L18trti2_kernel_smallILi38EdPdEEv13rocblas_fill_17rocblas_diagonal_T1_iil,"axG",@progbits,_ZN9rocsolver6v33100L18trti2_kernel_smallILi38EdPdEEv13rocblas_fill_17rocblas_diagonal_T1_iil,comdat
	.globl	_ZN9rocsolver6v33100L18trti2_kernel_smallILi38EdPdEEv13rocblas_fill_17rocblas_diagonal_T1_iil ; -- Begin function _ZN9rocsolver6v33100L18trti2_kernel_smallILi38EdPdEEv13rocblas_fill_17rocblas_diagonal_T1_iil
	.p2align	8
	.type	_ZN9rocsolver6v33100L18trti2_kernel_smallILi38EdPdEEv13rocblas_fill_17rocblas_diagonal_T1_iil,@function
_ZN9rocsolver6v33100L18trti2_kernel_smallILi38EdPdEEv13rocblas_fill_17rocblas_diagonal_T1_iil: ; @_ZN9rocsolver6v33100L18trti2_kernel_smallILi38EdPdEEv13rocblas_fill_17rocblas_diagonal_T1_iil
; %bb.0:
	s_add_u32 s0, s0, s7
	s_addc_u32 s1, s1, 0
	v_cmp_gt_u32_e32 vcc, 38, v0
	s_and_saveexec_b64 s[8:9], vcc
	s_cbranch_execz .LBB37_730
; %bb.1:
	s_load_dwordx8 s[8:15], s[4:5], 0x0
	s_ashr_i32 s7, s6, 31
	v_lshlrev_b32_e32 v79, 3, v0
	s_waitcnt lgkmcnt(0)
	s_ashr_i32 s5, s12, 31
	s_mov_b32 s4, s12
	s_mul_hi_u32 s12, s14, s6
	s_mul_i32 s7, s14, s7
	s_add_i32 s7, s12, s7
	s_mul_i32 s12, s15, s6
	s_add_i32 s7, s7, s12
	s_mul_i32 s6, s14, s6
	s_lshl_b64 s[6:7], s[6:7], 3
	s_add_u32 s6, s10, s6
	s_addc_u32 s7, s11, s7
	s_lshl_b64 s[4:5], s[4:5], 3
	s_add_u32 s4, s6, s4
	s_addc_u32 s5, s7, s5
	v_mov_b32_e32 v2, s5
	v_add_co_u32_e32 v1, vcc, s4, v79
	s_ashr_i32 s7, s13, 31
	s_mov_b32 s6, s13
	v_addc_co_u32_e32 v2, vcc, 0, v2, vcc
	s_lshl_b64 s[6:7], s[6:7], 3
	v_add_co_u32_e32 v3, vcc, s6, v1
	s_add_i32 s6, s13, s13
	v_add_u32_e32 v7, s6, v0
	v_ashrrev_i32_e32 v8, 31, v7
	v_mov_b32_e32 v4, s7
	v_lshlrev_b64 v[5:6], 3, v[7:8]
	v_addc_co_u32_e32 v4, vcc, v2, v4, vcc
	v_mov_b32_e32 v8, s5
	v_add_co_u32_e32 v5, vcc, s4, v5
	v_add_u32_e32 v7, s13, v7
	v_addc_co_u32_e32 v6, vcc, v8, v6, vcc
	v_ashrrev_i32_e32 v8, 31, v7
	v_lshlrev_b64 v[9:10], 3, v[7:8]
	v_add_u32_e32 v11, s13, v7
	v_mov_b32_e32 v8, s5
	v_add_co_u32_e32 v9, vcc, s4, v9
	v_ashrrev_i32_e32 v12, 31, v11
	v_addc_co_u32_e32 v10, vcc, v8, v10, vcc
	v_lshlrev_b64 v[7:8], 3, v[11:12]
	v_mov_b32_e32 v12, s5
	v_add_co_u32_e32 v7, vcc, s4, v7
	v_add_u32_e32 v11, s13, v11
	v_addc_co_u32_e32 v8, vcc, v12, v8, vcc
	v_ashrrev_i32_e32 v12, 31, v11
	v_lshlrev_b64 v[13:14], 3, v[11:12]
	v_add_u32_e32 v15, s13, v11
	v_mov_b32_e32 v12, s5
	v_add_co_u32_e32 v13, vcc, s4, v13
	v_ashrrev_i32_e32 v16, 31, v15
	v_addc_co_u32_e32 v14, vcc, v12, v14, vcc
	v_lshlrev_b64 v[11:12], 3, v[15:16]
	v_add_u32_e32 v17, s13, v15
	v_mov_b32_e32 v16, s5
	v_add_co_u32_e32 v11, vcc, s4, v11
	v_ashrrev_i32_e32 v18, 31, v17
	v_addc_co_u32_e32 v12, vcc, v16, v12, vcc
	;; [unrolled: 6-line block ×6, first 2 shown]
	v_lshlrev_b64 v[23:24], 3, v[25:26]
	v_mov_b32_e32 v26, s5
	v_add_co_u32_e32 v23, vcc, s4, v23
	global_load_dwordx2 v[31:32], v79, s[4:5]
	global_load_dwordx2 v[39:40], v[3:4], off
	global_load_dwordx2 v[37:38], v[5:6], off
	;; [unrolled: 1-line block ×8, first 2 shown]
	v_addc_co_u32_e32 v24, vcc, v26, v24, vcc
	global_load_dwordx2 v[53:54], v[19:20], off
	global_load_dwordx2 v[51:52], v[21:22], off
	;; [unrolled: 1-line block ×3, first 2 shown]
	v_add_u32_e32 v27, s13, v25
	v_ashrrev_i32_e32 v28, 31, v27
	v_lshlrev_b64 v[25:26], 3, v[27:28]
	v_mov_b32_e32 v28, s5
	v_add_co_u32_e32 v25, vcc, s4, v25
	v_addc_co_u32_e32 v26, vcc, v28, v26, vcc
	global_load_dwordx2 v[55:56], v[25:26], off
	v_add_u32_e32 v29, s13, v27
	v_ashrrev_i32_e32 v30, 31, v29
	v_lshlrev_b64 v[27:28], 3, v[29:30]
	v_mov_b32_e32 v30, s5
	v_add_co_u32_e32 v27, vcc, s4, v27
	v_addc_co_u32_e32 v28, vcc, v30, v28, vcc
	global_load_dwordx2 v[57:58], v[27:28], off
	v_add_u32_e32 v59, s13, v29
	v_add_u32_e32 v61, s13, v59
	;; [unrolled: 1-line block ×24, first 2 shown]
	v_ashrrev_i32_e32 v30, 31, v29
	v_lshlrev_b64 v[29:30], 3, v[29:30]
	v_mov_b32_e32 v60, s5
	v_add_co_u32_e32 v29, vcc, s4, v29
	v_addc_co_u32_e32 v30, vcc, v60, v30, vcc
	v_ashrrev_i32_e32 v60, 31, v59
	global_load_dwordx2 v[106:107], v[29:30], off
	s_waitcnt vmcnt(14)
	buffer_store_dword v32, off, s[0:3], 0 offset:4
	buffer_store_dword v31, off, s[0:3], 0
	s_waitcnt vmcnt(15)
	buffer_store_dword v40, off, s[0:3], 0 offset:12
	buffer_store_dword v39, off, s[0:3], 0 offset:8
	s_waitcnt vmcnt(16)
	buffer_store_dword v38, off, s[0:3], 0 offset:20
	buffer_store_dword v37, off, s[0:3], 0 offset:16
	;; [unrolled: 3-line block ×12, first 2 shown]
	v_lshlrev_b64 v[31:32], 3, v[59:60]
	v_mov_b32_e32 v33, s5
	v_add_co_u32_e32 v31, vcc, s4, v31
	v_ashrrev_i32_e32 v62, 31, v61
	v_addc_co_u32_e32 v32, vcc, v33, v32, vcc
	v_lshlrev_b64 v[33:34], 3, v[61:62]
	v_mov_b32_e32 v35, s5
	v_add_co_u32_e32 v33, vcc, s4, v33
	v_ashrrev_i32_e32 v64, 31, v63
	v_addc_co_u32_e32 v34, vcc, v35, v34, vcc
	;; [unrolled: 5-line block ×12, first 2 shown]
	v_lshlrev_b64 v[55:56], 3, v[84:85]
	global_load_dwordx2 v[108:109], v[31:32], off
	global_load_dwordx2 v[110:111], v[33:34], off
	;; [unrolled: 1-line block ×3, first 2 shown]
	s_waitcnt vmcnt(30)
	buffer_store_dword v57, off, s[0:3], 0 offset:104
	buffer_store_dword v58, off, s[0:3], 0 offset:108
	v_mov_b32_e32 v57, s5
	v_add_co_u32_e32 v55, vcc, s4, v55
	v_ashrrev_i32_e32 v87, 31, v86
	v_addc_co_u32_e32 v56, vcc, v57, v56, vcc
	v_lshlrev_b64 v[57:58], 3, v[86:87]
	v_mov_b32_e32 v59, s5
	v_add_co_u32_e32 v57, vcc, s4, v57
	v_ashrrev_i32_e32 v89, 31, v88
	v_addc_co_u32_e32 v58, vcc, v59, v58, vcc
	v_lshlrev_b64 v[59:60], 3, v[88:89]
	;; [unrolled: 5-line block ×6, first 2 shown]
	v_mov_b32_e32 v69, s5
	v_add_co_u32_e32 v67, vcc, s4, v67
	global_load_dwordx2 v[114:115], v[37:38], off
	global_load_dwordx2 v[116:117], v[39:40], off
	;; [unrolled: 1-line block ×12, first 2 shown]
	v_addc_co_u32_e32 v68, vcc, v69, v68, vcc
	global_load_dwordx2 v[90:91], v[61:62], off
	global_load_dwordx2 v[92:93], v[63:64], off
	;; [unrolled: 1-line block ×4, first 2 shown]
	v_ashrrev_i32_e32 v99, 31, v98
	v_lshlrev_b64 v[69:70], 3, v[98:99]
	v_mov_b32_e32 v71, s5
	v_add_co_u32_e32 v69, vcc, s4, v69
	v_ashrrev_i32_e32 v101, 31, v100
	v_addc_co_u32_e32 v70, vcc, v71, v70, vcc
	v_lshlrev_b64 v[71:72], 3, v[100:101]
	v_mov_b32_e32 v73, s5
	v_add_co_u32_e32 v71, vcc, s4, v71
	v_ashrrev_i32_e32 v103, 31, v102
	v_addc_co_u32_e32 v72, vcc, v73, v72, vcc
	;; [unrolled: 5-line block ×3, first 2 shown]
	v_lshlrev_b64 v[75:76], 3, v[104:105]
	global_load_dwordx2 v[98:99], v[69:70], off
	global_load_dwordx2 v[102:103], v[73:74], off
	v_mov_b32_e32 v100, s5
	v_add_co_u32_e32 v75, vcc, s4, v75
	v_addc_co_u32_e32 v76, vcc, v100, v76, vcc
	global_load_dwordx2 v[100:101], v[71:72], off
	global_load_dwordx2 v[104:105], v[75:76], off
	s_cmpk_lg_i32 s9, 0x84
	s_waitcnt vmcnt(24)
	buffer_store_dword v109, off, s[0:3], 0 offset:116
	buffer_store_dword v108, off, s[0:3], 0 offset:112
	s_waitcnt vmcnt(25)
	buffer_store_dword v110, off, s[0:3], 0 offset:120
	buffer_store_dword v111, off, s[0:3], 0 offset:124
	;; [unrolled: 3-line block ×21, first 2 shown]
	buffer_store_dword v102, off, s[0:3], 0 offset:280
	buffer_store_dword v103, off, s[0:3], 0 offset:284
	s_waitcnt vmcnt(44)
	buffer_store_dword v104, off, s[0:3], 0 offset:288
	buffer_store_dword v105, off, s[0:3], 0 offset:292
	;; [unrolled: 1-line block ×3, first 2 shown]
	v_mov_b32_e32 v77, 0
	v_mov_b32_e32 v78, 0xbff00000
	s_cselect_b64 s[10:11], -1, 0
	s_cmpk_eq_i32 s9, 0x84
	buffer_store_dword v106, off, s[0:3], 0 offset:296
	s_cbranch_scc1 .LBB37_3
; %bb.2:
	v_mov_b32_e32 v77, 0
	v_lshl_add_u32 v88, v0, 3, v77
	buffer_load_dword v77, v88, s[0:3], 0 offen
	buffer_load_dword v78, v88, s[0:3], 0 offen offset:4
	s_waitcnt vmcnt(0)
	v_div_scale_f64 v[80:81], s[4:5], v[77:78], v[77:78], 1.0
	v_rcp_f64_e32 v[82:83], v[80:81]
	v_fma_f64 v[84:85], -v[80:81], v[82:83], 1.0
	v_fma_f64 v[82:83], v[82:83], v[84:85], v[82:83]
	v_div_scale_f64 v[84:85], vcc, 1.0, v[77:78], 1.0
	v_fma_f64 v[86:87], -v[80:81], v[82:83], 1.0
	v_fma_f64 v[82:83], v[82:83], v[86:87], v[82:83]
	v_mul_f64 v[86:87], v[84:85], v[82:83]
	v_fma_f64 v[80:81], -v[80:81], v[86:87], v[84:85]
	v_div_fmas_f64 v[80:81], v[80:81], v[82:83], v[86:87]
	v_div_fixup_f64 v[77:78], v[80:81], v[77:78], 1.0
	buffer_store_dword v77, v88, s[0:3], 0 offen
	buffer_store_dword v78, v88, s[0:3], 0 offen offset:4
	v_xor_b32_e32 v78, 0x80000000, v78
.LBB37_3:
	s_cmpk_eq_i32 s8, 0x79
	v_add_u32_e32 v80, 0x130, v79
	v_mov_b32_e32 v81, v79
	s_mov_b64 s[4:5], -1
	ds_write_b64 v79, v[77:78]
	s_cbranch_scc1 .LBB37_367
; %bb.4:
	buffer_load_dword v77, off, s[0:3], 0 offset:288
	buffer_load_dword v78, off, s[0:3], 0 offset:292
	s_movk_i32 s12, 0x48
	s_movk_i32 s13, 0x50
	;; [unrolled: 1-line block ×27, first 2 shown]
	v_cmp_eq_u32_e64 s[4:5], 37, v0
	s_waitcnt vmcnt(0)
	ds_write_b64 v80, v[77:78]
	s_waitcnt lgkmcnt(0)
	; wave barrier
	s_and_saveexec_b64 s[6:7], s[4:5]
	s_cbranch_execz .LBB37_10
; %bb.5:
	s_and_b64 vcc, exec, s[10:11]
	s_cbranch_vccz .LBB37_7
; %bb.6:
	buffer_load_dword v77, v81, s[0:3], 0 offen
	buffer_load_dword v78, v81, s[0:3], 0 offen offset:4
	ds_read_b64 v[82:83], v80
	s_waitcnt vmcnt(0) lgkmcnt(0)
	v_mul_f64 v[77:78], v[77:78], v[82:83]
	s_cbranch_execz .LBB37_8
	s_branch .LBB37_9
.LBB37_7:
                                        ; implicit-def: $vgpr77_vgpr78
.LBB37_8:
	ds_read_b64 v[77:78], v80
.LBB37_9:
	v_mov_b32_e32 v82, 0
	ds_read_b64 v[82:83], v82 offset:288
	s_waitcnt lgkmcnt(0)
	v_mul_f64 v[77:78], v[77:78], v[82:83]
	buffer_store_dword v78, off, s[0:3], 0 offset:292
	buffer_store_dword v77, off, s[0:3], 0 offset:288
.LBB37_10:
	s_or_b64 exec, exec, s[6:7]
	buffer_load_dword v77, off, s[0:3], 0 offset:280
	buffer_load_dword v78, off, s[0:3], 0 offset:284
	s_or_b32 s14, 0, 8
	s_mov_b32 s15, 16
	s_mov_b32 s16, 24
	;; [unrolled: 1-line block ×9, first 2 shown]
	v_cmp_lt_u32_e64 s[6:7], 35, v0
	s_waitcnt vmcnt(0)
	ds_write_b64 v80, v[77:78]
	s_waitcnt lgkmcnt(0)
	; wave barrier
	s_and_saveexec_b64 s[8:9], s[6:7]
	s_cbranch_execz .LBB37_16
; %bb.11:
	s_andn2_b64 vcc, exec, s[10:11]
	s_cbranch_vccnz .LBB37_13
; %bb.12:
	buffer_load_dword v77, v81, s[0:3], 0 offen
	buffer_load_dword v78, v81, s[0:3], 0 offen offset:4
	ds_read_b64 v[82:83], v80
	s_waitcnt vmcnt(0) lgkmcnt(0)
	v_mul_f64 v[77:78], v[77:78], v[82:83]
	s_cbranch_execz .LBB37_14
	s_branch .LBB37_15
.LBB37_13:
                                        ; implicit-def: $vgpr77_vgpr78
.LBB37_14:
	ds_read_b64 v[77:78], v80
.LBB37_15:
	buffer_load_dword v86, off, s[0:3], 0 offset:288
	buffer_load_dword v87, off, s[0:3], 0 offset:292
	v_mov_b32_e32 v82, 0
	ds_read2_b64 v[82:85], v82 offset0:35 offset1:74
	s_waitcnt vmcnt(0) lgkmcnt(0)
	v_fma_f64 v[84:85], v[86:87], v[84:85], v[77:78]
	v_cndmask_b32_e64 v78, v78, v85, s[4:5]
	v_cndmask_b32_e64 v77, v77, v84, s[4:5]
	v_mul_f64 v[77:78], v[77:78], v[82:83]
	buffer_store_dword v78, off, s[0:3], 0 offset:284
	buffer_store_dword v77, off, s[0:3], 0 offset:280
.LBB37_16:
	s_or_b64 exec, exec, s[8:9]
	buffer_load_dword v77, off, s[0:3], 0 offset:272
	buffer_load_dword v78, off, s[0:3], 0 offset:276
	v_cmp_lt_u32_e64 s[4:5], 34, v0
	s_waitcnt vmcnt(0)
	ds_write_b64 v80, v[77:78]
	s_waitcnt lgkmcnt(0)
	; wave barrier
	s_and_saveexec_b64 s[8:9], s[4:5]
	s_cbranch_execz .LBB37_26
; %bb.17:
	s_andn2_b64 vcc, exec, s[10:11]
	s_cbranch_vccnz .LBB37_19
; %bb.18:
	buffer_load_dword v77, v81, s[0:3], 0 offen
	buffer_load_dword v78, v81, s[0:3], 0 offen offset:4
	ds_read_b64 v[82:83], v80
	s_waitcnt vmcnt(0) lgkmcnt(0)
	v_mul_f64 v[77:78], v[77:78], v[82:83]
	s_cbranch_execz .LBB37_20
	s_branch .LBB37_21
.LBB37_19:
                                        ; implicit-def: $vgpr77_vgpr78
.LBB37_20:
	ds_read_b64 v[77:78], v80
.LBB37_21:
	s_and_saveexec_b64 s[12:13], s[6:7]
	s_cbranch_execz .LBB37_25
; %bb.22:
	v_subrev_u32_e32 v82, 35, v0
	s_movk_i32 s50, 0x248
	s_mov_b64 s[6:7], 0
.LBB37_23:                              ; =>This Inner Loop Header: Depth=1
	v_mov_b32_e32 v85, s49
	buffer_load_dword v83, v85, s[0:3], 0 offen
	buffer_load_dword v84, v85, s[0:3], 0 offen offset:4
	v_mov_b32_e32 v85, s50
	ds_read_b64 v[85:86], v85
	v_add_u32_e32 v82, -1, v82
	s_add_i32 s50, s50, 8
	s_add_i32 s49, s49, 8
	v_cmp_eq_u32_e32 vcc, 0, v82
	s_or_b64 s[6:7], vcc, s[6:7]
	s_waitcnt vmcnt(0) lgkmcnt(0)
	v_fma_f64 v[77:78], v[83:84], v[85:86], v[77:78]
	s_andn2_b64 exec, exec, s[6:7]
	s_cbranch_execnz .LBB37_23
; %bb.24:
	s_or_b64 exec, exec, s[6:7]
.LBB37_25:
	s_or_b64 exec, exec, s[12:13]
	v_mov_b32_e32 v82, 0
	ds_read_b64 v[82:83], v82 offset:272
	s_waitcnt lgkmcnt(0)
	v_mul_f64 v[77:78], v[77:78], v[82:83]
	buffer_store_dword v78, off, s[0:3], 0 offset:276
	buffer_store_dword v77, off, s[0:3], 0 offset:272
.LBB37_26:
	s_or_b64 exec, exec, s[8:9]
	buffer_load_dword v77, off, s[0:3], 0 offset:264
	buffer_load_dword v78, off, s[0:3], 0 offset:268
	v_cmp_lt_u32_e64 s[6:7], 33, v0
	s_waitcnt vmcnt(0)
	ds_write_b64 v80, v[77:78]
	s_waitcnt lgkmcnt(0)
	; wave barrier
	s_and_saveexec_b64 s[8:9], s[6:7]
	s_cbranch_execz .LBB37_36
; %bb.27:
	s_andn2_b64 vcc, exec, s[10:11]
	s_cbranch_vccnz .LBB37_29
; %bb.28:
	buffer_load_dword v77, v81, s[0:3], 0 offen
	buffer_load_dword v78, v81, s[0:3], 0 offen offset:4
	ds_read_b64 v[82:83], v80
	s_waitcnt vmcnt(0) lgkmcnt(0)
	v_mul_f64 v[77:78], v[77:78], v[82:83]
	s_cbranch_execz .LBB37_30
	s_branch .LBB37_31
.LBB37_29:
                                        ; implicit-def: $vgpr77_vgpr78
.LBB37_30:
	ds_read_b64 v[77:78], v80
.LBB37_31:
	s_and_saveexec_b64 s[12:13], s[4:5]
	s_cbranch_execz .LBB37_35
; %bb.32:
	v_subrev_u32_e32 v82, 34, v0
	s_movk_i32 s49, 0x240
	s_mov_b64 s[4:5], 0
.LBB37_33:                              ; =>This Inner Loop Header: Depth=1
	v_mov_b32_e32 v85, s48
	buffer_load_dword v83, v85, s[0:3], 0 offen
	buffer_load_dword v84, v85, s[0:3], 0 offen offset:4
	v_mov_b32_e32 v85, s49
	ds_read_b64 v[85:86], v85
	v_add_u32_e32 v82, -1, v82
	s_add_i32 s49, s49, 8
	s_add_i32 s48, s48, 8
	v_cmp_eq_u32_e32 vcc, 0, v82
	s_or_b64 s[4:5], vcc, s[4:5]
	s_waitcnt vmcnt(0) lgkmcnt(0)
	v_fma_f64 v[77:78], v[83:84], v[85:86], v[77:78]
	s_andn2_b64 exec, exec, s[4:5]
	s_cbranch_execnz .LBB37_33
; %bb.34:
	s_or_b64 exec, exec, s[4:5]
.LBB37_35:
	s_or_b64 exec, exec, s[12:13]
	v_mov_b32_e32 v82, 0
	ds_read_b64 v[82:83], v82 offset:264
	s_waitcnt lgkmcnt(0)
	v_mul_f64 v[77:78], v[77:78], v[82:83]
	buffer_store_dword v78, off, s[0:3], 0 offset:268
	buffer_store_dword v77, off, s[0:3], 0 offset:264
.LBB37_36:
	;; [unrolled: 58-line block ×8, first 2 shown]
	s_or_b64 exec, exec, s[8:9]
	buffer_load_dword v77, off, s[0:3], 0 offset:208
	buffer_load_dword v78, off, s[0:3], 0 offset:212
	v_cmp_lt_u32_e64 s[4:5], 26, v0
	s_waitcnt vmcnt(0)
	ds_write_b64 v80, v[77:78]
	s_waitcnt lgkmcnt(0)
	; wave barrier
	s_and_saveexec_b64 s[8:9], s[4:5]
	s_cbranch_execz .LBB37_106
; %bb.97:
	s_andn2_b64 vcc, exec, s[10:11]
	s_cbranch_vccnz .LBB37_99
; %bb.98:
	buffer_load_dword v77, v81, s[0:3], 0 offen
	buffer_load_dword v78, v81, s[0:3], 0 offen offset:4
	ds_read_b64 v[82:83], v80
	s_waitcnt vmcnt(0) lgkmcnt(0)
	v_mul_f64 v[77:78], v[77:78], v[82:83]
	s_cbranch_execz .LBB37_100
	s_branch .LBB37_101
.LBB37_99:
                                        ; implicit-def: $vgpr77_vgpr78
.LBB37_100:
	ds_read_b64 v[77:78], v80
.LBB37_101:
	s_and_saveexec_b64 s[12:13], s[6:7]
	s_cbranch_execz .LBB37_105
; %bb.102:
	v_subrev_u32_e32 v82, 27, v0
	s_movk_i32 s42, 0x208
	s_mov_b64 s[6:7], 0
.LBB37_103:                             ; =>This Inner Loop Header: Depth=1
	v_mov_b32_e32 v85, s41
	buffer_load_dword v83, v85, s[0:3], 0 offen
	buffer_load_dword v84, v85, s[0:3], 0 offen offset:4
	v_mov_b32_e32 v85, s42
	ds_read_b64 v[85:86], v85
	v_add_u32_e32 v82, -1, v82
	s_add_i32 s42, s42, 8
	s_add_i32 s41, s41, 8
	v_cmp_eq_u32_e32 vcc, 0, v82
	s_or_b64 s[6:7], vcc, s[6:7]
	s_waitcnt vmcnt(0) lgkmcnt(0)
	v_fma_f64 v[77:78], v[83:84], v[85:86], v[77:78]
	s_andn2_b64 exec, exec, s[6:7]
	s_cbranch_execnz .LBB37_103
; %bb.104:
	s_or_b64 exec, exec, s[6:7]
.LBB37_105:
	s_or_b64 exec, exec, s[12:13]
	v_mov_b32_e32 v82, 0
	ds_read_b64 v[82:83], v82 offset:208
	s_waitcnt lgkmcnt(0)
	v_mul_f64 v[77:78], v[77:78], v[82:83]
	buffer_store_dword v78, off, s[0:3], 0 offset:212
	buffer_store_dword v77, off, s[0:3], 0 offset:208
.LBB37_106:
	s_or_b64 exec, exec, s[8:9]
	buffer_load_dword v77, off, s[0:3], 0 offset:200
	buffer_load_dword v78, off, s[0:3], 0 offset:204
	v_cmp_lt_u32_e64 s[6:7], 25, v0
	s_waitcnt vmcnt(0)
	ds_write_b64 v80, v[77:78]
	s_waitcnt lgkmcnt(0)
	; wave barrier
	s_and_saveexec_b64 s[8:9], s[6:7]
	s_cbranch_execz .LBB37_116
; %bb.107:
	s_andn2_b64 vcc, exec, s[10:11]
	s_cbranch_vccnz .LBB37_109
; %bb.108:
	buffer_load_dword v77, v81, s[0:3], 0 offen
	buffer_load_dword v78, v81, s[0:3], 0 offen offset:4
	ds_read_b64 v[82:83], v80
	s_waitcnt vmcnt(0) lgkmcnt(0)
	v_mul_f64 v[77:78], v[77:78], v[82:83]
	s_cbranch_execz .LBB37_110
	s_branch .LBB37_111
.LBB37_109:
                                        ; implicit-def: $vgpr77_vgpr78
.LBB37_110:
	ds_read_b64 v[77:78], v80
.LBB37_111:
	s_and_saveexec_b64 s[12:13], s[4:5]
	s_cbranch_execz .LBB37_115
; %bb.112:
	v_subrev_u32_e32 v82, 26, v0
	s_movk_i32 s41, 0x200
	s_mov_b64 s[4:5], 0
.LBB37_113:                             ; =>This Inner Loop Header: Depth=1
	v_mov_b32_e32 v85, s40
	buffer_load_dword v83, v85, s[0:3], 0 offen
	buffer_load_dword v84, v85, s[0:3], 0 offen offset:4
	v_mov_b32_e32 v85, s41
	ds_read_b64 v[85:86], v85
	v_add_u32_e32 v82, -1, v82
	s_add_i32 s41, s41, 8
	s_add_i32 s40, s40, 8
	v_cmp_eq_u32_e32 vcc, 0, v82
	s_or_b64 s[4:5], vcc, s[4:5]
	s_waitcnt vmcnt(0) lgkmcnt(0)
	v_fma_f64 v[77:78], v[83:84], v[85:86], v[77:78]
	s_andn2_b64 exec, exec, s[4:5]
	s_cbranch_execnz .LBB37_113
; %bb.114:
	s_or_b64 exec, exec, s[4:5]
.LBB37_115:
	s_or_b64 exec, exec, s[12:13]
	v_mov_b32_e32 v82, 0
	ds_read_b64 v[82:83], v82 offset:200
	s_waitcnt lgkmcnt(0)
	v_mul_f64 v[77:78], v[77:78], v[82:83]
	buffer_store_dword v78, off, s[0:3], 0 offset:204
	buffer_store_dword v77, off, s[0:3], 0 offset:200
.LBB37_116:
	;; [unrolled: 58-line block ×11, first 2 shown]
	s_or_b64 exec, exec, s[8:9]
	buffer_load_dword v77, off, s[0:3], 0 offset:120
	buffer_load_dword v78, off, s[0:3], 0 offset:124
	v_cmp_lt_u32_e64 s[6:7], 15, v0
	s_waitcnt vmcnt(0)
	ds_write_b64 v80, v[77:78]
	s_waitcnt lgkmcnt(0)
	; wave barrier
	s_and_saveexec_b64 s[8:9], s[6:7]
	s_cbranch_execz .LBB37_216
; %bb.207:
	s_andn2_b64 vcc, exec, s[10:11]
	s_cbranch_vccnz .LBB37_209
; %bb.208:
	buffer_load_dword v77, v81, s[0:3], 0 offen
	buffer_load_dword v78, v81, s[0:3], 0 offen offset:4
	ds_read_b64 v[82:83], v80
	s_waitcnt vmcnt(0) lgkmcnt(0)
	v_mul_f64 v[77:78], v[77:78], v[82:83]
	s_cbranch_execz .LBB37_210
	s_branch .LBB37_211
.LBB37_209:
                                        ; implicit-def: $vgpr77_vgpr78
.LBB37_210:
	ds_read_b64 v[77:78], v80
.LBB37_211:
	s_and_saveexec_b64 s[12:13], s[4:5]
	s_cbranch_execz .LBB37_215
; %bb.212:
	v_add_u32_e32 v82, -16, v0
	s_movk_i32 s30, 0x1b0
	s_mov_b64 s[4:5], 0
.LBB37_213:                             ; =>This Inner Loop Header: Depth=1
	v_mov_b32_e32 v85, s29
	buffer_load_dword v83, v85, s[0:3], 0 offen
	buffer_load_dword v84, v85, s[0:3], 0 offen offset:4
	v_mov_b32_e32 v85, s30
	ds_read_b64 v[85:86], v85
	v_add_u32_e32 v82, -1, v82
	s_add_i32 s30, s30, 8
	s_add_i32 s29, s29, 8
	v_cmp_eq_u32_e32 vcc, 0, v82
	s_or_b64 s[4:5], vcc, s[4:5]
	s_waitcnt vmcnt(0) lgkmcnt(0)
	v_fma_f64 v[77:78], v[83:84], v[85:86], v[77:78]
	s_andn2_b64 exec, exec, s[4:5]
	s_cbranch_execnz .LBB37_213
; %bb.214:
	s_or_b64 exec, exec, s[4:5]
.LBB37_215:
	s_or_b64 exec, exec, s[12:13]
	v_mov_b32_e32 v82, 0
	ds_read_b64 v[82:83], v82 offset:120
	s_waitcnt lgkmcnt(0)
	v_mul_f64 v[77:78], v[77:78], v[82:83]
	buffer_store_dword v78, off, s[0:3], 0 offset:124
	buffer_store_dword v77, off, s[0:3], 0 offset:120
.LBB37_216:
	s_or_b64 exec, exec, s[8:9]
	buffer_load_dword v77, off, s[0:3], 0 offset:112
	buffer_load_dword v78, off, s[0:3], 0 offset:116
	v_cmp_lt_u32_e64 s[4:5], 14, v0
	s_waitcnt vmcnt(0)
	ds_write_b64 v80, v[77:78]
	s_waitcnt lgkmcnt(0)
	; wave barrier
	s_and_saveexec_b64 s[8:9], s[4:5]
	s_cbranch_execz .LBB37_226
; %bb.217:
	s_andn2_b64 vcc, exec, s[10:11]
	s_cbranch_vccnz .LBB37_219
; %bb.218:
	buffer_load_dword v77, v81, s[0:3], 0 offen
	buffer_load_dword v78, v81, s[0:3], 0 offen offset:4
	ds_read_b64 v[82:83], v80
	s_waitcnt vmcnt(0) lgkmcnt(0)
	v_mul_f64 v[77:78], v[77:78], v[82:83]
	s_cbranch_execz .LBB37_220
	s_branch .LBB37_221
.LBB37_219:
                                        ; implicit-def: $vgpr77_vgpr78
.LBB37_220:
	ds_read_b64 v[77:78], v80
.LBB37_221:
	s_and_saveexec_b64 s[12:13], s[6:7]
	s_cbranch_execz .LBB37_225
; %bb.222:
	v_add_u32_e32 v82, -15, v0
	s_movk_i32 s29, 0x1a8
	s_mov_b64 s[6:7], 0
.LBB37_223:                             ; =>This Inner Loop Header: Depth=1
	v_mov_b32_e32 v85, s28
	buffer_load_dword v83, v85, s[0:3], 0 offen
	buffer_load_dword v84, v85, s[0:3], 0 offen offset:4
	v_mov_b32_e32 v85, s29
	ds_read_b64 v[85:86], v85
	v_add_u32_e32 v82, -1, v82
	s_add_i32 s29, s29, 8
	s_add_i32 s28, s28, 8
	v_cmp_eq_u32_e32 vcc, 0, v82
	s_or_b64 s[6:7], vcc, s[6:7]
	s_waitcnt vmcnt(0) lgkmcnt(0)
	v_fma_f64 v[77:78], v[83:84], v[85:86], v[77:78]
	s_andn2_b64 exec, exec, s[6:7]
	s_cbranch_execnz .LBB37_223
; %bb.224:
	s_or_b64 exec, exec, s[6:7]
.LBB37_225:
	s_or_b64 exec, exec, s[12:13]
	v_mov_b32_e32 v82, 0
	ds_read_b64 v[82:83], v82 offset:112
	s_waitcnt lgkmcnt(0)
	v_mul_f64 v[77:78], v[77:78], v[82:83]
	buffer_store_dword v78, off, s[0:3], 0 offset:116
	buffer_store_dword v77, off, s[0:3], 0 offset:112
.LBB37_226:
	;; [unrolled: 58-line block ×15, first 2 shown]
	s_or_b64 exec, exec, s[8:9]
	buffer_load_dword v77, off, s[0:3], 0
	buffer_load_dword v78, off, s[0:3], 0 offset:4
	v_cmp_ne_u32_e32 vcc, 0, v0
	s_waitcnt vmcnt(0)
	ds_write_b64 v80, v[77:78]
	s_waitcnt lgkmcnt(0)
	; wave barrier
	s_and_saveexec_b64 s[4:5], vcc
	s_cbranch_execz .LBB37_366
; %bb.357:
	s_andn2_b64 vcc, exec, s[10:11]
	s_cbranch_vccnz .LBB37_359
; %bb.358:
	buffer_load_dword v77, v81, s[0:3], 0 offen
	buffer_load_dword v78, v81, s[0:3], 0 offen offset:4
	ds_read_b64 v[82:83], v80
	s_waitcnt vmcnt(0) lgkmcnt(0)
	v_mul_f64 v[77:78], v[77:78], v[82:83]
	s_cbranch_execz .LBB37_360
	s_branch .LBB37_361
.LBB37_359:
                                        ; implicit-def: $vgpr77_vgpr78
.LBB37_360:
	ds_read_b64 v[77:78], v80
.LBB37_361:
	s_and_saveexec_b64 s[8:9], s[6:7]
	s_cbranch_execz .LBB37_365
; %bb.362:
	v_add_u32_e32 v82, -1, v0
	s_movk_i32 s12, 0x138
	s_mov_b64 s[6:7], 0
.LBB37_363:                             ; =>This Inner Loop Header: Depth=1
	v_mov_b32_e32 v85, s14
	buffer_load_dword v83, v85, s[0:3], 0 offen
	buffer_load_dword v84, v85, s[0:3], 0 offen offset:4
	v_mov_b32_e32 v85, s12
	ds_read_b64 v[85:86], v85
	v_add_u32_e32 v82, -1, v82
	s_add_i32 s12, s12, 8
	s_add_i32 s14, s14, 8
	v_cmp_eq_u32_e32 vcc, 0, v82
	s_or_b64 s[6:7], vcc, s[6:7]
	s_waitcnt vmcnt(0) lgkmcnt(0)
	v_fma_f64 v[77:78], v[83:84], v[85:86], v[77:78]
	s_andn2_b64 exec, exec, s[6:7]
	s_cbranch_execnz .LBB37_363
; %bb.364:
	s_or_b64 exec, exec, s[6:7]
.LBB37_365:
	s_or_b64 exec, exec, s[8:9]
	v_mov_b32_e32 v82, 0
	ds_read_b64 v[82:83], v82
	s_waitcnt lgkmcnt(0)
	v_mul_f64 v[77:78], v[77:78], v[82:83]
	buffer_store_dword v78, off, s[0:3], 0 offset:4
	buffer_store_dword v77, off, s[0:3], 0
.LBB37_366:
	s_or_b64 exec, exec, s[4:5]
	s_mov_b64 s[4:5], 0
.LBB37_367:
	s_and_b64 vcc, exec, s[4:5]
	s_cbranch_vccz .LBB37_729
; %bb.368:
	buffer_load_dword v77, off, s[0:3], 0 offset:8
	buffer_load_dword v78, off, s[0:3], 0 offset:12
	v_cmp_eq_u32_e64 s[6:7], 0, v0
	s_waitcnt vmcnt(0)
	ds_write_b64 v80, v[77:78]
	s_waitcnt lgkmcnt(0)
	; wave barrier
	s_and_saveexec_b64 s[4:5], s[6:7]
	s_cbranch_execz .LBB37_374
; %bb.369:
	s_and_b64 vcc, exec, s[10:11]
	s_cbranch_vccz .LBB37_371
; %bb.370:
	buffer_load_dword v77, v81, s[0:3], 0 offen
	buffer_load_dword v78, v81, s[0:3], 0 offen offset:4
	ds_read_b64 v[82:83], v80
	s_waitcnt vmcnt(0) lgkmcnt(0)
	v_mul_f64 v[77:78], v[77:78], v[82:83]
	s_cbranch_execz .LBB37_372
	s_branch .LBB37_373
.LBB37_371:
                                        ; implicit-def: $vgpr77_vgpr78
.LBB37_372:
	ds_read_b64 v[77:78], v80
.LBB37_373:
	v_mov_b32_e32 v82, 0
	ds_read_b64 v[82:83], v82 offset:8
	s_waitcnt lgkmcnt(0)
	v_mul_f64 v[77:78], v[77:78], v[82:83]
	buffer_store_dword v78, off, s[0:3], 0 offset:12
	buffer_store_dword v77, off, s[0:3], 0 offset:8
.LBB37_374:
	s_or_b64 exec, exec, s[4:5]
	buffer_load_dword v77, off, s[0:3], 0 offset:16
	buffer_load_dword v78, off, s[0:3], 0 offset:20
	v_cndmask_b32_e64 v82, 0, 1, s[10:11]
	v_cmp_gt_u32_e32 vcc, 2, v0
	v_cmp_ne_u32_e64 s[4:5], 1, v82
	s_waitcnt vmcnt(0)
	ds_write_b64 v80, v[77:78]
	s_waitcnt lgkmcnt(0)
	; wave barrier
	s_and_saveexec_b64 s[8:9], vcc
	s_cbranch_execz .LBB37_380
; %bb.375:
	s_and_b64 vcc, exec, s[4:5]
	s_cbranch_vccnz .LBB37_377
; %bb.376:
	buffer_load_dword v77, v81, s[0:3], 0 offen
	buffer_load_dword v78, v81, s[0:3], 0 offen offset:4
	ds_read_b64 v[82:83], v80
	s_waitcnt vmcnt(0) lgkmcnt(0)
	v_mul_f64 v[77:78], v[77:78], v[82:83]
	s_cbranch_execz .LBB37_378
	s_branch .LBB37_379
.LBB37_377:
                                        ; implicit-def: $vgpr77_vgpr78
.LBB37_378:
	ds_read_b64 v[77:78], v80
.LBB37_379:
	buffer_load_dword v86, off, s[0:3], 0 offset:8
	buffer_load_dword v87, off, s[0:3], 0 offset:12
	v_mov_b32_e32 v82, 0
	ds_read2_b64 v[82:85], v82 offset0:2 offset1:39
	s_waitcnt vmcnt(0) lgkmcnt(0)
	v_fma_f64 v[84:85], v[86:87], v[84:85], v[77:78]
	v_cndmask_b32_e64 v78, v78, v85, s[6:7]
	v_cndmask_b32_e64 v77, v77, v84, s[6:7]
	v_mul_f64 v[77:78], v[77:78], v[82:83]
	buffer_store_dword v78, off, s[0:3], 0 offset:20
	buffer_store_dword v77, off, s[0:3], 0 offset:16
.LBB37_380:
	s_or_b64 exec, exec, s[8:9]
	buffer_load_dword v77, off, s[0:3], 0 offset:24
	buffer_load_dword v78, off, s[0:3], 0 offset:28
	v_cmp_gt_u32_e32 vcc, 3, v0
	s_waitcnt vmcnt(0)
	ds_write_b64 v80, v[77:78]
	s_waitcnt lgkmcnt(0)
	; wave barrier
	s_and_saveexec_b64 s[8:9], vcc
	s_cbranch_execz .LBB37_388
; %bb.381:
	s_and_b64 vcc, exec, s[4:5]
	s_cbranch_vccnz .LBB37_383
; %bb.382:
	buffer_load_dword v77, v81, s[0:3], 0 offen
	buffer_load_dword v78, v81, s[0:3], 0 offen offset:4
	ds_read_b64 v[82:83], v80
	s_waitcnt vmcnt(0) lgkmcnt(0)
	v_mul_f64 v[77:78], v[77:78], v[82:83]
	s_cbranch_execz .LBB37_384
	s_branch .LBB37_385
.LBB37_383:
                                        ; implicit-def: $vgpr77_vgpr78
.LBB37_384:
	ds_read_b64 v[77:78], v80
.LBB37_385:
	v_cmp_ne_u32_e32 vcc, 2, v0
	s_and_saveexec_b64 s[10:11], vcc
	s_cbranch_execz .LBB37_387
; %bb.386:
	buffer_load_dword v82, v81, s[0:3], 0 offen offset:8
	buffer_load_dword v83, v81, s[0:3], 0 offen offset:12
	buffer_load_dword v84, off, s[0:3], 0 offset:16
	buffer_load_dword v85, off, s[0:3], 0 offset:20
	ds_read_b64 v[86:87], v80 offset:8
	v_mov_b32_e32 v88, 0
	ds_read_b64 v[88:89], v88 offset:320
	s_waitcnt vmcnt(2) lgkmcnt(1)
	v_fma_f64 v[77:78], v[82:83], v[86:87], v[77:78]
	s_waitcnt vmcnt(0) lgkmcnt(0)
	v_fma_f64 v[82:83], v[84:85], v[88:89], v[77:78]
	v_cndmask_b32_e64 v78, v78, v83, s[6:7]
	v_cndmask_b32_e64 v77, v77, v82, s[6:7]
.LBB37_387:
	s_or_b64 exec, exec, s[10:11]
	v_mov_b32_e32 v82, 0
	ds_read_b64 v[82:83], v82 offset:24
	s_waitcnt lgkmcnt(0)
	v_mul_f64 v[77:78], v[77:78], v[82:83]
	buffer_store_dword v78, off, s[0:3], 0 offset:28
	buffer_store_dword v77, off, s[0:3], 0 offset:24
.LBB37_388:
	s_or_b64 exec, exec, s[8:9]
	buffer_load_dword v77, off, s[0:3], 0 offset:32
	buffer_load_dword v78, off, s[0:3], 0 offset:36
	v_cmp_gt_u32_e32 vcc, 4, v0
	s_waitcnt vmcnt(0)
	ds_write_b64 v80, v[77:78]
	s_waitcnt lgkmcnt(0)
	; wave barrier
	s_and_saveexec_b64 s[6:7], vcc
	s_cbranch_execz .LBB37_398
; %bb.389:
	s_and_b64 vcc, exec, s[4:5]
	s_cbranch_vccnz .LBB37_391
; %bb.390:
	buffer_load_dword v77, v81, s[0:3], 0 offen
	buffer_load_dword v78, v81, s[0:3], 0 offen offset:4
	ds_read_b64 v[82:83], v80
	s_waitcnt vmcnt(0) lgkmcnt(0)
	v_mul_f64 v[77:78], v[77:78], v[82:83]
	s_cbranch_execz .LBB37_392
	s_branch .LBB37_393
.LBB37_391:
                                        ; implicit-def: $vgpr77_vgpr78
.LBB37_392:
	ds_read_b64 v[77:78], v80
.LBB37_393:
	v_cmp_ne_u32_e32 vcc, 3, v0
	s_and_saveexec_b64 s[8:9], vcc
	s_cbranch_execz .LBB37_397
; %bb.394:
	s_mov_b32 s10, 0
	v_add_u32_e32 v82, 0x138, v79
	v_add3_u32 v83, v79, s10, 8
	s_mov_b64 s[10:11], 0
	v_mov_b32_e32 v84, v0
.LBB37_395:                             ; =>This Inner Loop Header: Depth=1
	buffer_load_dword v85, v83, s[0:3], 0 offen
	buffer_load_dword v86, v83, s[0:3], 0 offen offset:4
	ds_read_b64 v[87:88], v82
	v_add_u32_e32 v84, 1, v84
	v_cmp_lt_u32_e32 vcc, 2, v84
	v_add_u32_e32 v82, 8, v82
	s_or_b64 s[10:11], vcc, s[10:11]
	v_add_u32_e32 v83, 8, v83
	s_waitcnt vmcnt(0) lgkmcnt(0)
	v_fma_f64 v[77:78], v[85:86], v[87:88], v[77:78]
	s_andn2_b64 exec, exec, s[10:11]
	s_cbranch_execnz .LBB37_395
; %bb.396:
	s_or_b64 exec, exec, s[10:11]
.LBB37_397:
	s_or_b64 exec, exec, s[8:9]
	v_mov_b32_e32 v82, 0
	ds_read_b64 v[82:83], v82 offset:32
	s_waitcnt lgkmcnt(0)
	v_mul_f64 v[77:78], v[77:78], v[82:83]
	buffer_store_dword v78, off, s[0:3], 0 offset:36
	buffer_store_dword v77, off, s[0:3], 0 offset:32
.LBB37_398:
	s_or_b64 exec, exec, s[6:7]
	buffer_load_dword v77, off, s[0:3], 0 offset:40
	buffer_load_dword v78, off, s[0:3], 0 offset:44
	v_cmp_gt_u32_e32 vcc, 5, v0
	s_waitcnt vmcnt(0)
	ds_write_b64 v80, v[77:78]
	s_waitcnt lgkmcnt(0)
	; wave barrier
	s_and_saveexec_b64 s[6:7], vcc
	s_cbranch_execz .LBB37_408
; %bb.399:
	s_and_b64 vcc, exec, s[4:5]
	s_cbranch_vccnz .LBB37_401
; %bb.400:
	buffer_load_dword v77, v81, s[0:3], 0 offen
	buffer_load_dword v78, v81, s[0:3], 0 offen offset:4
	ds_read_b64 v[82:83], v80
	s_waitcnt vmcnt(0) lgkmcnt(0)
	v_mul_f64 v[77:78], v[77:78], v[82:83]
	s_cbranch_execz .LBB37_402
	s_branch .LBB37_403
.LBB37_401:
                                        ; implicit-def: $vgpr77_vgpr78
.LBB37_402:
	ds_read_b64 v[77:78], v80
.LBB37_403:
	v_cmp_ne_u32_e32 vcc, 4, v0
	s_and_saveexec_b64 s[8:9], vcc
	s_cbranch_execz .LBB37_407
; %bb.404:
	s_mov_b32 s10, 0
	v_add_u32_e32 v82, 0x138, v79
	v_add3_u32 v83, v79, s10, 8
	s_mov_b64 s[10:11], 0
	v_mov_b32_e32 v84, v0
.LBB37_405:                             ; =>This Inner Loop Header: Depth=1
	buffer_load_dword v85, v83, s[0:3], 0 offen
	buffer_load_dword v86, v83, s[0:3], 0 offen offset:4
	ds_read_b64 v[87:88], v82
	v_add_u32_e32 v84, 1, v84
	v_cmp_lt_u32_e32 vcc, 3, v84
	v_add_u32_e32 v82, 8, v82
	s_or_b64 s[10:11], vcc, s[10:11]
	v_add_u32_e32 v83, 8, v83
	s_waitcnt vmcnt(0) lgkmcnt(0)
	v_fma_f64 v[77:78], v[85:86], v[87:88], v[77:78]
	s_andn2_b64 exec, exec, s[10:11]
	s_cbranch_execnz .LBB37_405
; %bb.406:
	s_or_b64 exec, exec, s[10:11]
.LBB37_407:
	s_or_b64 exec, exec, s[8:9]
	v_mov_b32_e32 v82, 0
	ds_read_b64 v[82:83], v82 offset:40
	s_waitcnt lgkmcnt(0)
	v_mul_f64 v[77:78], v[77:78], v[82:83]
	buffer_store_dword v78, off, s[0:3], 0 offset:44
	buffer_store_dword v77, off, s[0:3], 0 offset:40
.LBB37_408:
	;; [unrolled: 59-line block ×32, first 2 shown]
	s_or_b64 exec, exec, s[6:7]
	buffer_load_dword v77, off, s[0:3], 0 offset:288
	buffer_load_dword v78, off, s[0:3], 0 offset:292
	v_cmp_gt_u32_e64 s[6:7], 36, v0
	s_waitcnt vmcnt(0)
	ds_write_b64 v80, v[77:78]
	s_waitcnt lgkmcnt(0)
	; wave barrier
	s_and_saveexec_b64 s[8:9], s[6:7]
	s_cbranch_execz .LBB37_718
; %bb.709:
	s_and_b64 vcc, exec, s[4:5]
	s_cbranch_vccnz .LBB37_711
; %bb.710:
	buffer_load_dword v77, v81, s[0:3], 0 offen
	buffer_load_dword v78, v81, s[0:3], 0 offen offset:4
	ds_read_b64 v[82:83], v80
	s_waitcnt vmcnt(0) lgkmcnt(0)
	v_mul_f64 v[77:78], v[77:78], v[82:83]
	s_cbranch_execz .LBB37_712
	s_branch .LBB37_713
.LBB37_711:
                                        ; implicit-def: $vgpr77_vgpr78
.LBB37_712:
	ds_read_b64 v[77:78], v80
.LBB37_713:
	v_cmp_ne_u32_e32 vcc, 35, v0
	s_and_saveexec_b64 s[10:11], vcc
	s_cbranch_execz .LBB37_717
; %bb.714:
	s_mov_b32 s12, 0
	v_add_u32_e32 v82, 0x138, v79
	v_add3_u32 v83, v79, s12, 8
	s_mov_b64 s[12:13], 0
	v_mov_b32_e32 v84, v0
.LBB37_715:                             ; =>This Inner Loop Header: Depth=1
	buffer_load_dword v85, v83, s[0:3], 0 offen
	buffer_load_dword v86, v83, s[0:3], 0 offen offset:4
	ds_read_b64 v[87:88], v82
	v_add_u32_e32 v84, 1, v84
	v_cmp_lt_u32_e32 vcc, 34, v84
	v_add_u32_e32 v82, 8, v82
	s_or_b64 s[12:13], vcc, s[12:13]
	v_add_u32_e32 v83, 8, v83
	s_waitcnt vmcnt(0) lgkmcnt(0)
	v_fma_f64 v[77:78], v[85:86], v[87:88], v[77:78]
	s_andn2_b64 exec, exec, s[12:13]
	s_cbranch_execnz .LBB37_715
; %bb.716:
	s_or_b64 exec, exec, s[12:13]
.LBB37_717:
	s_or_b64 exec, exec, s[10:11]
	v_mov_b32_e32 v82, 0
	ds_read_b64 v[82:83], v82 offset:288
	s_waitcnt lgkmcnt(0)
	v_mul_f64 v[77:78], v[77:78], v[82:83]
	buffer_store_dword v78, off, s[0:3], 0 offset:292
	buffer_store_dword v77, off, s[0:3], 0 offset:288
.LBB37_718:
	s_or_b64 exec, exec, s[8:9]
	buffer_load_dword v77, off, s[0:3], 0 offset:296
	buffer_load_dword v78, off, s[0:3], 0 offset:300
	v_cmp_ne_u32_e32 vcc, 37, v0
	s_waitcnt vmcnt(0)
	ds_write_b64 v80, v[77:78]
	s_waitcnt lgkmcnt(0)
	; wave barrier
	s_and_saveexec_b64 s[8:9], vcc
	s_cbranch_execz .LBB37_728
; %bb.719:
	s_and_b64 vcc, exec, s[4:5]
	s_cbranch_vccnz .LBB37_721
; %bb.720:
	buffer_load_dword v77, v81, s[0:3], 0 offen
	buffer_load_dword v78, v81, s[0:3], 0 offen offset:4
	ds_read_b64 v[81:82], v80
	s_waitcnt vmcnt(0) lgkmcnt(0)
	v_mul_f64 v[77:78], v[77:78], v[81:82]
	s_cbranch_execz .LBB37_722
	s_branch .LBB37_723
.LBB37_721:
                                        ; implicit-def: $vgpr77_vgpr78
.LBB37_722:
	ds_read_b64 v[77:78], v80
.LBB37_723:
	s_and_saveexec_b64 s[4:5], s[6:7]
	s_cbranch_execz .LBB37_727
; %bb.724:
	s_mov_b32 s6, 0
	v_add_u32_e32 v80, 0x138, v79
	v_add3_u32 v79, v79, s6, 8
	s_mov_b64 s[6:7], 0
.LBB37_725:                             ; =>This Inner Loop Header: Depth=1
	buffer_load_dword v81, v79, s[0:3], 0 offen
	buffer_load_dword v82, v79, s[0:3], 0 offen offset:4
	ds_read_b64 v[83:84], v80
	v_add_u32_e32 v0, 1, v0
	v_cmp_lt_u32_e32 vcc, 35, v0
	v_add_u32_e32 v80, 8, v80
	s_or_b64 s[6:7], vcc, s[6:7]
	v_add_u32_e32 v79, 8, v79
	s_waitcnt vmcnt(0) lgkmcnt(0)
	v_fma_f64 v[77:78], v[81:82], v[83:84], v[77:78]
	s_andn2_b64 exec, exec, s[6:7]
	s_cbranch_execnz .LBB37_725
; %bb.726:
	s_or_b64 exec, exec, s[6:7]
.LBB37_727:
	s_or_b64 exec, exec, s[4:5]
	v_mov_b32_e32 v0, 0
	ds_read_b64 v[79:80], v0 offset:296
	s_waitcnt lgkmcnt(0)
	v_mul_f64 v[77:78], v[77:78], v[79:80]
	buffer_store_dword v78, off, s[0:3], 0 offset:300
	buffer_store_dword v77, off, s[0:3], 0 offset:296
.LBB37_728:
	s_or_b64 exec, exec, s[8:9]
.LBB37_729:
	buffer_load_dword v77, off, s[0:3], 0
	buffer_load_dword v78, off, s[0:3], 0 offset:4
	buffer_load_dword v79, off, s[0:3], 0 offset:8
	;; [unrolled: 1-line block ×47, first 2 shown]
	s_waitcnt vmcnt(46)
	global_store_dwordx2 v[1:2], v[77:78], off
	s_waitcnt vmcnt(45)
	global_store_dwordx2 v[3:4], v[79:80], off
	buffer_load_dword v0, off, s[0:3], 0 offset:192
	buffer_load_dword v1, off, s[0:3], 0 offset:196
	;; [unrolled: 1-line block ×3, first 2 shown]
	s_nop 0
	buffer_load_dword v3, off, s[0:3], 0 offset:204
	buffer_load_dword v77, off, s[0:3], 0 offset:208
	;; [unrolled: 1-line block ×5, first 2 shown]
	s_waitcnt vmcnt(52)
	global_store_dwordx2 v[5:6], v[81:82], off
	s_waitcnt vmcnt(51)
	global_store_dwordx2 v[9:10], v[83:84], off
	buffer_load_dword v4, off, s[0:3], 0 offset:224
	buffer_load_dword v5, off, s[0:3], 0 offset:228
	s_nop 0
	buffer_load_dword v9, off, s[0:3], 0 offset:232
	buffer_load_dword v10, off, s[0:3], 0 offset:236
	;; [unrolled: 1-line block ×6, first 2 shown]
	s_waitcnt vmcnt(58)
	global_store_dwordx2 v[7:8], v[85:86], off
	s_waitcnt vmcnt(57)
	global_store_dwordx2 v[13:14], v[87:88], off
	buffer_load_dword v6, off, s[0:3], 0 offset:256
	buffer_load_dword v7, off, s[0:3], 0 offset:260
	s_nop 0
	buffer_load_dword v13, off, s[0:3], 0 offset:264
	buffer_load_dword v14, off, s[0:3], 0 offset:268
	;; [unrolled: 1-line block ×6, first 2 shown]
	s_waitcnt vmcnt(62)
	global_store_dwordx2 v[11:12], v[89:90], off
	buffer_load_dword v11, off, s[0:3], 0 offset:288
	s_nop 0
	buffer_load_dword v12, off, s[0:3], 0 offset:292
	buffer_load_dword v89, off, s[0:3], 0 offset:296
	;; [unrolled: 1-line block ×3, first 2 shown]
	s_nop 0
	global_store_dwordx2 v[15:16], v[91:92], off
	s_waitcnt vmcnt(60)
	global_store_dwordx2 v[17:18], v[93:94], off
	global_store_dwordx2 v[19:20], v[95:96], off
	;; [unrolled: 1-line block ×4, first 2 shown]
	s_waitcnt vmcnt(62)
	global_store_dwordx2 v[25:26], v[101:102], off
	s_waitcnt vmcnt(61)
	global_store_dwordx2 v[27:28], v[103:104], off
	;; [unrolled: 2-line block ×26, first 2 shown]
.LBB37_730:
	s_endpgm
	.section	.rodata,"a",@progbits
	.p2align	6, 0x0
	.amdhsa_kernel _ZN9rocsolver6v33100L18trti2_kernel_smallILi38EdPdEEv13rocblas_fill_17rocblas_diagonal_T1_iil
		.amdhsa_group_segment_fixed_size 608
		.amdhsa_private_segment_fixed_size 320
		.amdhsa_kernarg_size 32
		.amdhsa_user_sgpr_count 6
		.amdhsa_user_sgpr_private_segment_buffer 1
		.amdhsa_user_sgpr_dispatch_ptr 0
		.amdhsa_user_sgpr_queue_ptr 0
		.amdhsa_user_sgpr_kernarg_segment_ptr 1
		.amdhsa_user_sgpr_dispatch_id 0
		.amdhsa_user_sgpr_flat_scratch_init 0
		.amdhsa_user_sgpr_private_segment_size 0
		.amdhsa_uses_dynamic_stack 0
		.amdhsa_system_sgpr_private_segment_wavefront_offset 1
		.amdhsa_system_sgpr_workgroup_id_x 1
		.amdhsa_system_sgpr_workgroup_id_y 0
		.amdhsa_system_sgpr_workgroup_id_z 0
		.amdhsa_system_sgpr_workgroup_info 0
		.amdhsa_system_vgpr_workitem_id 0
		.amdhsa_next_free_vgpr 126
		.amdhsa_next_free_sgpr 51
		.amdhsa_reserve_vcc 1
		.amdhsa_reserve_flat_scratch 0
		.amdhsa_float_round_mode_32 0
		.amdhsa_float_round_mode_16_64 0
		.amdhsa_float_denorm_mode_32 3
		.amdhsa_float_denorm_mode_16_64 3
		.amdhsa_dx10_clamp 1
		.amdhsa_ieee_mode 1
		.amdhsa_fp16_overflow 0
		.amdhsa_exception_fp_ieee_invalid_op 0
		.amdhsa_exception_fp_denorm_src 0
		.amdhsa_exception_fp_ieee_div_zero 0
		.amdhsa_exception_fp_ieee_overflow 0
		.amdhsa_exception_fp_ieee_underflow 0
		.amdhsa_exception_fp_ieee_inexact 0
		.amdhsa_exception_int_div_zero 0
	.end_amdhsa_kernel
	.section	.text._ZN9rocsolver6v33100L18trti2_kernel_smallILi38EdPdEEv13rocblas_fill_17rocblas_diagonal_T1_iil,"axG",@progbits,_ZN9rocsolver6v33100L18trti2_kernel_smallILi38EdPdEEv13rocblas_fill_17rocblas_diagonal_T1_iil,comdat
.Lfunc_end37:
	.size	_ZN9rocsolver6v33100L18trti2_kernel_smallILi38EdPdEEv13rocblas_fill_17rocblas_diagonal_T1_iil, .Lfunc_end37-_ZN9rocsolver6v33100L18trti2_kernel_smallILi38EdPdEEv13rocblas_fill_17rocblas_diagonal_T1_iil
                                        ; -- End function
	.set _ZN9rocsolver6v33100L18trti2_kernel_smallILi38EdPdEEv13rocblas_fill_17rocblas_diagonal_T1_iil.num_vgpr, 126
	.set _ZN9rocsolver6v33100L18trti2_kernel_smallILi38EdPdEEv13rocblas_fill_17rocblas_diagonal_T1_iil.num_agpr, 0
	.set _ZN9rocsolver6v33100L18trti2_kernel_smallILi38EdPdEEv13rocblas_fill_17rocblas_diagonal_T1_iil.numbered_sgpr, 51
	.set _ZN9rocsolver6v33100L18trti2_kernel_smallILi38EdPdEEv13rocblas_fill_17rocblas_diagonal_T1_iil.num_named_barrier, 0
	.set _ZN9rocsolver6v33100L18trti2_kernel_smallILi38EdPdEEv13rocblas_fill_17rocblas_diagonal_T1_iil.private_seg_size, 320
	.set _ZN9rocsolver6v33100L18trti2_kernel_smallILi38EdPdEEv13rocblas_fill_17rocblas_diagonal_T1_iil.uses_vcc, 1
	.set _ZN9rocsolver6v33100L18trti2_kernel_smallILi38EdPdEEv13rocblas_fill_17rocblas_diagonal_T1_iil.uses_flat_scratch, 0
	.set _ZN9rocsolver6v33100L18trti2_kernel_smallILi38EdPdEEv13rocblas_fill_17rocblas_diagonal_T1_iil.has_dyn_sized_stack, 0
	.set _ZN9rocsolver6v33100L18trti2_kernel_smallILi38EdPdEEv13rocblas_fill_17rocblas_diagonal_T1_iil.has_recursion, 0
	.set _ZN9rocsolver6v33100L18trti2_kernel_smallILi38EdPdEEv13rocblas_fill_17rocblas_diagonal_T1_iil.has_indirect_call, 0
	.section	.AMDGPU.csdata,"",@progbits
; Kernel info:
; codeLenInByte = 22240
; TotalNumSgprs: 55
; NumVgprs: 126
; ScratchSize: 320
; MemoryBound: 0
; FloatMode: 240
; IeeeMode: 1
; LDSByteSize: 608 bytes/workgroup (compile time only)
; SGPRBlocks: 6
; VGPRBlocks: 31
; NumSGPRsForWavesPerEU: 55
; NumVGPRsForWavesPerEU: 126
; Occupancy: 2
; WaveLimiterHint : 0
; COMPUTE_PGM_RSRC2:SCRATCH_EN: 1
; COMPUTE_PGM_RSRC2:USER_SGPR: 6
; COMPUTE_PGM_RSRC2:TRAP_HANDLER: 0
; COMPUTE_PGM_RSRC2:TGID_X_EN: 1
; COMPUTE_PGM_RSRC2:TGID_Y_EN: 0
; COMPUTE_PGM_RSRC2:TGID_Z_EN: 0
; COMPUTE_PGM_RSRC2:TIDIG_COMP_CNT: 0
	.section	.text._ZN9rocsolver6v33100L18trti2_kernel_smallILi39EdPdEEv13rocblas_fill_17rocblas_diagonal_T1_iil,"axG",@progbits,_ZN9rocsolver6v33100L18trti2_kernel_smallILi39EdPdEEv13rocblas_fill_17rocblas_diagonal_T1_iil,comdat
	.globl	_ZN9rocsolver6v33100L18trti2_kernel_smallILi39EdPdEEv13rocblas_fill_17rocblas_diagonal_T1_iil ; -- Begin function _ZN9rocsolver6v33100L18trti2_kernel_smallILi39EdPdEEv13rocblas_fill_17rocblas_diagonal_T1_iil
	.p2align	8
	.type	_ZN9rocsolver6v33100L18trti2_kernel_smallILi39EdPdEEv13rocblas_fill_17rocblas_diagonal_T1_iil,@function
_ZN9rocsolver6v33100L18trti2_kernel_smallILi39EdPdEEv13rocblas_fill_17rocblas_diagonal_T1_iil: ; @_ZN9rocsolver6v33100L18trti2_kernel_smallILi39EdPdEEv13rocblas_fill_17rocblas_diagonal_T1_iil
; %bb.0:
	s_add_u32 s0, s0, s7
	s_addc_u32 s1, s1, 0
	v_cmp_gt_u32_e32 vcc, 39, v0
	s_and_saveexec_b64 s[8:9], vcc
	s_cbranch_execz .LBB38_750
; %bb.1:
	s_load_dwordx8 s[8:15], s[4:5], 0x0
	s_ashr_i32 s7, s6, 31
	v_lshlrev_b32_e32 v81, 3, v0
	s_waitcnt lgkmcnt(0)
	s_ashr_i32 s5, s12, 31
	s_mov_b32 s4, s12
	s_mul_hi_u32 s12, s14, s6
	s_mul_i32 s7, s14, s7
	s_add_i32 s7, s12, s7
	s_mul_i32 s12, s15, s6
	s_add_i32 s7, s7, s12
	s_mul_i32 s6, s14, s6
	s_lshl_b64 s[6:7], s[6:7], 3
	s_add_u32 s6, s10, s6
	s_addc_u32 s7, s11, s7
	s_lshl_b64 s[4:5], s[4:5], 3
	s_add_u32 s4, s6, s4
	s_addc_u32 s5, s7, s5
	v_mov_b32_e32 v1, s5
	v_add_co_u32_e32 v3, vcc, s4, v81
	s_ashr_i32 s7, s13, 31
	s_mov_b32 s6, s13
	v_addc_co_u32_e32 v4, vcc, 0, v1, vcc
	s_lshl_b64 s[6:7], s[6:7], 3
	v_add_co_u32_e32 v1, vcc, s6, v3
	s_add_i32 s6, s13, s13
	v_add_u32_e32 v5, s6, v0
	v_ashrrev_i32_e32 v6, 31, v5
	v_mov_b32_e32 v2, s7
	v_lshlrev_b64 v[7:8], 3, v[5:6]
	v_addc_co_u32_e32 v2, vcc, v4, v2, vcc
	v_add_u32_e32 v9, s13, v5
	v_mov_b32_e32 v6, s5
	v_add_co_u32_e32 v7, vcc, s4, v7
	v_ashrrev_i32_e32 v10, 31, v9
	v_addc_co_u32_e32 v8, vcc, v6, v8, vcc
	v_lshlrev_b64 v[5:6], 3, v[9:10]
	v_add_u32_e32 v11, s13, v9
	v_mov_b32_e32 v10, s5
	v_add_co_u32_e32 v5, vcc, s4, v5
	v_ashrrev_i32_e32 v12, 31, v11
	v_addc_co_u32_e32 v6, vcc, v10, v6, vcc
	v_lshlrev_b64 v[9:10], 3, v[11:12]
	;; [unrolled: 6-line block ×3, first 2 shown]
	v_mov_b32_e32 v14, s5
	v_add_co_u32_e32 v11, vcc, s4, v11
	v_add_u32_e32 v13, s13, v13
	v_addc_co_u32_e32 v12, vcc, v14, v12, vcc
	v_ashrrev_i32_e32 v14, 31, v13
	v_lshlrev_b64 v[15:16], 3, v[13:14]
	v_add_u32_e32 v17, s13, v13
	v_mov_b32_e32 v14, s5
	v_add_co_u32_e32 v15, vcc, s4, v15
	v_ashrrev_i32_e32 v18, 31, v17
	v_addc_co_u32_e32 v16, vcc, v14, v16, vcc
	v_lshlrev_b64 v[13:14], 3, v[17:18]
	v_add_u32_e32 v19, s13, v17
	v_mov_b32_e32 v18, s5
	v_add_co_u32_e32 v13, vcc, s4, v13
	v_ashrrev_i32_e32 v20, 31, v19
	v_addc_co_u32_e32 v14, vcc, v18, v14, vcc
	;; [unrolled: 6-line block ×6, first 2 shown]
	v_lshlrev_b64 v[25:26], 3, v[27:28]
	v_mov_b32_e32 v28, s5
	v_add_co_u32_e32 v25, vcc, s4, v25
	global_load_dwordx2 v[35:36], v81, s[4:5]
	global_load_dwordx2 v[43:44], v[1:2], off
	global_load_dwordx2 v[41:42], v[7:8], off
	;; [unrolled: 1-line block ×8, first 2 shown]
	v_addc_co_u32_e32 v26, vcc, v28, v26, vcc
	global_load_dwordx2 v[59:60], v[19:20], off
	global_load_dwordx2 v[57:58], v[21:22], off
	;; [unrolled: 1-line block ×4, first 2 shown]
	v_add_u32_e32 v29, s13, v27
	v_ashrrev_i32_e32 v30, 31, v29
	v_lshlrev_b64 v[27:28], 3, v[29:30]
	v_add_u32_e32 v31, s13, v29
	v_mov_b32_e32 v30, s5
	v_add_co_u32_e32 v27, vcc, s4, v27
	v_ashrrev_i32_e32 v32, 31, v31
	v_addc_co_u32_e32 v28, vcc, v30, v28, vcc
	v_lshlrev_b64 v[29:30], 3, v[31:32]
	v_add_u32_e32 v33, s13, v31
	v_mov_b32_e32 v32, s5
	v_add_co_u32_e32 v29, vcc, s4, v29
	v_ashrrev_i32_e32 v34, 31, v33
	v_addc_co_u32_e32 v30, vcc, v32, v30, vcc
	global_load_dwordx2 v[63:64], v[27:28], off
	global_load_dwordx2 v[61:62], v[29:30], off
	v_lshlrev_b64 v[31:32], 3, v[33:34]
	v_mov_b32_e32 v34, s5
	v_add_co_u32_e32 v31, vcc, s4, v31
	v_addc_co_u32_e32 v32, vcc, v34, v32, vcc
	global_load_dwordx2 v[65:66], v[31:32], off
	v_add_u32_e32 v67, s13, v33
	v_add_u32_e32 v69, s13, v67
	v_add_u32_e32 v71, s13, v69
	v_add_u32_e32 v73, s13, v71
	v_add_u32_e32 v75, s13, v73
	v_add_u32_e32 v77, s13, v75
	v_add_u32_e32 v79, s13, v77
	v_add_u32_e32 v82, s13, v79
	v_add_u32_e32 v84, s13, v82
	v_add_u32_e32 v86, s13, v84
	v_add_u32_e32 v88, s13, v86
	v_add_u32_e32 v90, s13, v88
	v_add_u32_e32 v92, s13, v90
	v_add_u32_e32 v94, s13, v92
	v_add_u32_e32 v96, s13, v94
	v_add_u32_e32 v98, s13, v96
	v_add_u32_e32 v100, s13, v98
	v_add_u32_e32 v102, s13, v100
	v_add_u32_e32 v104, s13, v102
	v_add_u32_e32 v106, s13, v104
	v_add_u32_e32 v108, s13, v106
	v_add_u32_e32 v110, s13, v108
	v_add_u32_e32 v33, s13, v110
	v_ashrrev_i32_e32 v34, 31, v33
	v_lshlrev_b64 v[33:34], 3, v[33:34]
	v_mov_b32_e32 v68, s5
	v_add_co_u32_e32 v33, vcc, s4, v33
	v_addc_co_u32_e32 v34, vcc, v68, v34, vcc
	v_ashrrev_i32_e32 v68, 31, v67
	global_load_dwordx2 v[112:113], v[33:34], off
	s_waitcnt vmcnt(16)
	buffer_store_dword v36, off, s[0:3], 0 offset:4
	buffer_store_dword v35, off, s[0:3], 0
	s_waitcnt vmcnt(17)
	buffer_store_dword v44, off, s[0:3], 0 offset:12
	buffer_store_dword v43, off, s[0:3], 0 offset:8
	s_waitcnt vmcnt(18)
	buffer_store_dword v42, off, s[0:3], 0 offset:20
	buffer_store_dword v41, off, s[0:3], 0 offset:16
	;; [unrolled: 3-line block ×12, first 2 shown]
	v_lshlrev_b64 v[35:36], 3, v[67:68]
	v_mov_b32_e32 v37, s5
	v_add_co_u32_e32 v35, vcc, s4, v35
	v_ashrrev_i32_e32 v70, 31, v69
	v_addc_co_u32_e32 v36, vcc, v37, v36, vcc
	v_lshlrev_b64 v[37:38], 3, v[69:70]
	v_mov_b32_e32 v39, s5
	v_add_co_u32_e32 v37, vcc, s4, v37
	v_ashrrev_i32_e32 v72, 31, v71
	v_addc_co_u32_e32 v38, vcc, v39, v38, vcc
	;; [unrolled: 5-line block ×12, first 2 shown]
	v_lshlrev_b64 v[59:60], 3, v[92:93]
	global_load_dwordx2 v[114:115], v[35:36], off
	s_waitcnt vmcnt(30)
	buffer_store_dword v63, off, s[0:3], 0 offset:104
	buffer_store_dword v64, off, s[0:3], 0 offset:108
	s_waitcnt vmcnt(31)
	buffer_store_dword v62, off, s[0:3], 0 offset:116
	buffer_store_dword v61, off, s[0:3], 0 offset:112
	;; [unrolled: 3-line block ×3, first 2 shown]
	v_mov_b32_e32 v61, s5
	v_add_co_u32_e32 v59, vcc, s4, v59
	v_ashrrev_i32_e32 v95, 31, v94
	v_addc_co_u32_e32 v60, vcc, v61, v60, vcc
	v_lshlrev_b64 v[61:62], 3, v[94:95]
	v_mov_b32_e32 v63, s5
	v_add_co_u32_e32 v61, vcc, s4, v61
	v_ashrrev_i32_e32 v97, 31, v96
	v_addc_co_u32_e32 v62, vcc, v63, v62, vcc
	v_lshlrev_b64 v[63:64], 3, v[96:97]
	;; [unrolled: 5-line block ×6, first 2 shown]
	v_mov_b32_e32 v73, s5
	v_add_co_u32_e32 v71, vcc, s4, v71
	global_load_dwordx2 v[116:117], v[37:38], off
	global_load_dwordx2 v[118:119], v[39:40], off
	;; [unrolled: 1-line block ×16, first 2 shown]
	v_addc_co_u32_e32 v72, vcc, v73, v72, vcc
	global_load_dwordx2 v[102:103], v[69:70], off
	global_load_dwordx2 v[104:105], v[71:72], off
	v_ashrrev_i32_e32 v107, 31, v106
	v_lshlrev_b64 v[73:74], 3, v[106:107]
	v_mov_b32_e32 v75, s5
	v_add_co_u32_e32 v73, vcc, s4, v73
	v_ashrrev_i32_e32 v109, 31, v108
	v_addc_co_u32_e32 v74, vcc, v75, v74, vcc
	v_lshlrev_b64 v[75:76], 3, v[108:109]
	v_mov_b32_e32 v77, s5
	v_add_co_u32_e32 v75, vcc, s4, v75
	v_ashrrev_i32_e32 v111, 31, v110
	v_addc_co_u32_e32 v76, vcc, v77, v76, vcc
	v_lshlrev_b64 v[77:78], 3, v[110:111]
	v_mov_b32_e32 v106, s5
	v_add_co_u32_e32 v77, vcc, s4, v77
	v_addc_co_u32_e32 v78, vcc, v106, v78, vcc
	global_load_dwordx2 v[106:107], v[73:74], off
	global_load_dwordx2 v[108:109], v[75:76], off
	;; [unrolled: 1-line block ×3, first 2 shown]
	s_cmpk_lg_i32 s9, 0x84
	s_cselect_b64 s[10:11], -1, 0
	s_waitcnt vmcnt(27)
	buffer_store_dword v114, off, s[0:3], 0 offset:128
	buffer_store_dword v115, off, s[0:3], 0 offset:132
	s_waitcnt vmcnt(22)
	buffer_store_dword v116, off, s[0:3], 0 offset:136
	buffer_store_dword v117, off, s[0:3], 0 offset:140
	;; [unrolled: 3-line block ×22, first 2 shown]
	buffer_store_dword v113, off, s[0:3], 0 offset:308
	v_mov_b32_e32 v79, 0
	v_mov_b32_e32 v80, 0xbff00000
	s_cmpk_eq_i32 s9, 0x84
	buffer_store_dword v112, off, s[0:3], 0 offset:304
	s_cbranch_scc1 .LBB38_3
; %bb.2:
	v_mov_b32_e32 v79, 0
	v_lshl_add_u32 v90, v0, 3, v79
	buffer_load_dword v79, v90, s[0:3], 0 offen
	buffer_load_dword v80, v90, s[0:3], 0 offen offset:4
	s_waitcnt vmcnt(0)
	v_div_scale_f64 v[82:83], s[4:5], v[79:80], v[79:80], 1.0
	v_rcp_f64_e32 v[84:85], v[82:83]
	v_fma_f64 v[86:87], -v[82:83], v[84:85], 1.0
	v_fma_f64 v[84:85], v[84:85], v[86:87], v[84:85]
	v_div_scale_f64 v[86:87], vcc, 1.0, v[79:80], 1.0
	v_fma_f64 v[88:89], -v[82:83], v[84:85], 1.0
	v_fma_f64 v[84:85], v[84:85], v[88:89], v[84:85]
	v_mul_f64 v[88:89], v[86:87], v[84:85]
	v_fma_f64 v[82:83], -v[82:83], v[88:89], v[86:87]
	v_div_fmas_f64 v[82:83], v[82:83], v[84:85], v[88:89]
	v_div_fixup_f64 v[79:80], v[82:83], v[79:80], 1.0
	buffer_store_dword v79, v90, s[0:3], 0 offen
	buffer_store_dword v80, v90, s[0:3], 0 offen offset:4
	v_xor_b32_e32 v80, 0x80000000, v80
.LBB38_3:
	s_cmpk_eq_i32 s8, 0x79
	v_add_u32_e32 v82, 0x140, v81
	v_mov_b32_e32 v83, v81
	s_mov_b64 s[4:5], -1
	ds_write_b64 v81, v[79:80]
	s_cbranch_scc1 .LBB38_377
; %bb.4:
	buffer_load_dword v79, off, s[0:3], 0 offset:296
	buffer_load_dword v80, off, s[0:3], 0 offset:300
	s_movk_i32 s12, 0x48
	s_movk_i32 s13, 0x50
	;; [unrolled: 1-line block ×28, first 2 shown]
	v_cmp_eq_u32_e64 s[4:5], 38, v0
	s_waitcnt vmcnt(0)
	ds_write_b64 v82, v[79:80]
	s_waitcnt lgkmcnt(0)
	; wave barrier
	s_and_saveexec_b64 s[6:7], s[4:5]
	s_cbranch_execz .LBB38_10
; %bb.5:
	s_and_b64 vcc, exec, s[10:11]
	s_cbranch_vccz .LBB38_7
; %bb.6:
	buffer_load_dword v79, v83, s[0:3], 0 offen
	buffer_load_dword v80, v83, s[0:3], 0 offen offset:4
	ds_read_b64 v[84:85], v82
	s_waitcnt vmcnt(0) lgkmcnt(0)
	v_mul_f64 v[79:80], v[79:80], v[84:85]
	s_cbranch_execz .LBB38_8
	s_branch .LBB38_9
.LBB38_7:
                                        ; implicit-def: $vgpr79_vgpr80
.LBB38_8:
	ds_read_b64 v[79:80], v82
.LBB38_9:
	v_mov_b32_e32 v84, 0
	ds_read_b64 v[84:85], v84 offset:296
	s_waitcnt lgkmcnt(0)
	v_mul_f64 v[79:80], v[79:80], v[84:85]
	buffer_store_dword v80, off, s[0:3], 0 offset:300
	buffer_store_dword v79, off, s[0:3], 0 offset:296
.LBB38_10:
	s_or_b64 exec, exec, s[6:7]
	buffer_load_dword v79, off, s[0:3], 0 offset:288
	buffer_load_dword v80, off, s[0:3], 0 offset:292
	s_or_b32 s14, 0, 8
	s_mov_b32 s15, 16
	s_mov_b32 s16, 24
	s_mov_b32 s17, 32
	s_mov_b32 s18, 40
	s_mov_b32 s19, 48
	s_mov_b32 s20, 56
	s_mov_b32 s21, 64
	s_mov_b32 s22, s12
	s_mov_b32 s23, s13
	v_cmp_lt_u32_e64 s[6:7], 36, v0
	s_waitcnt vmcnt(0)
	ds_write_b64 v82, v[79:80]
	s_waitcnt lgkmcnt(0)
	; wave barrier
	s_and_saveexec_b64 s[8:9], s[6:7]
	s_cbranch_execz .LBB38_16
; %bb.11:
	s_andn2_b64 vcc, exec, s[10:11]
	s_cbranch_vccnz .LBB38_13
; %bb.12:
	buffer_load_dword v79, v83, s[0:3], 0 offen
	buffer_load_dword v80, v83, s[0:3], 0 offen offset:4
	ds_read_b64 v[84:85], v82
	s_waitcnt vmcnt(0) lgkmcnt(0)
	v_mul_f64 v[79:80], v[79:80], v[84:85]
	s_cbranch_execz .LBB38_14
	s_branch .LBB38_15
.LBB38_13:
                                        ; implicit-def: $vgpr79_vgpr80
.LBB38_14:
	ds_read_b64 v[79:80], v82
.LBB38_15:
	buffer_load_dword v88, off, s[0:3], 0 offset:296
	buffer_load_dword v89, off, s[0:3], 0 offset:300
	v_mov_b32_e32 v84, 0
	ds_read2_b64 v[84:87], v84 offset0:36 offset1:77
	s_waitcnt vmcnt(0) lgkmcnt(0)
	v_fma_f64 v[86:87], v[88:89], v[86:87], v[79:80]
	v_cndmask_b32_e64 v80, v80, v87, s[4:5]
	v_cndmask_b32_e64 v79, v79, v86, s[4:5]
	v_mul_f64 v[79:80], v[79:80], v[84:85]
	buffer_store_dword v80, off, s[0:3], 0 offset:292
	buffer_store_dword v79, off, s[0:3], 0 offset:288
.LBB38_16:
	s_or_b64 exec, exec, s[8:9]
	buffer_load_dword v79, off, s[0:3], 0 offset:280
	buffer_load_dword v80, off, s[0:3], 0 offset:284
	v_cmp_lt_u32_e64 s[4:5], 35, v0
	s_waitcnt vmcnt(0)
	ds_write_b64 v82, v[79:80]
	s_waitcnt lgkmcnt(0)
	; wave barrier
	s_and_saveexec_b64 s[8:9], s[4:5]
	s_cbranch_execz .LBB38_26
; %bb.17:
	s_andn2_b64 vcc, exec, s[10:11]
	s_cbranch_vccnz .LBB38_19
; %bb.18:
	buffer_load_dword v79, v83, s[0:3], 0 offen
	buffer_load_dword v80, v83, s[0:3], 0 offen offset:4
	ds_read_b64 v[84:85], v82
	s_waitcnt vmcnt(0) lgkmcnt(0)
	v_mul_f64 v[79:80], v[79:80], v[84:85]
	s_cbranch_execz .LBB38_20
	s_branch .LBB38_21
.LBB38_19:
                                        ; implicit-def: $vgpr79_vgpr80
.LBB38_20:
	ds_read_b64 v[79:80], v82
.LBB38_21:
	s_and_saveexec_b64 s[12:13], s[6:7]
	s_cbranch_execz .LBB38_25
; %bb.22:
	v_subrev_u32_e32 v84, 36, v0
	s_movk_i32 s51, 0x260
	s_mov_b64 s[6:7], 0
.LBB38_23:                              ; =>This Inner Loop Header: Depth=1
	v_mov_b32_e32 v87, s50
	buffer_load_dword v85, v87, s[0:3], 0 offen
	buffer_load_dword v86, v87, s[0:3], 0 offen offset:4
	v_mov_b32_e32 v87, s51
	ds_read_b64 v[87:88], v87
	v_add_u32_e32 v84, -1, v84
	s_add_i32 s51, s51, 8
	s_add_i32 s50, s50, 8
	v_cmp_eq_u32_e32 vcc, 0, v84
	s_or_b64 s[6:7], vcc, s[6:7]
	s_waitcnt vmcnt(0) lgkmcnt(0)
	v_fma_f64 v[79:80], v[85:86], v[87:88], v[79:80]
	s_andn2_b64 exec, exec, s[6:7]
	s_cbranch_execnz .LBB38_23
; %bb.24:
	s_or_b64 exec, exec, s[6:7]
.LBB38_25:
	s_or_b64 exec, exec, s[12:13]
	v_mov_b32_e32 v84, 0
	ds_read_b64 v[84:85], v84 offset:280
	s_waitcnt lgkmcnt(0)
	v_mul_f64 v[79:80], v[79:80], v[84:85]
	buffer_store_dword v80, off, s[0:3], 0 offset:284
	buffer_store_dword v79, off, s[0:3], 0 offset:280
.LBB38_26:
	s_or_b64 exec, exec, s[8:9]
	buffer_load_dword v79, off, s[0:3], 0 offset:272
	buffer_load_dword v80, off, s[0:3], 0 offset:276
	v_cmp_lt_u32_e64 s[6:7], 34, v0
	s_waitcnt vmcnt(0)
	ds_write_b64 v82, v[79:80]
	s_waitcnt lgkmcnt(0)
	; wave barrier
	s_and_saveexec_b64 s[8:9], s[6:7]
	s_cbranch_execz .LBB38_36
; %bb.27:
	s_andn2_b64 vcc, exec, s[10:11]
	s_cbranch_vccnz .LBB38_29
; %bb.28:
	buffer_load_dword v79, v83, s[0:3], 0 offen
	buffer_load_dword v80, v83, s[0:3], 0 offen offset:4
	ds_read_b64 v[84:85], v82
	s_waitcnt vmcnt(0) lgkmcnt(0)
	v_mul_f64 v[79:80], v[79:80], v[84:85]
	s_cbranch_execz .LBB38_30
	s_branch .LBB38_31
.LBB38_29:
                                        ; implicit-def: $vgpr79_vgpr80
.LBB38_30:
	ds_read_b64 v[79:80], v82
.LBB38_31:
	s_and_saveexec_b64 s[12:13], s[4:5]
	s_cbranch_execz .LBB38_35
; %bb.32:
	v_subrev_u32_e32 v84, 35, v0
	s_movk_i32 s50, 0x258
	s_mov_b64 s[4:5], 0
.LBB38_33:                              ; =>This Inner Loop Header: Depth=1
	v_mov_b32_e32 v87, s49
	buffer_load_dword v85, v87, s[0:3], 0 offen
	buffer_load_dword v86, v87, s[0:3], 0 offen offset:4
	v_mov_b32_e32 v87, s50
	ds_read_b64 v[87:88], v87
	v_add_u32_e32 v84, -1, v84
	s_add_i32 s50, s50, 8
	s_add_i32 s49, s49, 8
	v_cmp_eq_u32_e32 vcc, 0, v84
	s_or_b64 s[4:5], vcc, s[4:5]
	s_waitcnt vmcnt(0) lgkmcnt(0)
	v_fma_f64 v[79:80], v[85:86], v[87:88], v[79:80]
	s_andn2_b64 exec, exec, s[4:5]
	s_cbranch_execnz .LBB38_33
; %bb.34:
	s_or_b64 exec, exec, s[4:5]
.LBB38_35:
	s_or_b64 exec, exec, s[12:13]
	v_mov_b32_e32 v84, 0
	ds_read_b64 v[84:85], v84 offset:272
	s_waitcnt lgkmcnt(0)
	v_mul_f64 v[79:80], v[79:80], v[84:85]
	buffer_store_dword v80, off, s[0:3], 0 offset:276
	buffer_store_dword v79, off, s[0:3], 0 offset:272
.LBB38_36:
	;; [unrolled: 58-line block ×8, first 2 shown]
	s_or_b64 exec, exec, s[8:9]
	buffer_load_dword v79, off, s[0:3], 0 offset:216
	buffer_load_dword v80, off, s[0:3], 0 offset:220
	v_cmp_lt_u32_e64 s[4:5], 27, v0
	s_waitcnt vmcnt(0)
	ds_write_b64 v82, v[79:80]
	s_waitcnt lgkmcnt(0)
	; wave barrier
	s_and_saveexec_b64 s[8:9], s[4:5]
	s_cbranch_execz .LBB38_106
; %bb.97:
	s_andn2_b64 vcc, exec, s[10:11]
	s_cbranch_vccnz .LBB38_99
; %bb.98:
	buffer_load_dword v79, v83, s[0:3], 0 offen
	buffer_load_dword v80, v83, s[0:3], 0 offen offset:4
	ds_read_b64 v[84:85], v82
	s_waitcnt vmcnt(0) lgkmcnt(0)
	v_mul_f64 v[79:80], v[79:80], v[84:85]
	s_cbranch_execz .LBB38_100
	s_branch .LBB38_101
.LBB38_99:
                                        ; implicit-def: $vgpr79_vgpr80
.LBB38_100:
	ds_read_b64 v[79:80], v82
.LBB38_101:
	s_and_saveexec_b64 s[12:13], s[6:7]
	s_cbranch_execz .LBB38_105
; %bb.102:
	v_subrev_u32_e32 v84, 28, v0
	s_movk_i32 s43, 0x220
	s_mov_b64 s[6:7], 0
.LBB38_103:                             ; =>This Inner Loop Header: Depth=1
	v_mov_b32_e32 v87, s42
	buffer_load_dword v85, v87, s[0:3], 0 offen
	buffer_load_dword v86, v87, s[0:3], 0 offen offset:4
	v_mov_b32_e32 v87, s43
	ds_read_b64 v[87:88], v87
	v_add_u32_e32 v84, -1, v84
	s_add_i32 s43, s43, 8
	s_add_i32 s42, s42, 8
	v_cmp_eq_u32_e32 vcc, 0, v84
	s_or_b64 s[6:7], vcc, s[6:7]
	s_waitcnt vmcnt(0) lgkmcnt(0)
	v_fma_f64 v[79:80], v[85:86], v[87:88], v[79:80]
	s_andn2_b64 exec, exec, s[6:7]
	s_cbranch_execnz .LBB38_103
; %bb.104:
	s_or_b64 exec, exec, s[6:7]
.LBB38_105:
	s_or_b64 exec, exec, s[12:13]
	v_mov_b32_e32 v84, 0
	ds_read_b64 v[84:85], v84 offset:216
	s_waitcnt lgkmcnt(0)
	v_mul_f64 v[79:80], v[79:80], v[84:85]
	buffer_store_dword v80, off, s[0:3], 0 offset:220
	buffer_store_dword v79, off, s[0:3], 0 offset:216
.LBB38_106:
	s_or_b64 exec, exec, s[8:9]
	buffer_load_dword v79, off, s[0:3], 0 offset:208
	buffer_load_dword v80, off, s[0:3], 0 offset:212
	v_cmp_lt_u32_e64 s[6:7], 26, v0
	s_waitcnt vmcnt(0)
	ds_write_b64 v82, v[79:80]
	s_waitcnt lgkmcnt(0)
	; wave barrier
	s_and_saveexec_b64 s[8:9], s[6:7]
	s_cbranch_execz .LBB38_116
; %bb.107:
	s_andn2_b64 vcc, exec, s[10:11]
	s_cbranch_vccnz .LBB38_109
; %bb.108:
	buffer_load_dword v79, v83, s[0:3], 0 offen
	buffer_load_dword v80, v83, s[0:3], 0 offen offset:4
	ds_read_b64 v[84:85], v82
	s_waitcnt vmcnt(0) lgkmcnt(0)
	v_mul_f64 v[79:80], v[79:80], v[84:85]
	s_cbranch_execz .LBB38_110
	s_branch .LBB38_111
.LBB38_109:
                                        ; implicit-def: $vgpr79_vgpr80
.LBB38_110:
	ds_read_b64 v[79:80], v82
.LBB38_111:
	s_and_saveexec_b64 s[12:13], s[4:5]
	s_cbranch_execz .LBB38_115
; %bb.112:
	v_subrev_u32_e32 v84, 27, v0
	s_movk_i32 s42, 0x218
	s_mov_b64 s[4:5], 0
.LBB38_113:                             ; =>This Inner Loop Header: Depth=1
	v_mov_b32_e32 v87, s41
	buffer_load_dword v85, v87, s[0:3], 0 offen
	buffer_load_dword v86, v87, s[0:3], 0 offen offset:4
	v_mov_b32_e32 v87, s42
	ds_read_b64 v[87:88], v87
	v_add_u32_e32 v84, -1, v84
	s_add_i32 s42, s42, 8
	s_add_i32 s41, s41, 8
	v_cmp_eq_u32_e32 vcc, 0, v84
	s_or_b64 s[4:5], vcc, s[4:5]
	s_waitcnt vmcnt(0) lgkmcnt(0)
	v_fma_f64 v[79:80], v[85:86], v[87:88], v[79:80]
	s_andn2_b64 exec, exec, s[4:5]
	s_cbranch_execnz .LBB38_113
; %bb.114:
	s_or_b64 exec, exec, s[4:5]
.LBB38_115:
	s_or_b64 exec, exec, s[12:13]
	v_mov_b32_e32 v84, 0
	ds_read_b64 v[84:85], v84 offset:208
	s_waitcnt lgkmcnt(0)
	v_mul_f64 v[79:80], v[79:80], v[84:85]
	buffer_store_dword v80, off, s[0:3], 0 offset:212
	buffer_store_dword v79, off, s[0:3], 0 offset:208
.LBB38_116:
	;; [unrolled: 58-line block ×12, first 2 shown]
	s_or_b64 exec, exec, s[8:9]
	buffer_load_dword v79, off, s[0:3], 0 offset:120
	buffer_load_dword v80, off, s[0:3], 0 offset:124
	v_cmp_lt_u32_e64 s[4:5], 15, v0
	s_waitcnt vmcnt(0)
	ds_write_b64 v82, v[79:80]
	s_waitcnt lgkmcnt(0)
	; wave barrier
	s_and_saveexec_b64 s[8:9], s[4:5]
	s_cbranch_execz .LBB38_226
; %bb.217:
	s_andn2_b64 vcc, exec, s[10:11]
	s_cbranch_vccnz .LBB38_219
; %bb.218:
	buffer_load_dword v79, v83, s[0:3], 0 offen
	buffer_load_dword v80, v83, s[0:3], 0 offen offset:4
	ds_read_b64 v[84:85], v82
	s_waitcnt vmcnt(0) lgkmcnt(0)
	v_mul_f64 v[79:80], v[79:80], v[84:85]
	s_cbranch_execz .LBB38_220
	s_branch .LBB38_221
.LBB38_219:
                                        ; implicit-def: $vgpr79_vgpr80
.LBB38_220:
	ds_read_b64 v[79:80], v82
.LBB38_221:
	s_and_saveexec_b64 s[12:13], s[6:7]
	s_cbranch_execz .LBB38_225
; %bb.222:
	v_add_u32_e32 v84, -16, v0
	s_movk_i32 s30, 0x1c0
	s_mov_b64 s[6:7], 0
.LBB38_223:                             ; =>This Inner Loop Header: Depth=1
	v_mov_b32_e32 v87, s29
	buffer_load_dword v85, v87, s[0:3], 0 offen
	buffer_load_dword v86, v87, s[0:3], 0 offen offset:4
	v_mov_b32_e32 v87, s30
	ds_read_b64 v[87:88], v87
	v_add_u32_e32 v84, -1, v84
	s_add_i32 s30, s30, 8
	s_add_i32 s29, s29, 8
	v_cmp_eq_u32_e32 vcc, 0, v84
	s_or_b64 s[6:7], vcc, s[6:7]
	s_waitcnt vmcnt(0) lgkmcnt(0)
	v_fma_f64 v[79:80], v[85:86], v[87:88], v[79:80]
	s_andn2_b64 exec, exec, s[6:7]
	s_cbranch_execnz .LBB38_223
; %bb.224:
	s_or_b64 exec, exec, s[6:7]
.LBB38_225:
	s_or_b64 exec, exec, s[12:13]
	v_mov_b32_e32 v84, 0
	ds_read_b64 v[84:85], v84 offset:120
	s_waitcnt lgkmcnt(0)
	v_mul_f64 v[79:80], v[79:80], v[84:85]
	buffer_store_dword v80, off, s[0:3], 0 offset:124
	buffer_store_dword v79, off, s[0:3], 0 offset:120
.LBB38_226:
	s_or_b64 exec, exec, s[8:9]
	buffer_load_dword v79, off, s[0:3], 0 offset:112
	buffer_load_dword v80, off, s[0:3], 0 offset:116
	v_cmp_lt_u32_e64 s[6:7], 14, v0
	s_waitcnt vmcnt(0)
	ds_write_b64 v82, v[79:80]
	s_waitcnt lgkmcnt(0)
	; wave barrier
	s_and_saveexec_b64 s[8:9], s[6:7]
	s_cbranch_execz .LBB38_236
; %bb.227:
	s_andn2_b64 vcc, exec, s[10:11]
	s_cbranch_vccnz .LBB38_229
; %bb.228:
	buffer_load_dword v79, v83, s[0:3], 0 offen
	buffer_load_dword v80, v83, s[0:3], 0 offen offset:4
	ds_read_b64 v[84:85], v82
	s_waitcnt vmcnt(0) lgkmcnt(0)
	v_mul_f64 v[79:80], v[79:80], v[84:85]
	s_cbranch_execz .LBB38_230
	s_branch .LBB38_231
.LBB38_229:
                                        ; implicit-def: $vgpr79_vgpr80
.LBB38_230:
	ds_read_b64 v[79:80], v82
.LBB38_231:
	s_and_saveexec_b64 s[12:13], s[4:5]
	s_cbranch_execz .LBB38_235
; %bb.232:
	v_add_u32_e32 v84, -15, v0
	s_movk_i32 s29, 0x1b8
	s_mov_b64 s[4:5], 0
.LBB38_233:                             ; =>This Inner Loop Header: Depth=1
	v_mov_b32_e32 v87, s28
	buffer_load_dword v85, v87, s[0:3], 0 offen
	buffer_load_dword v86, v87, s[0:3], 0 offen offset:4
	v_mov_b32_e32 v87, s29
	ds_read_b64 v[87:88], v87
	v_add_u32_e32 v84, -1, v84
	s_add_i32 s29, s29, 8
	s_add_i32 s28, s28, 8
	v_cmp_eq_u32_e32 vcc, 0, v84
	s_or_b64 s[4:5], vcc, s[4:5]
	s_waitcnt vmcnt(0) lgkmcnt(0)
	v_fma_f64 v[79:80], v[85:86], v[87:88], v[79:80]
	s_andn2_b64 exec, exec, s[4:5]
	s_cbranch_execnz .LBB38_233
; %bb.234:
	s_or_b64 exec, exec, s[4:5]
.LBB38_235:
	s_or_b64 exec, exec, s[12:13]
	v_mov_b32_e32 v84, 0
	ds_read_b64 v[84:85], v84 offset:112
	s_waitcnt lgkmcnt(0)
	v_mul_f64 v[79:80], v[79:80], v[84:85]
	buffer_store_dword v80, off, s[0:3], 0 offset:116
	buffer_store_dword v79, off, s[0:3], 0 offset:112
.LBB38_236:
	;; [unrolled: 58-line block ×15, first 2 shown]
	s_or_b64 exec, exec, s[8:9]
	buffer_load_dword v79, off, s[0:3], 0
	buffer_load_dword v80, off, s[0:3], 0 offset:4
	v_cmp_ne_u32_e32 vcc, 0, v0
	s_waitcnt vmcnt(0)
	ds_write_b64 v82, v[79:80]
	s_waitcnt lgkmcnt(0)
	; wave barrier
	s_and_saveexec_b64 s[6:7], vcc
	s_cbranch_execz .LBB38_376
; %bb.367:
	s_andn2_b64 vcc, exec, s[10:11]
	s_cbranch_vccnz .LBB38_369
; %bb.368:
	buffer_load_dword v79, v83, s[0:3], 0 offen
	buffer_load_dword v80, v83, s[0:3], 0 offen offset:4
	ds_read_b64 v[84:85], v82
	s_waitcnt vmcnt(0) lgkmcnt(0)
	v_mul_f64 v[79:80], v[79:80], v[84:85]
	s_cbranch_execz .LBB38_370
	s_branch .LBB38_371
.LBB38_369:
                                        ; implicit-def: $vgpr79_vgpr80
.LBB38_370:
	ds_read_b64 v[79:80], v82
.LBB38_371:
	s_and_saveexec_b64 s[8:9], s[4:5]
	s_cbranch_execz .LBB38_375
; %bb.372:
	v_add_u32_e32 v84, -1, v0
	s_movk_i32 s12, 0x148
	s_mov_b64 s[4:5], 0
.LBB38_373:                             ; =>This Inner Loop Header: Depth=1
	v_mov_b32_e32 v87, s14
	buffer_load_dword v85, v87, s[0:3], 0 offen
	buffer_load_dword v86, v87, s[0:3], 0 offen offset:4
	v_mov_b32_e32 v87, s12
	ds_read_b64 v[87:88], v87
	v_add_u32_e32 v84, -1, v84
	s_add_i32 s12, s12, 8
	s_add_i32 s14, s14, 8
	v_cmp_eq_u32_e32 vcc, 0, v84
	s_or_b64 s[4:5], vcc, s[4:5]
	s_waitcnt vmcnt(0) lgkmcnt(0)
	v_fma_f64 v[79:80], v[85:86], v[87:88], v[79:80]
	s_andn2_b64 exec, exec, s[4:5]
	s_cbranch_execnz .LBB38_373
; %bb.374:
	s_or_b64 exec, exec, s[4:5]
.LBB38_375:
	s_or_b64 exec, exec, s[8:9]
	v_mov_b32_e32 v84, 0
	ds_read_b64 v[84:85], v84
	s_waitcnt lgkmcnt(0)
	v_mul_f64 v[79:80], v[79:80], v[84:85]
	buffer_store_dword v80, off, s[0:3], 0 offset:4
	buffer_store_dword v79, off, s[0:3], 0
.LBB38_376:
	s_or_b64 exec, exec, s[6:7]
	s_mov_b64 s[4:5], 0
.LBB38_377:
	s_and_b64 vcc, exec, s[4:5]
	s_cbranch_vccz .LBB38_749
; %bb.378:
	buffer_load_dword v79, off, s[0:3], 0 offset:8
	buffer_load_dword v80, off, s[0:3], 0 offset:12
	v_cmp_eq_u32_e64 s[6:7], 0, v0
	s_waitcnt vmcnt(0)
	ds_write_b64 v82, v[79:80]
	s_waitcnt lgkmcnt(0)
	; wave barrier
	s_and_saveexec_b64 s[4:5], s[6:7]
	s_cbranch_execz .LBB38_384
; %bb.379:
	s_and_b64 vcc, exec, s[10:11]
	s_cbranch_vccz .LBB38_381
; %bb.380:
	buffer_load_dword v79, v83, s[0:3], 0 offen
	buffer_load_dword v80, v83, s[0:3], 0 offen offset:4
	ds_read_b64 v[84:85], v82
	s_waitcnt vmcnt(0) lgkmcnt(0)
	v_mul_f64 v[79:80], v[79:80], v[84:85]
	s_cbranch_execz .LBB38_382
	s_branch .LBB38_383
.LBB38_381:
                                        ; implicit-def: $vgpr79_vgpr80
.LBB38_382:
	ds_read_b64 v[79:80], v82
.LBB38_383:
	v_mov_b32_e32 v84, 0
	ds_read_b64 v[84:85], v84 offset:8
	s_waitcnt lgkmcnt(0)
	v_mul_f64 v[79:80], v[79:80], v[84:85]
	buffer_store_dword v80, off, s[0:3], 0 offset:12
	buffer_store_dword v79, off, s[0:3], 0 offset:8
.LBB38_384:
	s_or_b64 exec, exec, s[4:5]
	buffer_load_dword v79, off, s[0:3], 0 offset:16
	buffer_load_dword v80, off, s[0:3], 0 offset:20
	v_cndmask_b32_e64 v84, 0, 1, s[10:11]
	v_cmp_gt_u32_e32 vcc, 2, v0
	v_cmp_ne_u32_e64 s[4:5], 1, v84
	s_waitcnt vmcnt(0)
	ds_write_b64 v82, v[79:80]
	s_waitcnt lgkmcnt(0)
	; wave barrier
	s_and_saveexec_b64 s[8:9], vcc
	s_cbranch_execz .LBB38_390
; %bb.385:
	s_and_b64 vcc, exec, s[4:5]
	s_cbranch_vccnz .LBB38_387
; %bb.386:
	buffer_load_dword v79, v83, s[0:3], 0 offen
	buffer_load_dword v80, v83, s[0:3], 0 offen offset:4
	ds_read_b64 v[84:85], v82
	s_waitcnt vmcnt(0) lgkmcnt(0)
	v_mul_f64 v[79:80], v[79:80], v[84:85]
	s_cbranch_execz .LBB38_388
	s_branch .LBB38_389
.LBB38_387:
                                        ; implicit-def: $vgpr79_vgpr80
.LBB38_388:
	ds_read_b64 v[79:80], v82
.LBB38_389:
	buffer_load_dword v88, off, s[0:3], 0 offset:8
	buffer_load_dword v89, off, s[0:3], 0 offset:12
	v_mov_b32_e32 v84, 0
	ds_read2_b64 v[84:87], v84 offset0:2 offset1:41
	s_waitcnt vmcnt(0) lgkmcnt(0)
	v_fma_f64 v[86:87], v[88:89], v[86:87], v[79:80]
	v_cndmask_b32_e64 v80, v80, v87, s[6:7]
	v_cndmask_b32_e64 v79, v79, v86, s[6:7]
	v_mul_f64 v[79:80], v[79:80], v[84:85]
	buffer_store_dword v80, off, s[0:3], 0 offset:20
	buffer_store_dword v79, off, s[0:3], 0 offset:16
.LBB38_390:
	s_or_b64 exec, exec, s[8:9]
	buffer_load_dword v79, off, s[0:3], 0 offset:24
	buffer_load_dword v80, off, s[0:3], 0 offset:28
	v_cmp_gt_u32_e32 vcc, 3, v0
	s_waitcnt vmcnt(0)
	ds_write_b64 v82, v[79:80]
	s_waitcnt lgkmcnt(0)
	; wave barrier
	s_and_saveexec_b64 s[8:9], vcc
	s_cbranch_execz .LBB38_398
; %bb.391:
	s_and_b64 vcc, exec, s[4:5]
	s_cbranch_vccnz .LBB38_393
; %bb.392:
	buffer_load_dword v79, v83, s[0:3], 0 offen
	buffer_load_dword v80, v83, s[0:3], 0 offen offset:4
	ds_read_b64 v[84:85], v82
	s_waitcnt vmcnt(0) lgkmcnt(0)
	v_mul_f64 v[79:80], v[79:80], v[84:85]
	s_cbranch_execz .LBB38_394
	s_branch .LBB38_395
.LBB38_393:
                                        ; implicit-def: $vgpr79_vgpr80
.LBB38_394:
	ds_read_b64 v[79:80], v82
.LBB38_395:
	v_cmp_ne_u32_e32 vcc, 2, v0
	s_and_saveexec_b64 s[10:11], vcc
	s_cbranch_execz .LBB38_397
; %bb.396:
	buffer_load_dword v84, v83, s[0:3], 0 offen offset:8
	buffer_load_dword v85, v83, s[0:3], 0 offen offset:12
	buffer_load_dword v86, off, s[0:3], 0 offset:16
	buffer_load_dword v87, off, s[0:3], 0 offset:20
	ds_read_b64 v[88:89], v82 offset:8
	v_mov_b32_e32 v90, 0
	ds_read_b64 v[90:91], v90 offset:336
	s_waitcnt vmcnt(2) lgkmcnt(1)
	v_fma_f64 v[79:80], v[84:85], v[88:89], v[79:80]
	s_waitcnt vmcnt(0) lgkmcnt(0)
	v_fma_f64 v[84:85], v[86:87], v[90:91], v[79:80]
	v_cndmask_b32_e64 v80, v80, v85, s[6:7]
	v_cndmask_b32_e64 v79, v79, v84, s[6:7]
.LBB38_397:
	s_or_b64 exec, exec, s[10:11]
	v_mov_b32_e32 v84, 0
	ds_read_b64 v[84:85], v84 offset:24
	s_waitcnt lgkmcnt(0)
	v_mul_f64 v[79:80], v[79:80], v[84:85]
	buffer_store_dword v80, off, s[0:3], 0 offset:28
	buffer_store_dword v79, off, s[0:3], 0 offset:24
.LBB38_398:
	s_or_b64 exec, exec, s[8:9]
	buffer_load_dword v79, off, s[0:3], 0 offset:32
	buffer_load_dword v80, off, s[0:3], 0 offset:36
	v_cmp_gt_u32_e32 vcc, 4, v0
	s_waitcnt vmcnt(0)
	ds_write_b64 v82, v[79:80]
	s_waitcnt lgkmcnt(0)
	; wave barrier
	s_and_saveexec_b64 s[6:7], vcc
	s_cbranch_execz .LBB38_408
; %bb.399:
	s_and_b64 vcc, exec, s[4:5]
	s_cbranch_vccnz .LBB38_401
; %bb.400:
	buffer_load_dword v79, v83, s[0:3], 0 offen
	buffer_load_dword v80, v83, s[0:3], 0 offen offset:4
	ds_read_b64 v[84:85], v82
	s_waitcnt vmcnt(0) lgkmcnt(0)
	v_mul_f64 v[79:80], v[79:80], v[84:85]
	s_cbranch_execz .LBB38_402
	s_branch .LBB38_403
.LBB38_401:
                                        ; implicit-def: $vgpr79_vgpr80
.LBB38_402:
	ds_read_b64 v[79:80], v82
.LBB38_403:
	v_cmp_ne_u32_e32 vcc, 3, v0
	s_and_saveexec_b64 s[8:9], vcc
	s_cbranch_execz .LBB38_407
; %bb.404:
	s_mov_b32 s10, 0
	v_add_u32_e32 v84, 0x148, v81
	v_add3_u32 v85, v81, s10, 8
	s_mov_b64 s[10:11], 0
	v_mov_b32_e32 v86, v0
.LBB38_405:                             ; =>This Inner Loop Header: Depth=1
	buffer_load_dword v87, v85, s[0:3], 0 offen
	buffer_load_dword v88, v85, s[0:3], 0 offen offset:4
	ds_read_b64 v[89:90], v84
	v_add_u32_e32 v86, 1, v86
	v_cmp_lt_u32_e32 vcc, 2, v86
	v_add_u32_e32 v84, 8, v84
	s_or_b64 s[10:11], vcc, s[10:11]
	v_add_u32_e32 v85, 8, v85
	s_waitcnt vmcnt(0) lgkmcnt(0)
	v_fma_f64 v[79:80], v[87:88], v[89:90], v[79:80]
	s_andn2_b64 exec, exec, s[10:11]
	s_cbranch_execnz .LBB38_405
; %bb.406:
	s_or_b64 exec, exec, s[10:11]
.LBB38_407:
	s_or_b64 exec, exec, s[8:9]
	v_mov_b32_e32 v84, 0
	ds_read_b64 v[84:85], v84 offset:32
	s_waitcnt lgkmcnt(0)
	v_mul_f64 v[79:80], v[79:80], v[84:85]
	buffer_store_dword v80, off, s[0:3], 0 offset:36
	buffer_store_dword v79, off, s[0:3], 0 offset:32
.LBB38_408:
	s_or_b64 exec, exec, s[6:7]
	buffer_load_dword v79, off, s[0:3], 0 offset:40
	buffer_load_dword v80, off, s[0:3], 0 offset:44
	v_cmp_gt_u32_e32 vcc, 5, v0
	s_waitcnt vmcnt(0)
	ds_write_b64 v82, v[79:80]
	s_waitcnt lgkmcnt(0)
	; wave barrier
	s_and_saveexec_b64 s[6:7], vcc
	s_cbranch_execz .LBB38_418
; %bb.409:
	s_and_b64 vcc, exec, s[4:5]
	s_cbranch_vccnz .LBB38_411
; %bb.410:
	buffer_load_dword v79, v83, s[0:3], 0 offen
	buffer_load_dword v80, v83, s[0:3], 0 offen offset:4
	ds_read_b64 v[84:85], v82
	s_waitcnt vmcnt(0) lgkmcnt(0)
	v_mul_f64 v[79:80], v[79:80], v[84:85]
	s_cbranch_execz .LBB38_412
	s_branch .LBB38_413
.LBB38_411:
                                        ; implicit-def: $vgpr79_vgpr80
.LBB38_412:
	ds_read_b64 v[79:80], v82
.LBB38_413:
	v_cmp_ne_u32_e32 vcc, 4, v0
	s_and_saveexec_b64 s[8:9], vcc
	s_cbranch_execz .LBB38_417
; %bb.414:
	s_mov_b32 s10, 0
	v_add_u32_e32 v84, 0x148, v81
	v_add3_u32 v85, v81, s10, 8
	s_mov_b64 s[10:11], 0
	v_mov_b32_e32 v86, v0
.LBB38_415:                             ; =>This Inner Loop Header: Depth=1
	buffer_load_dword v87, v85, s[0:3], 0 offen
	buffer_load_dword v88, v85, s[0:3], 0 offen offset:4
	ds_read_b64 v[89:90], v84
	v_add_u32_e32 v86, 1, v86
	v_cmp_lt_u32_e32 vcc, 3, v86
	v_add_u32_e32 v84, 8, v84
	s_or_b64 s[10:11], vcc, s[10:11]
	v_add_u32_e32 v85, 8, v85
	s_waitcnt vmcnt(0) lgkmcnt(0)
	v_fma_f64 v[79:80], v[87:88], v[89:90], v[79:80]
	s_andn2_b64 exec, exec, s[10:11]
	s_cbranch_execnz .LBB38_415
; %bb.416:
	s_or_b64 exec, exec, s[10:11]
.LBB38_417:
	s_or_b64 exec, exec, s[8:9]
	v_mov_b32_e32 v84, 0
	ds_read_b64 v[84:85], v84 offset:40
	s_waitcnt lgkmcnt(0)
	v_mul_f64 v[79:80], v[79:80], v[84:85]
	buffer_store_dword v80, off, s[0:3], 0 offset:44
	buffer_store_dword v79, off, s[0:3], 0 offset:40
.LBB38_418:
	;; [unrolled: 59-line block ×33, first 2 shown]
	s_or_b64 exec, exec, s[6:7]
	buffer_load_dword v79, off, s[0:3], 0 offset:296
	buffer_load_dword v80, off, s[0:3], 0 offset:300
	v_cmp_gt_u32_e64 s[6:7], 37, v0
	s_waitcnt vmcnt(0)
	ds_write_b64 v82, v[79:80]
	s_waitcnt lgkmcnt(0)
	; wave barrier
	s_and_saveexec_b64 s[8:9], s[6:7]
	s_cbranch_execz .LBB38_738
; %bb.729:
	s_and_b64 vcc, exec, s[4:5]
	s_cbranch_vccnz .LBB38_731
; %bb.730:
	buffer_load_dword v79, v83, s[0:3], 0 offen
	buffer_load_dword v80, v83, s[0:3], 0 offen offset:4
	ds_read_b64 v[84:85], v82
	s_waitcnt vmcnt(0) lgkmcnt(0)
	v_mul_f64 v[79:80], v[79:80], v[84:85]
	s_cbranch_execz .LBB38_732
	s_branch .LBB38_733
.LBB38_731:
                                        ; implicit-def: $vgpr79_vgpr80
.LBB38_732:
	ds_read_b64 v[79:80], v82
.LBB38_733:
	v_cmp_ne_u32_e32 vcc, 36, v0
	s_and_saveexec_b64 s[10:11], vcc
	s_cbranch_execz .LBB38_737
; %bb.734:
	s_mov_b32 s12, 0
	v_add_u32_e32 v84, 0x148, v81
	v_add3_u32 v85, v81, s12, 8
	s_mov_b64 s[12:13], 0
	v_mov_b32_e32 v86, v0
.LBB38_735:                             ; =>This Inner Loop Header: Depth=1
	buffer_load_dword v87, v85, s[0:3], 0 offen
	buffer_load_dword v88, v85, s[0:3], 0 offen offset:4
	ds_read_b64 v[89:90], v84
	v_add_u32_e32 v86, 1, v86
	v_cmp_lt_u32_e32 vcc, 35, v86
	v_add_u32_e32 v84, 8, v84
	s_or_b64 s[12:13], vcc, s[12:13]
	v_add_u32_e32 v85, 8, v85
	s_waitcnt vmcnt(0) lgkmcnt(0)
	v_fma_f64 v[79:80], v[87:88], v[89:90], v[79:80]
	s_andn2_b64 exec, exec, s[12:13]
	s_cbranch_execnz .LBB38_735
; %bb.736:
	s_or_b64 exec, exec, s[12:13]
.LBB38_737:
	s_or_b64 exec, exec, s[10:11]
	v_mov_b32_e32 v84, 0
	ds_read_b64 v[84:85], v84 offset:296
	s_waitcnt lgkmcnt(0)
	v_mul_f64 v[79:80], v[79:80], v[84:85]
	buffer_store_dword v80, off, s[0:3], 0 offset:300
	buffer_store_dword v79, off, s[0:3], 0 offset:296
.LBB38_738:
	s_or_b64 exec, exec, s[8:9]
	buffer_load_dword v79, off, s[0:3], 0 offset:304
	buffer_load_dword v80, off, s[0:3], 0 offset:308
	v_cmp_ne_u32_e32 vcc, 38, v0
	s_waitcnt vmcnt(0)
	ds_write_b64 v82, v[79:80]
	s_waitcnt lgkmcnt(0)
	; wave barrier
	s_and_saveexec_b64 s[8:9], vcc
	s_cbranch_execz .LBB38_748
; %bb.739:
	s_and_b64 vcc, exec, s[4:5]
	s_cbranch_vccnz .LBB38_741
; %bb.740:
	buffer_load_dword v79, v83, s[0:3], 0 offen
	buffer_load_dword v80, v83, s[0:3], 0 offen offset:4
	ds_read_b64 v[83:84], v82
	s_waitcnt vmcnt(0) lgkmcnt(0)
	v_mul_f64 v[79:80], v[79:80], v[83:84]
	s_cbranch_execz .LBB38_742
	s_branch .LBB38_743
.LBB38_741:
                                        ; implicit-def: $vgpr79_vgpr80
.LBB38_742:
	ds_read_b64 v[79:80], v82
.LBB38_743:
	s_and_saveexec_b64 s[4:5], s[6:7]
	s_cbranch_execz .LBB38_747
; %bb.744:
	s_mov_b32 s6, 0
	v_add_u32_e32 v82, 0x148, v81
	v_add3_u32 v81, v81, s6, 8
	s_mov_b64 s[6:7], 0
.LBB38_745:                             ; =>This Inner Loop Header: Depth=1
	buffer_load_dword v83, v81, s[0:3], 0 offen
	buffer_load_dword v84, v81, s[0:3], 0 offen offset:4
	ds_read_b64 v[85:86], v82
	v_add_u32_e32 v0, 1, v0
	v_cmp_lt_u32_e32 vcc, 36, v0
	v_add_u32_e32 v82, 8, v82
	s_or_b64 s[6:7], vcc, s[6:7]
	v_add_u32_e32 v81, 8, v81
	s_waitcnt vmcnt(0) lgkmcnt(0)
	v_fma_f64 v[79:80], v[83:84], v[85:86], v[79:80]
	s_andn2_b64 exec, exec, s[6:7]
	s_cbranch_execnz .LBB38_745
; %bb.746:
	s_or_b64 exec, exec, s[6:7]
.LBB38_747:
	s_or_b64 exec, exec, s[4:5]
	v_mov_b32_e32 v0, 0
	ds_read_b64 v[81:82], v0 offset:304
	s_waitcnt lgkmcnt(0)
	v_mul_f64 v[79:80], v[79:80], v[81:82]
	buffer_store_dword v80, off, s[0:3], 0 offset:308
	buffer_store_dword v79, off, s[0:3], 0 offset:304
.LBB38_748:
	s_or_b64 exec, exec, s[8:9]
.LBB38_749:
	buffer_load_dword v79, off, s[0:3], 0
	buffer_load_dword v80, off, s[0:3], 0 offset:4
	buffer_load_dword v81, off, s[0:3], 0 offset:8
	;; [unrolled: 1-line block ×39, first 2 shown]
	s_waitcnt vmcnt(38)
	global_store_dwordx2 v[3:4], v[79:80], off
	buffer_load_dword v3, off, s[0:3], 0 offset:160
	s_nop 0
	buffer_load_dword v4, off, s[0:3], 0 offset:164
	buffer_load_dword v79, off, s[0:3], 0 offset:168
	;; [unrolled: 1-line block ×7, first 2 shown]
	s_waitcnt vmcnt(45)
	global_store_dwordx2 v[1:2], v[81:82], off
	s_waitcnt vmcnt(44)
	global_store_dwordx2 v[7:8], v[83:84], off
	buffer_load_dword v0, off, s[0:3], 0 offset:192
	buffer_load_dword v1, off, s[0:3], 0 offset:196
	s_nop 0
	buffer_load_dword v7, off, s[0:3], 0 offset:200
	buffer_load_dword v8, off, s[0:3], 0 offset:204
	buffer_load_dword v81, off, s[0:3], 0 offset:208
	buffer_load_dword v82, off, s[0:3], 0 offset:212
	buffer_load_dword v83, off, s[0:3], 0 offset:216
	buffer_load_dword v84, off, s[0:3], 0 offset:220
	s_waitcnt vmcnt(51)
	global_store_dwordx2 v[5:6], v[85:86], off
	s_waitcnt vmcnt(50)
	global_store_dwordx2 v[9:10], v[87:88], off
	buffer_load_dword v5, off, s[0:3], 0 offset:224
	buffer_load_dword v6, off, s[0:3], 0 offset:228
	s_nop 0
	buffer_load_dword v9, off, s[0:3], 0 offset:232
	buffer_load_dword v10, off, s[0:3], 0 offset:236
	buffer_load_dword v85, off, s[0:3], 0 offset:240
	buffer_load_dword v86, off, s[0:3], 0 offset:244
	buffer_load_dword v87, off, s[0:3], 0 offset:248
	buffer_load_dword v88, off, s[0:3], 0 offset:252
	s_waitcnt vmcnt(57)
	global_store_dwordx2 v[11:12], v[89:90], off
	s_waitcnt vmcnt(56)
	global_store_dwordx2 v[15:16], v[91:92], off
	buffer_load_dword v11, off, s[0:3], 0 offset:256
	buffer_load_dword v12, off, s[0:3], 0 offset:260
	s_nop 0
	buffer_load_dword v15, off, s[0:3], 0 offset:264
	buffer_load_dword v16, off, s[0:3], 0 offset:268
	buffer_load_dword v89, off, s[0:3], 0 offset:272
	buffer_load_dword v90, off, s[0:3], 0 offset:276
	buffer_load_dword v91, off, s[0:3], 0 offset:280
	buffer_load_dword v92, off, s[0:3], 0 offset:284
	s_waitcnt vmcnt(62)
	global_store_dwordx2 v[13:14], v[93:94], off
	buffer_load_dword v13, off, s[0:3], 0 offset:288
	s_nop 0
	buffer_load_dword v14, off, s[0:3], 0 offset:292
	buffer_load_dword v93, off, s[0:3], 0 offset:296
	buffer_load_dword v94, off, s[0:3], 0 offset:300
	buffer_load_dword v123, off, s[0:3], 0 offset:304
	buffer_load_dword v124, off, s[0:3], 0 offset:308
	s_waitcnt vmcnt(62)
	global_store_dwordx2 v[17:18], v[95:96], off
	global_store_dwordx2 v[19:20], v[97:98], off
	;; [unrolled: 1-line block ×4, first 2 shown]
	s_waitcnt vmcnt(62)
	global_store_dwordx2 v[25:26], v[103:104], off
	global_store_dwordx2 v[27:28], v[105:106], off
	s_waitcnt vmcnt(62)
	global_store_dwordx2 v[29:30], v[107:108], off
	s_waitcnt vmcnt(61)
	;; [unrolled: 2-line block ×25, first 2 shown]
	global_store_dwordx2 v[33:34], v[123:124], off
.LBB38_750:
	s_endpgm
	.section	.rodata,"a",@progbits
	.p2align	6, 0x0
	.amdhsa_kernel _ZN9rocsolver6v33100L18trti2_kernel_smallILi39EdPdEEv13rocblas_fill_17rocblas_diagonal_T1_iil
		.amdhsa_group_segment_fixed_size 632
		.amdhsa_private_segment_fixed_size 320
		.amdhsa_kernarg_size 32
		.amdhsa_user_sgpr_count 6
		.amdhsa_user_sgpr_private_segment_buffer 1
		.amdhsa_user_sgpr_dispatch_ptr 0
		.amdhsa_user_sgpr_queue_ptr 0
		.amdhsa_user_sgpr_kernarg_segment_ptr 1
		.amdhsa_user_sgpr_dispatch_id 0
		.amdhsa_user_sgpr_flat_scratch_init 0
		.amdhsa_user_sgpr_private_segment_size 0
		.amdhsa_uses_dynamic_stack 0
		.amdhsa_system_sgpr_private_segment_wavefront_offset 1
		.amdhsa_system_sgpr_workgroup_id_x 1
		.amdhsa_system_sgpr_workgroup_id_y 0
		.amdhsa_system_sgpr_workgroup_id_z 0
		.amdhsa_system_sgpr_workgroup_info 0
		.amdhsa_system_vgpr_workitem_id 0
		.amdhsa_next_free_vgpr 126
		.amdhsa_next_free_sgpr 52
		.amdhsa_reserve_vcc 1
		.amdhsa_reserve_flat_scratch 0
		.amdhsa_float_round_mode_32 0
		.amdhsa_float_round_mode_16_64 0
		.amdhsa_float_denorm_mode_32 3
		.amdhsa_float_denorm_mode_16_64 3
		.amdhsa_dx10_clamp 1
		.amdhsa_ieee_mode 1
		.amdhsa_fp16_overflow 0
		.amdhsa_exception_fp_ieee_invalid_op 0
		.amdhsa_exception_fp_denorm_src 0
		.amdhsa_exception_fp_ieee_div_zero 0
		.amdhsa_exception_fp_ieee_overflow 0
		.amdhsa_exception_fp_ieee_underflow 0
		.amdhsa_exception_fp_ieee_inexact 0
		.amdhsa_exception_int_div_zero 0
	.end_amdhsa_kernel
	.section	.text._ZN9rocsolver6v33100L18trti2_kernel_smallILi39EdPdEEv13rocblas_fill_17rocblas_diagonal_T1_iil,"axG",@progbits,_ZN9rocsolver6v33100L18trti2_kernel_smallILi39EdPdEEv13rocblas_fill_17rocblas_diagonal_T1_iil,comdat
.Lfunc_end38:
	.size	_ZN9rocsolver6v33100L18trti2_kernel_smallILi39EdPdEEv13rocblas_fill_17rocblas_diagonal_T1_iil, .Lfunc_end38-_ZN9rocsolver6v33100L18trti2_kernel_smallILi39EdPdEEv13rocblas_fill_17rocblas_diagonal_T1_iil
                                        ; -- End function
	.set _ZN9rocsolver6v33100L18trti2_kernel_smallILi39EdPdEEv13rocblas_fill_17rocblas_diagonal_T1_iil.num_vgpr, 126
	.set _ZN9rocsolver6v33100L18trti2_kernel_smallILi39EdPdEEv13rocblas_fill_17rocblas_diagonal_T1_iil.num_agpr, 0
	.set _ZN9rocsolver6v33100L18trti2_kernel_smallILi39EdPdEEv13rocblas_fill_17rocblas_diagonal_T1_iil.numbered_sgpr, 52
	.set _ZN9rocsolver6v33100L18trti2_kernel_smallILi39EdPdEEv13rocblas_fill_17rocblas_diagonal_T1_iil.num_named_barrier, 0
	.set _ZN9rocsolver6v33100L18trti2_kernel_smallILi39EdPdEEv13rocblas_fill_17rocblas_diagonal_T1_iil.private_seg_size, 320
	.set _ZN9rocsolver6v33100L18trti2_kernel_smallILi39EdPdEEv13rocblas_fill_17rocblas_diagonal_T1_iil.uses_vcc, 1
	.set _ZN9rocsolver6v33100L18trti2_kernel_smallILi39EdPdEEv13rocblas_fill_17rocblas_diagonal_T1_iil.uses_flat_scratch, 0
	.set _ZN9rocsolver6v33100L18trti2_kernel_smallILi39EdPdEEv13rocblas_fill_17rocblas_diagonal_T1_iil.has_dyn_sized_stack, 0
	.set _ZN9rocsolver6v33100L18trti2_kernel_smallILi39EdPdEEv13rocblas_fill_17rocblas_diagonal_T1_iil.has_recursion, 0
	.set _ZN9rocsolver6v33100L18trti2_kernel_smallILi39EdPdEEv13rocblas_fill_17rocblas_diagonal_T1_iil.has_indirect_call, 0
	.section	.AMDGPU.csdata,"",@progbits
; Kernel info:
; codeLenInByte = 22844
; TotalNumSgprs: 56
; NumVgprs: 126
; ScratchSize: 320
; MemoryBound: 0
; FloatMode: 240
; IeeeMode: 1
; LDSByteSize: 632 bytes/workgroup (compile time only)
; SGPRBlocks: 6
; VGPRBlocks: 31
; NumSGPRsForWavesPerEU: 56
; NumVGPRsForWavesPerEU: 126
; Occupancy: 2
; WaveLimiterHint : 0
; COMPUTE_PGM_RSRC2:SCRATCH_EN: 1
; COMPUTE_PGM_RSRC2:USER_SGPR: 6
; COMPUTE_PGM_RSRC2:TRAP_HANDLER: 0
; COMPUTE_PGM_RSRC2:TGID_X_EN: 1
; COMPUTE_PGM_RSRC2:TGID_Y_EN: 0
; COMPUTE_PGM_RSRC2:TGID_Z_EN: 0
; COMPUTE_PGM_RSRC2:TIDIG_COMP_CNT: 0
	.section	.text._ZN9rocsolver6v33100L18trti2_kernel_smallILi40EdPdEEv13rocblas_fill_17rocblas_diagonal_T1_iil,"axG",@progbits,_ZN9rocsolver6v33100L18trti2_kernel_smallILi40EdPdEEv13rocblas_fill_17rocblas_diagonal_T1_iil,comdat
	.globl	_ZN9rocsolver6v33100L18trti2_kernel_smallILi40EdPdEEv13rocblas_fill_17rocblas_diagonal_T1_iil ; -- Begin function _ZN9rocsolver6v33100L18trti2_kernel_smallILi40EdPdEEv13rocblas_fill_17rocblas_diagonal_T1_iil
	.p2align	8
	.type	_ZN9rocsolver6v33100L18trti2_kernel_smallILi40EdPdEEv13rocblas_fill_17rocblas_diagonal_T1_iil,@function
_ZN9rocsolver6v33100L18trti2_kernel_smallILi40EdPdEEv13rocblas_fill_17rocblas_diagonal_T1_iil: ; @_ZN9rocsolver6v33100L18trti2_kernel_smallILi40EdPdEEv13rocblas_fill_17rocblas_diagonal_T1_iil
; %bb.0:
	s_add_u32 s0, s0, s7
	s_addc_u32 s1, s1, 0
	v_cmp_gt_u32_e32 vcc, 40, v0
	s_and_saveexec_b64 s[8:9], vcc
	s_cbranch_execz .LBB39_770
; %bb.1:
	s_load_dwordx8 s[8:15], s[4:5], 0x0
	s_ashr_i32 s7, s6, 31
	v_lshlrev_b32_e32 v83, 3, v0
	s_waitcnt lgkmcnt(0)
	s_ashr_i32 s5, s12, 31
	s_mov_b32 s4, s12
	s_mul_hi_u32 s12, s14, s6
	s_mul_i32 s7, s14, s7
	s_add_i32 s7, s12, s7
	s_mul_i32 s12, s15, s6
	s_add_i32 s7, s7, s12
	s_mul_i32 s6, s14, s6
	s_lshl_b64 s[6:7], s[6:7], 3
	s_add_u32 s6, s10, s6
	s_addc_u32 s7, s11, s7
	s_lshl_b64 s[4:5], s[4:5], 3
	s_add_u32 s4, s6, s4
	s_addc_u32 s5, s7, s5
	v_mov_b32_e32 v1, s5
	v_add_co_u32_e32 v3, vcc, s4, v83
	s_ashr_i32 s7, s13, 31
	s_mov_b32 s6, s13
	v_addc_co_u32_e32 v4, vcc, 0, v1, vcc
	s_lshl_b64 s[6:7], s[6:7], 3
	v_add_co_u32_e32 v1, vcc, s6, v3
	s_add_i32 s6, s13, s13
	v_add_u32_e32 v5, s6, v0
	v_ashrrev_i32_e32 v6, 31, v5
	v_mov_b32_e32 v2, s7
	v_lshlrev_b64 v[7:8], 3, v[5:6]
	v_addc_co_u32_e32 v2, vcc, v4, v2, vcc
	v_add_u32_e32 v9, s13, v5
	v_mov_b32_e32 v6, s5
	v_add_co_u32_e32 v7, vcc, s4, v7
	v_ashrrev_i32_e32 v10, 31, v9
	v_addc_co_u32_e32 v8, vcc, v6, v8, vcc
	v_lshlrev_b64 v[5:6], 3, v[9:10]
	v_add_u32_e32 v11, s13, v9
	v_mov_b32_e32 v10, s5
	v_add_co_u32_e32 v5, vcc, s4, v5
	v_ashrrev_i32_e32 v12, 31, v11
	v_addc_co_u32_e32 v6, vcc, v10, v6, vcc
	v_lshlrev_b64 v[9:10], 3, v[11:12]
	;; [unrolled: 6-line block ×3, first 2 shown]
	v_mov_b32_e32 v14, s5
	v_add_co_u32_e32 v11, vcc, s4, v11
	v_add_u32_e32 v13, s13, v13
	v_addc_co_u32_e32 v12, vcc, v14, v12, vcc
	v_ashrrev_i32_e32 v14, 31, v13
	v_lshlrev_b64 v[15:16], 3, v[13:14]
	v_add_u32_e32 v17, s13, v13
	v_mov_b32_e32 v14, s5
	v_add_co_u32_e32 v15, vcc, s4, v15
	v_ashrrev_i32_e32 v18, 31, v17
	v_addc_co_u32_e32 v16, vcc, v14, v16, vcc
	v_lshlrev_b64 v[13:14], 3, v[17:18]
	v_add_u32_e32 v19, s13, v17
	v_mov_b32_e32 v18, s5
	v_add_co_u32_e32 v13, vcc, s4, v13
	v_ashrrev_i32_e32 v20, 31, v19
	v_addc_co_u32_e32 v14, vcc, v18, v14, vcc
	;; [unrolled: 6-line block ×9, first 2 shown]
	v_lshlrev_b64 v[31:32], 3, v[33:34]
	v_mov_b32_e32 v34, s5
	v_add_co_u32_e32 v31, vcc, s4, v31
	global_load_dwordx2 v[39:40], v83, s[4:5]
	global_load_dwordx2 v[47:48], v[1:2], off
	global_load_dwordx2 v[45:46], v[7:8], off
	;; [unrolled: 1-line block ×12, first 2 shown]
	v_addc_co_u32_e32 v32, vcc, v34, v32, vcc
	global_load_dwordx2 v[69:70], v[27:28], off
	global_load_dwordx2 v[67:68], v[29:30], off
	global_load_dwordx2 v[65:66], v[31:32], off
	v_add_u32_e32 v35, s13, v33
	v_ashrrev_i32_e32 v36, 31, v35
	v_lshlrev_b64 v[33:34], 3, v[35:36]
	v_mov_b32_e32 v36, s5
	v_add_co_u32_e32 v33, vcc, s4, v33
	v_addc_co_u32_e32 v34, vcc, v36, v34, vcc
	global_load_dwordx2 v[71:72], v[33:34], off
	v_add_u32_e32 v37, s13, v35
	v_ashrrev_i32_e32 v38, 31, v37
	v_lshlrev_b64 v[35:36], 3, v[37:38]
	v_mov_b32_e32 v38, s5
	v_add_co_u32_e32 v35, vcc, s4, v35
	v_addc_co_u32_e32 v36, vcc, v38, v36, vcc
	global_load_dwordx2 v[73:74], v[35:36], off
	v_add_u32_e32 v75, s13, v37
	v_add_u32_e32 v77, s13, v75
	;; [unrolled: 1-line block ×22, first 2 shown]
	v_ashrrev_i32_e32 v38, 31, v37
	v_lshlrev_b64 v[37:38], 3, v[37:38]
	v_mov_b32_e32 v76, s5
	v_add_co_u32_e32 v37, vcc, s4, v37
	v_addc_co_u32_e32 v38, vcc, v76, v38, vcc
	v_ashrrev_i32_e32 v76, 31, v75
	global_load_dwordx2 v[118:119], v[37:38], off
	s_waitcnt vmcnt(18)
	buffer_store_dword v40, off, s[0:3], 0 offset:4
	buffer_store_dword v39, off, s[0:3], 0
	s_waitcnt vmcnt(19)
	buffer_store_dword v48, off, s[0:3], 0 offset:12
	buffer_store_dword v47, off, s[0:3], 0 offset:8
	s_waitcnt vmcnt(20)
	buffer_store_dword v46, off, s[0:3], 0 offset:20
	buffer_store_dword v45, off, s[0:3], 0 offset:16
	;; [unrolled: 3-line block ×16, first 2 shown]
	v_lshlrev_b64 v[39:40], 3, v[75:76]
	v_mov_b32_e32 v41, s5
	v_add_co_u32_e32 v39, vcc, s4, v39
	v_ashrrev_i32_e32 v78, 31, v77
	v_addc_co_u32_e32 v40, vcc, v41, v40, vcc
	v_lshlrev_b64 v[41:42], 3, v[77:78]
	v_mov_b32_e32 v43, s5
	v_add_co_u32_e32 v41, vcc, s4, v41
	v_ashrrev_i32_e32 v80, 31, v79
	v_addc_co_u32_e32 v42, vcc, v43, v42, vcc
	;; [unrolled: 5-line block ×16, first 2 shown]
	v_lshlrev_b64 v[71:72], 3, v[108:109]
	global_load_dwordx2 v[120:121], v[39:40], off
	global_load_dwordx2 v[122:123], v[41:42], off
	;; [unrolled: 1-line block ×3, first 2 shown]
	s_waitcnt vmcnt(38)
	buffer_store_dword v73, off, s[0:3], 0 offset:136
	buffer_store_dword v74, off, s[0:3], 0 offset:140
	v_mov_b32_e32 v73, s5
	v_add_co_u32_e32 v71, vcc, s4, v71
	v_ashrrev_i32_e32 v111, 31, v110
	v_addc_co_u32_e32 v72, vcc, v73, v72, vcc
	v_lshlrev_b64 v[73:74], 3, v[110:111]
	v_mov_b32_e32 v75, s5
	v_add_co_u32_e32 v73, vcc, s4, v73
	global_load_dwordx2 v[81:82], v[45:46], off
	global_load_dwordx2 v[84:85], v[47:48], off
	global_load_dwordx2 v[86:87], v[49:50], off
	global_load_dwordx2 v[88:89], v[51:52], off
	global_load_dwordx2 v[90:91], v[53:54], off
	global_load_dwordx2 v[92:93], v[55:56], off
	global_load_dwordx2 v[94:95], v[57:58], off
	global_load_dwordx2 v[96:97], v[59:60], off
	global_load_dwordx2 v[98:99], v[61:62], off
	global_load_dwordx2 v[100:101], v[63:64], off
	global_load_dwordx2 v[102:103], v[65:66], off
	global_load_dwordx2 v[104:105], v[67:68], off
	v_addc_co_u32_e32 v74, vcc, v75, v74, vcc
	global_load_dwordx2 v[106:107], v[69:70], off
	global_load_dwordx2 v[108:109], v[71:72], off
	;; [unrolled: 1-line block ×3, first 2 shown]
	v_ashrrev_i32_e32 v113, 31, v112
	v_lshlrev_b64 v[75:76], 3, v[112:113]
	v_mov_b32_e32 v77, s5
	v_add_co_u32_e32 v75, vcc, s4, v75
	v_ashrrev_i32_e32 v115, 31, v114
	v_addc_co_u32_e32 v76, vcc, v77, v76, vcc
	v_lshlrev_b64 v[77:78], 3, v[114:115]
	v_mov_b32_e32 v79, s5
	v_add_co_u32_e32 v77, vcc, s4, v77
	v_ashrrev_i32_e32 v117, 31, v116
	v_addc_co_u32_e32 v78, vcc, v79, v78, vcc
	v_lshlrev_b64 v[79:80], 3, v[116:117]
	v_mov_b32_e32 v112, s5
	v_add_co_u32_e32 v79, vcc, s4, v79
	v_addc_co_u32_e32 v80, vcc, v112, v80, vcc
	global_load_dwordx2 v[112:113], v[75:76], off
	global_load_dwordx2 v[114:115], v[77:78], off
	;; [unrolled: 1-line block ×3, first 2 shown]
	s_cmpk_lg_i32 s9, 0x84
	s_cselect_b64 s[10:11], -1, 0
	s_cmpk_eq_i32 s9, 0x84
	s_waitcnt vmcnt(22)
	buffer_store_dword v120, off, s[0:3], 0 offset:144
	buffer_store_dword v121, off, s[0:3], 0 offset:148
	s_waitcnt vmcnt(23)
	buffer_store_dword v123, off, s[0:3], 0 offset:156
	buffer_store_dword v122, off, s[0:3], 0 offset:152
	;; [unrolled: 3-line block ×21, first 2 shown]
	buffer_store_dword v118, off, s[0:3], 0 offset:312
	v_mov_b32_e32 v81, 0
	v_mov_b32_e32 v82, 0xbff00000
	buffer_store_dword v119, off, s[0:3], 0 offset:316
	s_cbranch_scc1 .LBB39_3
; %bb.2:
	v_mov_b32_e32 v81, 0
	v_lshl_add_u32 v92, v0, 3, v81
	buffer_load_dword v81, v92, s[0:3], 0 offen
	buffer_load_dword v82, v92, s[0:3], 0 offen offset:4
	s_waitcnt vmcnt(0)
	v_div_scale_f64 v[84:85], s[4:5], v[81:82], v[81:82], 1.0
	v_rcp_f64_e32 v[86:87], v[84:85]
	v_fma_f64 v[88:89], -v[84:85], v[86:87], 1.0
	v_fma_f64 v[86:87], v[86:87], v[88:89], v[86:87]
	v_div_scale_f64 v[88:89], vcc, 1.0, v[81:82], 1.0
	v_fma_f64 v[90:91], -v[84:85], v[86:87], 1.0
	v_fma_f64 v[86:87], v[86:87], v[90:91], v[86:87]
	v_mul_f64 v[90:91], v[88:89], v[86:87]
	v_fma_f64 v[84:85], -v[84:85], v[90:91], v[88:89]
	v_div_fmas_f64 v[84:85], v[84:85], v[86:87], v[90:91]
	v_div_fixup_f64 v[81:82], v[84:85], v[81:82], 1.0
	buffer_store_dword v81, v92, s[0:3], 0 offen
	buffer_store_dword v82, v92, s[0:3], 0 offen offset:4
	v_xor_b32_e32 v82, 0x80000000, v82
.LBB39_3:
	s_cmpk_eq_i32 s8, 0x79
	v_add_u32_e32 v84, 0x140, v83
	v_mov_b32_e32 v85, v83
	s_mov_b64 s[4:5], -1
	ds_write_b64 v83, v[81:82]
	s_cbranch_scc1 .LBB39_387
; %bb.4:
	buffer_load_dword v81, off, s[0:3], 0 offset:304
	buffer_load_dword v82, off, s[0:3], 0 offset:308
	s_movk_i32 s12, 0x48
	s_movk_i32 s13, 0x50
	;; [unrolled: 1-line block ×29, first 2 shown]
	v_cmp_eq_u32_e64 s[4:5], 39, v0
	s_waitcnt vmcnt(0)
	ds_write_b64 v84, v[81:82]
	s_waitcnt lgkmcnt(0)
	; wave barrier
	s_and_saveexec_b64 s[6:7], s[4:5]
	s_cbranch_execz .LBB39_10
; %bb.5:
	s_and_b64 vcc, exec, s[10:11]
	s_cbranch_vccz .LBB39_7
; %bb.6:
	buffer_load_dword v81, v85, s[0:3], 0 offen
	buffer_load_dword v82, v85, s[0:3], 0 offen offset:4
	ds_read_b64 v[86:87], v84
	s_waitcnt vmcnt(0) lgkmcnt(0)
	v_mul_f64 v[81:82], v[81:82], v[86:87]
	s_cbranch_execz .LBB39_8
	s_branch .LBB39_9
.LBB39_7:
                                        ; implicit-def: $vgpr81_vgpr82
.LBB39_8:
	ds_read_b64 v[81:82], v84
.LBB39_9:
	v_mov_b32_e32 v86, 0
	ds_read_b64 v[86:87], v86 offset:304
	s_waitcnt lgkmcnt(0)
	v_mul_f64 v[81:82], v[81:82], v[86:87]
	buffer_store_dword v82, off, s[0:3], 0 offset:308
	buffer_store_dword v81, off, s[0:3], 0 offset:304
.LBB39_10:
	s_or_b64 exec, exec, s[6:7]
	buffer_load_dword v81, off, s[0:3], 0 offset:296
	buffer_load_dword v82, off, s[0:3], 0 offset:300
	s_or_b32 s14, 0, 8
	s_mov_b32 s15, 16
	s_mov_b32 s16, 24
	;; [unrolled: 1-line block ×9, first 2 shown]
	v_cmp_lt_u32_e64 s[8:9], 37, v0
	s_waitcnt vmcnt(0)
	ds_write_b64 v84, v[81:82]
	s_waitcnt lgkmcnt(0)
	; wave barrier
	s_and_saveexec_b64 s[6:7], s[8:9]
	s_cbranch_execz .LBB39_16
; %bb.11:
	s_andn2_b64 vcc, exec, s[10:11]
	s_cbranch_vccnz .LBB39_13
; %bb.12:
	buffer_load_dword v81, v85, s[0:3], 0 offen
	buffer_load_dword v82, v85, s[0:3], 0 offen offset:4
	ds_read_b64 v[86:87], v84
	s_waitcnt vmcnt(0) lgkmcnt(0)
	v_mul_f64 v[81:82], v[81:82], v[86:87]
	s_cbranch_execz .LBB39_14
	s_branch .LBB39_15
.LBB39_13:
                                        ; implicit-def: $vgpr81_vgpr82
.LBB39_14:
	ds_read_b64 v[81:82], v84
.LBB39_15:
	buffer_load_dword v90, off, s[0:3], 0 offset:304
	buffer_load_dword v91, off, s[0:3], 0 offset:308
	v_mov_b32_e32 v86, 0
	ds_read2_b64 v[86:89], v86 offset0:37 offset1:78
	s_waitcnt vmcnt(0) lgkmcnt(0)
	v_fma_f64 v[88:89], v[90:91], v[88:89], v[81:82]
	v_cndmask_b32_e64 v82, v82, v89, s[4:5]
	v_cndmask_b32_e64 v81, v81, v88, s[4:5]
	v_mul_f64 v[81:82], v[81:82], v[86:87]
	buffer_store_dword v82, off, s[0:3], 0 offset:300
	buffer_store_dword v81, off, s[0:3], 0 offset:296
.LBB39_16:
	s_or_b64 exec, exec, s[6:7]
	buffer_load_dword v81, off, s[0:3], 0 offset:288
	buffer_load_dword v82, off, s[0:3], 0 offset:292
	v_cmp_lt_u32_e64 s[6:7], 36, v0
	s_waitcnt vmcnt(0)
	ds_write_b64 v84, v[81:82]
	s_waitcnt lgkmcnt(0)
	; wave barrier
	s_and_saveexec_b64 s[4:5], s[6:7]
	s_cbranch_execz .LBB39_26
; %bb.17:
	s_andn2_b64 vcc, exec, s[10:11]
	s_cbranch_vccnz .LBB39_19
; %bb.18:
	buffer_load_dword v81, v85, s[0:3], 0 offen
	buffer_load_dword v82, v85, s[0:3], 0 offen offset:4
	ds_read_b64 v[86:87], v84
	s_waitcnt vmcnt(0) lgkmcnt(0)
	v_mul_f64 v[81:82], v[81:82], v[86:87]
	s_cbranch_execz .LBB39_20
	s_branch .LBB39_21
.LBB39_19:
                                        ; implicit-def: $vgpr81_vgpr82
.LBB39_20:
	ds_read_b64 v[81:82], v84
.LBB39_21:
	s_and_saveexec_b64 s[12:13], s[8:9]
	s_cbranch_execz .LBB39_25
; %bb.22:
	v_subrev_u32_e32 v86, 37, v0
	s_movk_i32 s52, 0x268
	s_mov_b64 s[8:9], 0
.LBB39_23:                              ; =>This Inner Loop Header: Depth=1
	v_mov_b32_e32 v88, s51
	buffer_load_dword v87, v88, s[0:3], 0 offen
	s_nop 0
	buffer_load_dword v88, v88, s[0:3], 0 offen offset:4
	v_mov_b32_e32 v89, s52
	ds_read_b64 v[89:90], v89
	v_add_u32_e32 v86, -1, v86
	s_add_i32 s52, s52, 8
	s_add_i32 s51, s51, 8
	v_cmp_eq_u32_e32 vcc, 0, v86
	s_or_b64 s[8:9], vcc, s[8:9]
	s_waitcnt vmcnt(0) lgkmcnt(0)
	v_fma_f64 v[81:82], v[87:88], v[89:90], v[81:82]
	s_andn2_b64 exec, exec, s[8:9]
	s_cbranch_execnz .LBB39_23
; %bb.24:
	s_or_b64 exec, exec, s[8:9]
.LBB39_25:
	s_or_b64 exec, exec, s[12:13]
	v_mov_b32_e32 v86, 0
	ds_read_b64 v[86:87], v86 offset:288
	s_waitcnt lgkmcnt(0)
	v_mul_f64 v[81:82], v[81:82], v[86:87]
	buffer_store_dword v82, off, s[0:3], 0 offset:292
	buffer_store_dword v81, off, s[0:3], 0 offset:288
.LBB39_26:
	s_or_b64 exec, exec, s[4:5]
	buffer_load_dword v81, off, s[0:3], 0 offset:280
	buffer_load_dword v82, off, s[0:3], 0 offset:284
	v_cmp_lt_u32_e64 s[4:5], 35, v0
	s_waitcnt vmcnt(0)
	ds_write_b64 v84, v[81:82]
	s_waitcnt lgkmcnt(0)
	; wave barrier
	s_and_saveexec_b64 s[8:9], s[4:5]
	s_cbranch_execz .LBB39_36
; %bb.27:
	s_andn2_b64 vcc, exec, s[10:11]
	s_cbranch_vccnz .LBB39_29
; %bb.28:
	buffer_load_dword v81, v85, s[0:3], 0 offen
	buffer_load_dword v82, v85, s[0:3], 0 offen offset:4
	ds_read_b64 v[86:87], v84
	s_waitcnt vmcnt(0) lgkmcnt(0)
	v_mul_f64 v[81:82], v[81:82], v[86:87]
	s_cbranch_execz .LBB39_30
	s_branch .LBB39_31
.LBB39_29:
                                        ; implicit-def: $vgpr81_vgpr82
.LBB39_30:
	ds_read_b64 v[81:82], v84
.LBB39_31:
	s_and_saveexec_b64 s[12:13], s[6:7]
	s_cbranch_execz .LBB39_35
; %bb.32:
	v_subrev_u32_e32 v86, 36, v0
	s_movk_i32 s51, 0x260
	s_mov_b64 s[6:7], 0
.LBB39_33:                              ; =>This Inner Loop Header: Depth=1
	v_mov_b32_e32 v89, s50
	buffer_load_dword v87, v89, s[0:3], 0 offen
	buffer_load_dword v88, v89, s[0:3], 0 offen offset:4
	v_mov_b32_e32 v89, s51
	ds_read_b64 v[89:90], v89
	v_add_u32_e32 v86, -1, v86
	s_add_i32 s51, s51, 8
	s_add_i32 s50, s50, 8
	v_cmp_eq_u32_e32 vcc, 0, v86
	s_or_b64 s[6:7], vcc, s[6:7]
	s_waitcnt vmcnt(0) lgkmcnt(0)
	v_fma_f64 v[81:82], v[87:88], v[89:90], v[81:82]
	s_andn2_b64 exec, exec, s[6:7]
	s_cbranch_execnz .LBB39_33
; %bb.34:
	s_or_b64 exec, exec, s[6:7]
.LBB39_35:
	s_or_b64 exec, exec, s[12:13]
	v_mov_b32_e32 v86, 0
	ds_read_b64 v[86:87], v86 offset:280
	s_waitcnt lgkmcnt(0)
	v_mul_f64 v[81:82], v[81:82], v[86:87]
	buffer_store_dword v82, off, s[0:3], 0 offset:284
	buffer_store_dword v81, off, s[0:3], 0 offset:280
.LBB39_36:
	s_or_b64 exec, exec, s[8:9]
	buffer_load_dword v81, off, s[0:3], 0 offset:272
	buffer_load_dword v82, off, s[0:3], 0 offset:276
	v_cmp_lt_u32_e64 s[6:7], 34, v0
	s_waitcnt vmcnt(0)
	ds_write_b64 v84, v[81:82]
	s_waitcnt lgkmcnt(0)
	; wave barrier
	s_and_saveexec_b64 s[8:9], s[6:7]
	s_cbranch_execz .LBB39_46
; %bb.37:
	s_andn2_b64 vcc, exec, s[10:11]
	s_cbranch_vccnz .LBB39_39
; %bb.38:
	buffer_load_dword v81, v85, s[0:3], 0 offen
	buffer_load_dword v82, v85, s[0:3], 0 offen offset:4
	ds_read_b64 v[86:87], v84
	s_waitcnt vmcnt(0) lgkmcnt(0)
	v_mul_f64 v[81:82], v[81:82], v[86:87]
	s_cbranch_execz .LBB39_40
	s_branch .LBB39_41
.LBB39_39:
                                        ; implicit-def: $vgpr81_vgpr82
.LBB39_40:
	ds_read_b64 v[81:82], v84
.LBB39_41:
	s_and_saveexec_b64 s[12:13], s[4:5]
	s_cbranch_execz .LBB39_45
; %bb.42:
	v_subrev_u32_e32 v86, 35, v0
	s_movk_i32 s50, 0x258
	s_mov_b64 s[4:5], 0
.LBB39_43:                              ; =>This Inner Loop Header: Depth=1
	v_mov_b32_e32 v89, s49
	buffer_load_dword v87, v89, s[0:3], 0 offen
	buffer_load_dword v88, v89, s[0:3], 0 offen offset:4
	v_mov_b32_e32 v89, s50
	ds_read_b64 v[89:90], v89
	v_add_u32_e32 v86, -1, v86
	s_add_i32 s50, s50, 8
	s_add_i32 s49, s49, 8
	v_cmp_eq_u32_e32 vcc, 0, v86
	s_or_b64 s[4:5], vcc, s[4:5]
	s_waitcnt vmcnt(0) lgkmcnt(0)
	v_fma_f64 v[81:82], v[87:88], v[89:90], v[81:82]
	s_andn2_b64 exec, exec, s[4:5]
	s_cbranch_execnz .LBB39_43
; %bb.44:
	s_or_b64 exec, exec, s[4:5]
.LBB39_45:
	s_or_b64 exec, exec, s[12:13]
	v_mov_b32_e32 v86, 0
	ds_read_b64 v[86:87], v86 offset:272
	s_waitcnt lgkmcnt(0)
	v_mul_f64 v[81:82], v[81:82], v[86:87]
	buffer_store_dword v82, off, s[0:3], 0 offset:276
	buffer_store_dword v81, off, s[0:3], 0 offset:272
.LBB39_46:
	;; [unrolled: 58-line block ×7, first 2 shown]
	s_or_b64 exec, exec, s[8:9]
	buffer_load_dword v81, off, s[0:3], 0 offset:224
	buffer_load_dword v82, off, s[0:3], 0 offset:228
	v_cmp_lt_u32_e64 s[6:7], 28, v0
	s_waitcnt vmcnt(0)
	ds_write_b64 v84, v[81:82]
	s_waitcnt lgkmcnt(0)
	; wave barrier
	s_and_saveexec_b64 s[8:9], s[6:7]
	s_cbranch_execz .LBB39_106
; %bb.97:
	s_andn2_b64 vcc, exec, s[10:11]
	s_cbranch_vccnz .LBB39_99
; %bb.98:
	buffer_load_dword v81, v85, s[0:3], 0 offen
	buffer_load_dword v82, v85, s[0:3], 0 offen offset:4
	ds_read_b64 v[86:87], v84
	s_waitcnt vmcnt(0) lgkmcnt(0)
	v_mul_f64 v[81:82], v[81:82], v[86:87]
	s_cbranch_execz .LBB39_100
	s_branch .LBB39_101
.LBB39_99:
                                        ; implicit-def: $vgpr81_vgpr82
.LBB39_100:
	ds_read_b64 v[81:82], v84
.LBB39_101:
	s_and_saveexec_b64 s[12:13], s[4:5]
	s_cbranch_execz .LBB39_105
; %bb.102:
	v_subrev_u32_e32 v86, 29, v0
	s_movk_i32 s44, 0x228
	s_mov_b64 s[4:5], 0
.LBB39_103:                             ; =>This Inner Loop Header: Depth=1
	v_mov_b32_e32 v89, s43
	buffer_load_dword v87, v89, s[0:3], 0 offen
	buffer_load_dword v88, v89, s[0:3], 0 offen offset:4
	v_mov_b32_e32 v89, s44
	ds_read_b64 v[89:90], v89
	v_add_u32_e32 v86, -1, v86
	s_add_i32 s44, s44, 8
	s_add_i32 s43, s43, 8
	v_cmp_eq_u32_e32 vcc, 0, v86
	s_or_b64 s[4:5], vcc, s[4:5]
	s_waitcnt vmcnt(0) lgkmcnt(0)
	v_fma_f64 v[81:82], v[87:88], v[89:90], v[81:82]
	s_andn2_b64 exec, exec, s[4:5]
	s_cbranch_execnz .LBB39_103
; %bb.104:
	s_or_b64 exec, exec, s[4:5]
.LBB39_105:
	s_or_b64 exec, exec, s[12:13]
	v_mov_b32_e32 v86, 0
	ds_read_b64 v[86:87], v86 offset:224
	s_waitcnt lgkmcnt(0)
	v_mul_f64 v[81:82], v[81:82], v[86:87]
	buffer_store_dword v82, off, s[0:3], 0 offset:228
	buffer_store_dword v81, off, s[0:3], 0 offset:224
.LBB39_106:
	s_or_b64 exec, exec, s[8:9]
	buffer_load_dword v81, off, s[0:3], 0 offset:216
	buffer_load_dword v82, off, s[0:3], 0 offset:220
	v_cmp_lt_u32_e64 s[4:5], 27, v0
	s_waitcnt vmcnt(0)
	ds_write_b64 v84, v[81:82]
	s_waitcnt lgkmcnt(0)
	; wave barrier
	s_and_saveexec_b64 s[8:9], s[4:5]
	s_cbranch_execz .LBB39_116
; %bb.107:
	s_andn2_b64 vcc, exec, s[10:11]
	s_cbranch_vccnz .LBB39_109
; %bb.108:
	buffer_load_dword v81, v85, s[0:3], 0 offen
	buffer_load_dword v82, v85, s[0:3], 0 offen offset:4
	ds_read_b64 v[86:87], v84
	s_waitcnt vmcnt(0) lgkmcnt(0)
	v_mul_f64 v[81:82], v[81:82], v[86:87]
	s_cbranch_execz .LBB39_110
	s_branch .LBB39_111
.LBB39_109:
                                        ; implicit-def: $vgpr81_vgpr82
.LBB39_110:
	ds_read_b64 v[81:82], v84
.LBB39_111:
	s_and_saveexec_b64 s[12:13], s[6:7]
	s_cbranch_execz .LBB39_115
; %bb.112:
	v_subrev_u32_e32 v86, 28, v0
	s_movk_i32 s43, 0x220
	s_mov_b64 s[6:7], 0
.LBB39_113:                             ; =>This Inner Loop Header: Depth=1
	v_mov_b32_e32 v89, s42
	buffer_load_dword v87, v89, s[0:3], 0 offen
	buffer_load_dword v88, v89, s[0:3], 0 offen offset:4
	v_mov_b32_e32 v89, s43
	ds_read_b64 v[89:90], v89
	v_add_u32_e32 v86, -1, v86
	s_add_i32 s43, s43, 8
	s_add_i32 s42, s42, 8
	v_cmp_eq_u32_e32 vcc, 0, v86
	s_or_b64 s[6:7], vcc, s[6:7]
	s_waitcnt vmcnt(0) lgkmcnt(0)
	v_fma_f64 v[81:82], v[87:88], v[89:90], v[81:82]
	s_andn2_b64 exec, exec, s[6:7]
	s_cbranch_execnz .LBB39_113
; %bb.114:
	s_or_b64 exec, exec, s[6:7]
.LBB39_115:
	s_or_b64 exec, exec, s[12:13]
	v_mov_b32_e32 v86, 0
	ds_read_b64 v[86:87], v86 offset:216
	s_waitcnt lgkmcnt(0)
	v_mul_f64 v[81:82], v[81:82], v[86:87]
	buffer_store_dword v82, off, s[0:3], 0 offset:220
	buffer_store_dword v81, off, s[0:3], 0 offset:216
.LBB39_116:
	;; [unrolled: 58-line block ×13, first 2 shown]
	s_or_b64 exec, exec, s[8:9]
	buffer_load_dword v81, off, s[0:3], 0 offset:120
	buffer_load_dword v82, off, s[0:3], 0 offset:124
	v_cmp_lt_u32_e64 s[4:5], 15, v0
	s_waitcnt vmcnt(0)
	ds_write_b64 v84, v[81:82]
	s_waitcnt lgkmcnt(0)
	; wave barrier
	s_and_saveexec_b64 s[8:9], s[4:5]
	s_cbranch_execz .LBB39_236
; %bb.227:
	s_andn2_b64 vcc, exec, s[10:11]
	s_cbranch_vccnz .LBB39_229
; %bb.228:
	buffer_load_dword v81, v85, s[0:3], 0 offen
	buffer_load_dword v82, v85, s[0:3], 0 offen offset:4
	ds_read_b64 v[86:87], v84
	s_waitcnt vmcnt(0) lgkmcnt(0)
	v_mul_f64 v[81:82], v[81:82], v[86:87]
	s_cbranch_execz .LBB39_230
	s_branch .LBB39_231
.LBB39_229:
                                        ; implicit-def: $vgpr81_vgpr82
.LBB39_230:
	ds_read_b64 v[81:82], v84
.LBB39_231:
	s_and_saveexec_b64 s[12:13], s[6:7]
	s_cbranch_execz .LBB39_235
; %bb.232:
	v_add_u32_e32 v86, -16, v0
	s_movk_i32 s30, 0x1c0
	s_mov_b64 s[6:7], 0
.LBB39_233:                             ; =>This Inner Loop Header: Depth=1
	v_mov_b32_e32 v89, s29
	buffer_load_dword v87, v89, s[0:3], 0 offen
	buffer_load_dword v88, v89, s[0:3], 0 offen offset:4
	v_mov_b32_e32 v89, s30
	ds_read_b64 v[89:90], v89
	v_add_u32_e32 v86, -1, v86
	s_add_i32 s30, s30, 8
	s_add_i32 s29, s29, 8
	v_cmp_eq_u32_e32 vcc, 0, v86
	s_or_b64 s[6:7], vcc, s[6:7]
	s_waitcnt vmcnt(0) lgkmcnt(0)
	v_fma_f64 v[81:82], v[87:88], v[89:90], v[81:82]
	s_andn2_b64 exec, exec, s[6:7]
	s_cbranch_execnz .LBB39_233
; %bb.234:
	s_or_b64 exec, exec, s[6:7]
.LBB39_235:
	s_or_b64 exec, exec, s[12:13]
	v_mov_b32_e32 v86, 0
	ds_read_b64 v[86:87], v86 offset:120
	s_waitcnt lgkmcnt(0)
	v_mul_f64 v[81:82], v[81:82], v[86:87]
	buffer_store_dword v82, off, s[0:3], 0 offset:124
	buffer_store_dword v81, off, s[0:3], 0 offset:120
.LBB39_236:
	s_or_b64 exec, exec, s[8:9]
	buffer_load_dword v81, off, s[0:3], 0 offset:112
	buffer_load_dword v82, off, s[0:3], 0 offset:116
	v_cmp_lt_u32_e64 s[6:7], 14, v0
	s_waitcnt vmcnt(0)
	ds_write_b64 v84, v[81:82]
	s_waitcnt lgkmcnt(0)
	; wave barrier
	s_and_saveexec_b64 s[8:9], s[6:7]
	s_cbranch_execz .LBB39_246
; %bb.237:
	s_andn2_b64 vcc, exec, s[10:11]
	s_cbranch_vccnz .LBB39_239
; %bb.238:
	buffer_load_dword v81, v85, s[0:3], 0 offen
	buffer_load_dword v82, v85, s[0:3], 0 offen offset:4
	ds_read_b64 v[86:87], v84
	s_waitcnt vmcnt(0) lgkmcnt(0)
	v_mul_f64 v[81:82], v[81:82], v[86:87]
	s_cbranch_execz .LBB39_240
	s_branch .LBB39_241
.LBB39_239:
                                        ; implicit-def: $vgpr81_vgpr82
.LBB39_240:
	ds_read_b64 v[81:82], v84
.LBB39_241:
	s_and_saveexec_b64 s[12:13], s[4:5]
	s_cbranch_execz .LBB39_245
; %bb.242:
	v_add_u32_e32 v86, -15, v0
	s_movk_i32 s29, 0x1b8
	s_mov_b64 s[4:5], 0
.LBB39_243:                             ; =>This Inner Loop Header: Depth=1
	v_mov_b32_e32 v89, s28
	buffer_load_dword v87, v89, s[0:3], 0 offen
	buffer_load_dword v88, v89, s[0:3], 0 offen offset:4
	v_mov_b32_e32 v89, s29
	ds_read_b64 v[89:90], v89
	v_add_u32_e32 v86, -1, v86
	s_add_i32 s29, s29, 8
	s_add_i32 s28, s28, 8
	v_cmp_eq_u32_e32 vcc, 0, v86
	s_or_b64 s[4:5], vcc, s[4:5]
	s_waitcnt vmcnt(0) lgkmcnt(0)
	v_fma_f64 v[81:82], v[87:88], v[89:90], v[81:82]
	s_andn2_b64 exec, exec, s[4:5]
	s_cbranch_execnz .LBB39_243
; %bb.244:
	s_or_b64 exec, exec, s[4:5]
.LBB39_245:
	s_or_b64 exec, exec, s[12:13]
	v_mov_b32_e32 v86, 0
	ds_read_b64 v[86:87], v86 offset:112
	s_waitcnt lgkmcnt(0)
	v_mul_f64 v[81:82], v[81:82], v[86:87]
	buffer_store_dword v82, off, s[0:3], 0 offset:116
	buffer_store_dword v81, off, s[0:3], 0 offset:112
.LBB39_246:
	;; [unrolled: 58-line block ×15, first 2 shown]
	s_or_b64 exec, exec, s[8:9]
	buffer_load_dword v81, off, s[0:3], 0
	buffer_load_dword v82, off, s[0:3], 0 offset:4
	v_cmp_ne_u32_e32 vcc, 0, v0
	s_waitcnt vmcnt(0)
	ds_write_b64 v84, v[81:82]
	s_waitcnt lgkmcnt(0)
	; wave barrier
	s_and_saveexec_b64 s[6:7], vcc
	s_cbranch_execz .LBB39_386
; %bb.377:
	s_andn2_b64 vcc, exec, s[10:11]
	s_cbranch_vccnz .LBB39_379
; %bb.378:
	buffer_load_dword v81, v85, s[0:3], 0 offen
	buffer_load_dword v82, v85, s[0:3], 0 offen offset:4
	ds_read_b64 v[86:87], v84
	s_waitcnt vmcnt(0) lgkmcnt(0)
	v_mul_f64 v[81:82], v[81:82], v[86:87]
	s_cbranch_execz .LBB39_380
	s_branch .LBB39_381
.LBB39_379:
                                        ; implicit-def: $vgpr81_vgpr82
.LBB39_380:
	ds_read_b64 v[81:82], v84
.LBB39_381:
	s_and_saveexec_b64 s[8:9], s[4:5]
	s_cbranch_execz .LBB39_385
; %bb.382:
	v_add_u32_e32 v86, -1, v0
	s_movk_i32 s12, 0x148
	s_mov_b64 s[4:5], 0
.LBB39_383:                             ; =>This Inner Loop Header: Depth=1
	v_mov_b32_e32 v89, s14
	buffer_load_dword v87, v89, s[0:3], 0 offen
	buffer_load_dword v88, v89, s[0:3], 0 offen offset:4
	v_mov_b32_e32 v89, s12
	ds_read_b64 v[89:90], v89
	v_add_u32_e32 v86, -1, v86
	s_add_i32 s12, s12, 8
	s_add_i32 s14, s14, 8
	v_cmp_eq_u32_e32 vcc, 0, v86
	s_or_b64 s[4:5], vcc, s[4:5]
	s_waitcnt vmcnt(0) lgkmcnt(0)
	v_fma_f64 v[81:82], v[87:88], v[89:90], v[81:82]
	s_andn2_b64 exec, exec, s[4:5]
	s_cbranch_execnz .LBB39_383
; %bb.384:
	s_or_b64 exec, exec, s[4:5]
.LBB39_385:
	s_or_b64 exec, exec, s[8:9]
	v_mov_b32_e32 v86, 0
	ds_read_b64 v[86:87], v86
	s_waitcnt lgkmcnt(0)
	v_mul_f64 v[81:82], v[81:82], v[86:87]
	buffer_store_dword v82, off, s[0:3], 0 offset:4
	buffer_store_dword v81, off, s[0:3], 0
.LBB39_386:
	s_or_b64 exec, exec, s[6:7]
	s_mov_b64 s[4:5], 0
.LBB39_387:
	s_and_b64 vcc, exec, s[4:5]
	s_cbranch_vccz .LBB39_769
; %bb.388:
	buffer_load_dword v81, off, s[0:3], 0 offset:8
	buffer_load_dword v82, off, s[0:3], 0 offset:12
	v_cmp_eq_u32_e64 s[6:7], 0, v0
	s_waitcnt vmcnt(0)
	ds_write_b64 v84, v[81:82]
	s_waitcnt lgkmcnt(0)
	; wave barrier
	s_and_saveexec_b64 s[4:5], s[6:7]
	s_cbranch_execz .LBB39_394
; %bb.389:
	s_and_b64 vcc, exec, s[10:11]
	s_cbranch_vccz .LBB39_391
; %bb.390:
	buffer_load_dword v81, v85, s[0:3], 0 offen
	buffer_load_dword v82, v85, s[0:3], 0 offen offset:4
	ds_read_b64 v[86:87], v84
	s_waitcnt vmcnt(0) lgkmcnt(0)
	v_mul_f64 v[81:82], v[81:82], v[86:87]
	s_cbranch_execz .LBB39_392
	s_branch .LBB39_393
.LBB39_391:
                                        ; implicit-def: $vgpr81_vgpr82
.LBB39_392:
	ds_read_b64 v[81:82], v84
.LBB39_393:
	v_mov_b32_e32 v86, 0
	ds_read_b64 v[86:87], v86 offset:8
	s_waitcnt lgkmcnt(0)
	v_mul_f64 v[81:82], v[81:82], v[86:87]
	buffer_store_dword v82, off, s[0:3], 0 offset:12
	buffer_store_dword v81, off, s[0:3], 0 offset:8
.LBB39_394:
	s_or_b64 exec, exec, s[4:5]
	buffer_load_dword v81, off, s[0:3], 0 offset:16
	buffer_load_dword v82, off, s[0:3], 0 offset:20
	v_cndmask_b32_e64 v86, 0, 1, s[10:11]
	v_cmp_gt_u32_e32 vcc, 2, v0
	v_cmp_ne_u32_e64 s[4:5], 1, v86
	s_waitcnt vmcnt(0)
	ds_write_b64 v84, v[81:82]
	s_waitcnt lgkmcnt(0)
	; wave barrier
	s_and_saveexec_b64 s[8:9], vcc
	s_cbranch_execz .LBB39_400
; %bb.395:
	s_and_b64 vcc, exec, s[4:5]
	s_cbranch_vccnz .LBB39_397
; %bb.396:
	buffer_load_dword v81, v85, s[0:3], 0 offen
	buffer_load_dword v82, v85, s[0:3], 0 offen offset:4
	ds_read_b64 v[86:87], v84
	s_waitcnt vmcnt(0) lgkmcnt(0)
	v_mul_f64 v[81:82], v[81:82], v[86:87]
	s_cbranch_execz .LBB39_398
	s_branch .LBB39_399
.LBB39_397:
                                        ; implicit-def: $vgpr81_vgpr82
.LBB39_398:
	ds_read_b64 v[81:82], v84
.LBB39_399:
	buffer_load_dword v90, off, s[0:3], 0 offset:8
	buffer_load_dword v91, off, s[0:3], 0 offset:12
	v_mov_b32_e32 v86, 0
	ds_read2_b64 v[86:89], v86 offset0:2 offset1:41
	s_waitcnt vmcnt(0) lgkmcnt(0)
	v_fma_f64 v[88:89], v[90:91], v[88:89], v[81:82]
	v_cndmask_b32_e64 v82, v82, v89, s[6:7]
	v_cndmask_b32_e64 v81, v81, v88, s[6:7]
	v_mul_f64 v[81:82], v[81:82], v[86:87]
	buffer_store_dword v82, off, s[0:3], 0 offset:20
	buffer_store_dword v81, off, s[0:3], 0 offset:16
.LBB39_400:
	s_or_b64 exec, exec, s[8:9]
	buffer_load_dword v81, off, s[0:3], 0 offset:24
	buffer_load_dword v82, off, s[0:3], 0 offset:28
	v_cmp_gt_u32_e32 vcc, 3, v0
	s_waitcnt vmcnt(0)
	ds_write_b64 v84, v[81:82]
	s_waitcnt lgkmcnt(0)
	; wave barrier
	s_and_saveexec_b64 s[8:9], vcc
	s_cbranch_execz .LBB39_408
; %bb.401:
	s_and_b64 vcc, exec, s[4:5]
	s_cbranch_vccnz .LBB39_403
; %bb.402:
	buffer_load_dword v81, v85, s[0:3], 0 offen
	buffer_load_dword v82, v85, s[0:3], 0 offen offset:4
	ds_read_b64 v[86:87], v84
	s_waitcnt vmcnt(0) lgkmcnt(0)
	v_mul_f64 v[81:82], v[81:82], v[86:87]
	s_cbranch_execz .LBB39_404
	s_branch .LBB39_405
.LBB39_403:
                                        ; implicit-def: $vgpr81_vgpr82
.LBB39_404:
	ds_read_b64 v[81:82], v84
.LBB39_405:
	v_cmp_ne_u32_e32 vcc, 2, v0
	s_and_saveexec_b64 s[10:11], vcc
	s_cbranch_execz .LBB39_407
; %bb.406:
	buffer_load_dword v86, v85, s[0:3], 0 offen offset:8
	buffer_load_dword v87, v85, s[0:3], 0 offen offset:12
	buffer_load_dword v88, off, s[0:3], 0 offset:16
	buffer_load_dword v89, off, s[0:3], 0 offset:20
	ds_read_b64 v[90:91], v84 offset:8
	v_mov_b32_e32 v92, 0
	ds_read_b64 v[92:93], v92 offset:336
	s_waitcnt vmcnt(2) lgkmcnt(1)
	v_fma_f64 v[81:82], v[86:87], v[90:91], v[81:82]
	s_waitcnt vmcnt(0) lgkmcnt(0)
	v_fma_f64 v[86:87], v[88:89], v[92:93], v[81:82]
	v_cndmask_b32_e64 v82, v82, v87, s[6:7]
	v_cndmask_b32_e64 v81, v81, v86, s[6:7]
.LBB39_407:
	s_or_b64 exec, exec, s[10:11]
	v_mov_b32_e32 v86, 0
	ds_read_b64 v[86:87], v86 offset:24
	s_waitcnt lgkmcnt(0)
	v_mul_f64 v[81:82], v[81:82], v[86:87]
	buffer_store_dword v82, off, s[0:3], 0 offset:28
	buffer_store_dword v81, off, s[0:3], 0 offset:24
.LBB39_408:
	s_or_b64 exec, exec, s[8:9]
	buffer_load_dword v81, off, s[0:3], 0 offset:32
	buffer_load_dword v82, off, s[0:3], 0 offset:36
	v_cmp_gt_u32_e32 vcc, 4, v0
	s_waitcnt vmcnt(0)
	ds_write_b64 v84, v[81:82]
	s_waitcnt lgkmcnt(0)
	; wave barrier
	s_and_saveexec_b64 s[6:7], vcc
	s_cbranch_execz .LBB39_418
; %bb.409:
	s_and_b64 vcc, exec, s[4:5]
	s_cbranch_vccnz .LBB39_411
; %bb.410:
	buffer_load_dword v81, v85, s[0:3], 0 offen
	buffer_load_dword v82, v85, s[0:3], 0 offen offset:4
	ds_read_b64 v[86:87], v84
	s_waitcnt vmcnt(0) lgkmcnt(0)
	v_mul_f64 v[81:82], v[81:82], v[86:87]
	s_cbranch_execz .LBB39_412
	s_branch .LBB39_413
.LBB39_411:
                                        ; implicit-def: $vgpr81_vgpr82
.LBB39_412:
	ds_read_b64 v[81:82], v84
.LBB39_413:
	v_cmp_ne_u32_e32 vcc, 3, v0
	s_and_saveexec_b64 s[8:9], vcc
	s_cbranch_execz .LBB39_417
; %bb.414:
	s_mov_b32 s10, 0
	v_add_u32_e32 v86, 0x148, v83
	v_add3_u32 v87, v83, s10, 8
	s_mov_b64 s[10:11], 0
	v_mov_b32_e32 v88, v0
.LBB39_415:                             ; =>This Inner Loop Header: Depth=1
	buffer_load_dword v89, v87, s[0:3], 0 offen
	buffer_load_dword v90, v87, s[0:3], 0 offen offset:4
	ds_read_b64 v[91:92], v86
	v_add_u32_e32 v88, 1, v88
	v_cmp_lt_u32_e32 vcc, 2, v88
	v_add_u32_e32 v86, 8, v86
	s_or_b64 s[10:11], vcc, s[10:11]
	v_add_u32_e32 v87, 8, v87
	s_waitcnt vmcnt(0) lgkmcnt(0)
	v_fma_f64 v[81:82], v[89:90], v[91:92], v[81:82]
	s_andn2_b64 exec, exec, s[10:11]
	s_cbranch_execnz .LBB39_415
; %bb.416:
	s_or_b64 exec, exec, s[10:11]
.LBB39_417:
	s_or_b64 exec, exec, s[8:9]
	v_mov_b32_e32 v86, 0
	ds_read_b64 v[86:87], v86 offset:32
	s_waitcnt lgkmcnt(0)
	v_mul_f64 v[81:82], v[81:82], v[86:87]
	buffer_store_dword v82, off, s[0:3], 0 offset:36
	buffer_store_dword v81, off, s[0:3], 0 offset:32
.LBB39_418:
	s_or_b64 exec, exec, s[6:7]
	buffer_load_dword v81, off, s[0:3], 0 offset:40
	buffer_load_dword v82, off, s[0:3], 0 offset:44
	v_cmp_gt_u32_e32 vcc, 5, v0
	s_waitcnt vmcnt(0)
	ds_write_b64 v84, v[81:82]
	s_waitcnt lgkmcnt(0)
	; wave barrier
	s_and_saveexec_b64 s[6:7], vcc
	s_cbranch_execz .LBB39_428
; %bb.419:
	s_and_b64 vcc, exec, s[4:5]
	s_cbranch_vccnz .LBB39_421
; %bb.420:
	buffer_load_dword v81, v85, s[0:3], 0 offen
	buffer_load_dword v82, v85, s[0:3], 0 offen offset:4
	ds_read_b64 v[86:87], v84
	s_waitcnt vmcnt(0) lgkmcnt(0)
	v_mul_f64 v[81:82], v[81:82], v[86:87]
	s_cbranch_execz .LBB39_422
	s_branch .LBB39_423
.LBB39_421:
                                        ; implicit-def: $vgpr81_vgpr82
.LBB39_422:
	ds_read_b64 v[81:82], v84
.LBB39_423:
	v_cmp_ne_u32_e32 vcc, 4, v0
	s_and_saveexec_b64 s[8:9], vcc
	s_cbranch_execz .LBB39_427
; %bb.424:
	s_mov_b32 s10, 0
	v_add_u32_e32 v86, 0x148, v83
	v_add3_u32 v87, v83, s10, 8
	s_mov_b64 s[10:11], 0
	v_mov_b32_e32 v88, v0
.LBB39_425:                             ; =>This Inner Loop Header: Depth=1
	buffer_load_dword v89, v87, s[0:3], 0 offen
	buffer_load_dword v90, v87, s[0:3], 0 offen offset:4
	ds_read_b64 v[91:92], v86
	v_add_u32_e32 v88, 1, v88
	v_cmp_lt_u32_e32 vcc, 3, v88
	v_add_u32_e32 v86, 8, v86
	s_or_b64 s[10:11], vcc, s[10:11]
	v_add_u32_e32 v87, 8, v87
	s_waitcnt vmcnt(0) lgkmcnt(0)
	v_fma_f64 v[81:82], v[89:90], v[91:92], v[81:82]
	s_andn2_b64 exec, exec, s[10:11]
	s_cbranch_execnz .LBB39_425
; %bb.426:
	s_or_b64 exec, exec, s[10:11]
.LBB39_427:
	s_or_b64 exec, exec, s[8:9]
	v_mov_b32_e32 v86, 0
	ds_read_b64 v[86:87], v86 offset:40
	s_waitcnt lgkmcnt(0)
	v_mul_f64 v[81:82], v[81:82], v[86:87]
	buffer_store_dword v82, off, s[0:3], 0 offset:44
	buffer_store_dword v81, off, s[0:3], 0 offset:40
.LBB39_428:
	;; [unrolled: 59-line block ×34, first 2 shown]
	s_or_b64 exec, exec, s[6:7]
	buffer_load_dword v81, off, s[0:3], 0 offset:304
	buffer_load_dword v82, off, s[0:3], 0 offset:308
	v_cmp_gt_u32_e64 s[6:7], 38, v0
	s_waitcnt vmcnt(0)
	ds_write_b64 v84, v[81:82]
	s_waitcnt lgkmcnt(0)
	; wave barrier
	s_and_saveexec_b64 s[8:9], s[6:7]
	s_cbranch_execz .LBB39_758
; %bb.749:
	s_and_b64 vcc, exec, s[4:5]
	s_cbranch_vccnz .LBB39_751
; %bb.750:
	buffer_load_dword v81, v85, s[0:3], 0 offen
	buffer_load_dword v82, v85, s[0:3], 0 offen offset:4
	ds_read_b64 v[86:87], v84
	s_waitcnt vmcnt(0) lgkmcnt(0)
	v_mul_f64 v[81:82], v[81:82], v[86:87]
	s_cbranch_execz .LBB39_752
	s_branch .LBB39_753
.LBB39_751:
                                        ; implicit-def: $vgpr81_vgpr82
.LBB39_752:
	ds_read_b64 v[81:82], v84
.LBB39_753:
	v_cmp_ne_u32_e32 vcc, 37, v0
	s_and_saveexec_b64 s[10:11], vcc
	s_cbranch_execz .LBB39_757
; %bb.754:
	s_mov_b32 s12, 0
	v_add_u32_e32 v86, 0x148, v83
	v_add3_u32 v87, v83, s12, 8
	s_mov_b64 s[12:13], 0
	v_mov_b32_e32 v88, v0
.LBB39_755:                             ; =>This Inner Loop Header: Depth=1
	buffer_load_dword v89, v87, s[0:3], 0 offen
	buffer_load_dword v90, v87, s[0:3], 0 offen offset:4
	ds_read_b64 v[91:92], v86
	v_add_u32_e32 v88, 1, v88
	v_cmp_lt_u32_e32 vcc, 36, v88
	v_add_u32_e32 v86, 8, v86
	s_or_b64 s[12:13], vcc, s[12:13]
	v_add_u32_e32 v87, 8, v87
	s_waitcnt vmcnt(0) lgkmcnt(0)
	v_fma_f64 v[81:82], v[89:90], v[91:92], v[81:82]
	s_andn2_b64 exec, exec, s[12:13]
	s_cbranch_execnz .LBB39_755
; %bb.756:
	s_or_b64 exec, exec, s[12:13]
.LBB39_757:
	s_or_b64 exec, exec, s[10:11]
	v_mov_b32_e32 v86, 0
	ds_read_b64 v[86:87], v86 offset:304
	s_waitcnt lgkmcnt(0)
	v_mul_f64 v[81:82], v[81:82], v[86:87]
	buffer_store_dword v82, off, s[0:3], 0 offset:308
	buffer_store_dword v81, off, s[0:3], 0 offset:304
.LBB39_758:
	s_or_b64 exec, exec, s[8:9]
	buffer_load_dword v81, off, s[0:3], 0 offset:312
	buffer_load_dword v82, off, s[0:3], 0 offset:316
	v_cmp_ne_u32_e32 vcc, 39, v0
	s_waitcnt vmcnt(0)
	ds_write_b64 v84, v[81:82]
	s_waitcnt lgkmcnt(0)
	; wave barrier
	s_and_saveexec_b64 s[8:9], vcc
	s_cbranch_execz .LBB39_768
; %bb.759:
	s_and_b64 vcc, exec, s[4:5]
	s_cbranch_vccnz .LBB39_761
; %bb.760:
	buffer_load_dword v81, v85, s[0:3], 0 offen
	buffer_load_dword v82, v85, s[0:3], 0 offen offset:4
	ds_read_b64 v[85:86], v84
	s_waitcnt vmcnt(0) lgkmcnt(0)
	v_mul_f64 v[81:82], v[81:82], v[85:86]
	s_cbranch_execz .LBB39_762
	s_branch .LBB39_763
.LBB39_761:
                                        ; implicit-def: $vgpr81_vgpr82
.LBB39_762:
	ds_read_b64 v[81:82], v84
.LBB39_763:
	s_and_saveexec_b64 s[4:5], s[6:7]
	s_cbranch_execz .LBB39_767
; %bb.764:
	s_mov_b32 s6, 0
	v_add_u32_e32 v84, 0x148, v83
	v_add3_u32 v83, v83, s6, 8
	s_mov_b64 s[6:7], 0
.LBB39_765:                             ; =>This Inner Loop Header: Depth=1
	buffer_load_dword v85, v83, s[0:3], 0 offen
	buffer_load_dword v86, v83, s[0:3], 0 offen offset:4
	ds_read_b64 v[87:88], v84
	v_add_u32_e32 v0, 1, v0
	v_cmp_lt_u32_e32 vcc, 37, v0
	v_add_u32_e32 v84, 8, v84
	s_or_b64 s[6:7], vcc, s[6:7]
	v_add_u32_e32 v83, 8, v83
	s_waitcnt vmcnt(0) lgkmcnt(0)
	v_fma_f64 v[81:82], v[85:86], v[87:88], v[81:82]
	s_andn2_b64 exec, exec, s[6:7]
	s_cbranch_execnz .LBB39_765
; %bb.766:
	s_or_b64 exec, exec, s[6:7]
.LBB39_767:
	s_or_b64 exec, exec, s[4:5]
	v_mov_b32_e32 v0, 0
	ds_read_b64 v[83:84], v0 offset:312
	s_waitcnt lgkmcnt(0)
	v_mul_f64 v[81:82], v[81:82], v[83:84]
	buffer_store_dword v82, off, s[0:3], 0 offset:316
	buffer_store_dword v81, off, s[0:3], 0 offset:312
.LBB39_768:
	s_or_b64 exec, exec, s[8:9]
.LBB39_769:
	buffer_load_dword v81, off, s[0:3], 0
	buffer_load_dword v82, off, s[0:3], 0 offset:4
	buffer_load_dword v83, off, s[0:3], 0 offset:8
	;; [unrolled: 1-line block ×39, first 2 shown]
	s_waitcnt vmcnt(38)
	global_store_dwordx2 v[3:4], v[81:82], off
	buffer_load_dword v3, off, s[0:3], 0 offset:160
	s_nop 0
	buffer_load_dword v4, off, s[0:3], 0 offset:164
	buffer_load_dword v81, off, s[0:3], 0 offset:168
	;; [unrolled: 1-line block ×7, first 2 shown]
	s_waitcnt vmcnt(45)
	global_store_dwordx2 v[1:2], v[83:84], off
	s_waitcnt vmcnt(44)
	global_store_dwordx2 v[7:8], v[85:86], off
	buffer_load_dword v0, off, s[0:3], 0 offset:192
	buffer_load_dword v1, off, s[0:3], 0 offset:196
	s_nop 0
	buffer_load_dword v7, off, s[0:3], 0 offset:200
	buffer_load_dword v8, off, s[0:3], 0 offset:204
	buffer_load_dword v83, off, s[0:3], 0 offset:208
	buffer_load_dword v84, off, s[0:3], 0 offset:212
	buffer_load_dword v85, off, s[0:3], 0 offset:216
	buffer_load_dword v86, off, s[0:3], 0 offset:220
	s_waitcnt vmcnt(51)
	global_store_dwordx2 v[5:6], v[87:88], off
	s_waitcnt vmcnt(50)
	global_store_dwordx2 v[9:10], v[89:90], off
	buffer_load_dword v5, off, s[0:3], 0 offset:224
	buffer_load_dword v6, off, s[0:3], 0 offset:228
	s_nop 0
	buffer_load_dword v9, off, s[0:3], 0 offset:232
	buffer_load_dword v10, off, s[0:3], 0 offset:236
	buffer_load_dword v87, off, s[0:3], 0 offset:240
	buffer_load_dword v88, off, s[0:3], 0 offset:244
	buffer_load_dword v89, off, s[0:3], 0 offset:248
	buffer_load_dword v90, off, s[0:3], 0 offset:252
	;; [unrolled: 13-line block ×4, first 2 shown]
	s_nop 0
	global_store_dwordx2 v[19:20], v[99:100], off
	global_store_dwordx2 v[21:22], v[101:102], off
	;; [unrolled: 1-line block ×3, first 2 shown]
	s_waitcnt vmcnt(62)
	global_store_dwordx2 v[25:26], v[105:106], off
	global_store_dwordx2 v[27:28], v[107:108], off
	global_store_dwordx2 v[29:30], v[109:110], off
	s_waitcnt vmcnt(62)
	global_store_dwordx2 v[31:32], v[111:112], off
	s_waitcnt vmcnt(62)
	global_store_dwordx2 v[33:34], v[113:114], off
	;; [unrolled: 2-line block ×25, first 2 shown]
.LBB39_770:
	s_endpgm
	.section	.rodata,"a",@progbits
	.p2align	6, 0x0
	.amdhsa_kernel _ZN9rocsolver6v33100L18trti2_kernel_smallILi40EdPdEEv13rocblas_fill_17rocblas_diagonal_T1_iil
		.amdhsa_group_segment_fixed_size 640
		.amdhsa_private_segment_fixed_size 336
		.amdhsa_kernarg_size 32
		.amdhsa_user_sgpr_count 6
		.amdhsa_user_sgpr_private_segment_buffer 1
		.amdhsa_user_sgpr_dispatch_ptr 0
		.amdhsa_user_sgpr_queue_ptr 0
		.amdhsa_user_sgpr_kernarg_segment_ptr 1
		.amdhsa_user_sgpr_dispatch_id 0
		.amdhsa_user_sgpr_flat_scratch_init 0
		.amdhsa_user_sgpr_private_segment_size 0
		.amdhsa_uses_dynamic_stack 0
		.amdhsa_system_sgpr_private_segment_wavefront_offset 1
		.amdhsa_system_sgpr_workgroup_id_x 1
		.amdhsa_system_sgpr_workgroup_id_y 0
		.amdhsa_system_sgpr_workgroup_id_z 0
		.amdhsa_system_sgpr_workgroup_info 0
		.amdhsa_system_vgpr_workitem_id 0
		.amdhsa_next_free_vgpr 126
		.amdhsa_next_free_sgpr 53
		.amdhsa_reserve_vcc 1
		.amdhsa_reserve_flat_scratch 0
		.amdhsa_float_round_mode_32 0
		.amdhsa_float_round_mode_16_64 0
		.amdhsa_float_denorm_mode_32 3
		.amdhsa_float_denorm_mode_16_64 3
		.amdhsa_dx10_clamp 1
		.amdhsa_ieee_mode 1
		.amdhsa_fp16_overflow 0
		.amdhsa_exception_fp_ieee_invalid_op 0
		.amdhsa_exception_fp_denorm_src 0
		.amdhsa_exception_fp_ieee_div_zero 0
		.amdhsa_exception_fp_ieee_overflow 0
		.amdhsa_exception_fp_ieee_underflow 0
		.amdhsa_exception_fp_ieee_inexact 0
		.amdhsa_exception_int_div_zero 0
	.end_amdhsa_kernel
	.section	.text._ZN9rocsolver6v33100L18trti2_kernel_smallILi40EdPdEEv13rocblas_fill_17rocblas_diagonal_T1_iil,"axG",@progbits,_ZN9rocsolver6v33100L18trti2_kernel_smallILi40EdPdEEv13rocblas_fill_17rocblas_diagonal_T1_iil,comdat
.Lfunc_end39:
	.size	_ZN9rocsolver6v33100L18trti2_kernel_smallILi40EdPdEEv13rocblas_fill_17rocblas_diagonal_T1_iil, .Lfunc_end39-_ZN9rocsolver6v33100L18trti2_kernel_smallILi40EdPdEEv13rocblas_fill_17rocblas_diagonal_T1_iil
                                        ; -- End function
	.set _ZN9rocsolver6v33100L18trti2_kernel_smallILi40EdPdEEv13rocblas_fill_17rocblas_diagonal_T1_iil.num_vgpr, 126
	.set _ZN9rocsolver6v33100L18trti2_kernel_smallILi40EdPdEEv13rocblas_fill_17rocblas_diagonal_T1_iil.num_agpr, 0
	.set _ZN9rocsolver6v33100L18trti2_kernel_smallILi40EdPdEEv13rocblas_fill_17rocblas_diagonal_T1_iil.numbered_sgpr, 53
	.set _ZN9rocsolver6v33100L18trti2_kernel_smallILi40EdPdEEv13rocblas_fill_17rocblas_diagonal_T1_iil.num_named_barrier, 0
	.set _ZN9rocsolver6v33100L18trti2_kernel_smallILi40EdPdEEv13rocblas_fill_17rocblas_diagonal_T1_iil.private_seg_size, 336
	.set _ZN9rocsolver6v33100L18trti2_kernel_smallILi40EdPdEEv13rocblas_fill_17rocblas_diagonal_T1_iil.uses_vcc, 1
	.set _ZN9rocsolver6v33100L18trti2_kernel_smallILi40EdPdEEv13rocblas_fill_17rocblas_diagonal_T1_iil.uses_flat_scratch, 0
	.set _ZN9rocsolver6v33100L18trti2_kernel_smallILi40EdPdEEv13rocblas_fill_17rocblas_diagonal_T1_iil.has_dyn_sized_stack, 0
	.set _ZN9rocsolver6v33100L18trti2_kernel_smallILi40EdPdEEv13rocblas_fill_17rocblas_diagonal_T1_iil.has_recursion, 0
	.set _ZN9rocsolver6v33100L18trti2_kernel_smallILi40EdPdEEv13rocblas_fill_17rocblas_diagonal_T1_iil.has_indirect_call, 0
	.section	.AMDGPU.csdata,"",@progbits
; Kernel info:
; codeLenInByte = 23448
; TotalNumSgprs: 57
; NumVgprs: 126
; ScratchSize: 336
; MemoryBound: 0
; FloatMode: 240
; IeeeMode: 1
; LDSByteSize: 640 bytes/workgroup (compile time only)
; SGPRBlocks: 7
; VGPRBlocks: 31
; NumSGPRsForWavesPerEU: 57
; NumVGPRsForWavesPerEU: 126
; Occupancy: 2
; WaveLimiterHint : 0
; COMPUTE_PGM_RSRC2:SCRATCH_EN: 1
; COMPUTE_PGM_RSRC2:USER_SGPR: 6
; COMPUTE_PGM_RSRC2:TRAP_HANDLER: 0
; COMPUTE_PGM_RSRC2:TGID_X_EN: 1
; COMPUTE_PGM_RSRC2:TGID_Y_EN: 0
; COMPUTE_PGM_RSRC2:TGID_Z_EN: 0
; COMPUTE_PGM_RSRC2:TIDIG_COMP_CNT: 0
	.section	.text._ZN9rocsolver6v33100L18trti2_kernel_smallILi41EdPdEEv13rocblas_fill_17rocblas_diagonal_T1_iil,"axG",@progbits,_ZN9rocsolver6v33100L18trti2_kernel_smallILi41EdPdEEv13rocblas_fill_17rocblas_diagonal_T1_iil,comdat
	.globl	_ZN9rocsolver6v33100L18trti2_kernel_smallILi41EdPdEEv13rocblas_fill_17rocblas_diagonal_T1_iil ; -- Begin function _ZN9rocsolver6v33100L18trti2_kernel_smallILi41EdPdEEv13rocblas_fill_17rocblas_diagonal_T1_iil
	.p2align	8
	.type	_ZN9rocsolver6v33100L18trti2_kernel_smallILi41EdPdEEv13rocblas_fill_17rocblas_diagonal_T1_iil,@function
_ZN9rocsolver6v33100L18trti2_kernel_smallILi41EdPdEEv13rocblas_fill_17rocblas_diagonal_T1_iil: ; @_ZN9rocsolver6v33100L18trti2_kernel_smallILi41EdPdEEv13rocblas_fill_17rocblas_diagonal_T1_iil
; %bb.0:
	s_add_u32 s0, s0, s7
	s_addc_u32 s1, s1, 0
	v_cmp_gt_u32_e32 vcc, 41, v0
	s_and_saveexec_b64 s[8:9], vcc
	s_cbranch_execz .LBB40_790
; %bb.1:
	s_load_dwordx8 s[8:15], s[4:5], 0x0
	s_ashr_i32 s7, s6, 31
	v_lshlrev_b32_e32 v85, 3, v0
	s_waitcnt lgkmcnt(0)
	s_ashr_i32 s5, s12, 31
	s_mov_b32 s4, s12
	s_mul_hi_u32 s12, s14, s6
	s_mul_i32 s7, s14, s7
	s_add_i32 s7, s12, s7
	s_mul_i32 s12, s15, s6
	s_add_i32 s7, s7, s12
	s_mul_i32 s6, s14, s6
	s_lshl_b64 s[6:7], s[6:7], 3
	s_add_u32 s6, s10, s6
	s_addc_u32 s7, s11, s7
	s_lshl_b64 s[4:5], s[4:5], 3
	s_add_u32 s4, s6, s4
	s_addc_u32 s5, s7, s5
	s_add_i32 s6, s13, s13
	v_add_u32_e32 v3, s6, v0
	v_ashrrev_i32_e32 v4, 31, v3
	v_lshlrev_b64 v[1:2], 3, v[3:4]
	v_mov_b32_e32 v4, s5
	v_add_co_u32_e32 v1, vcc, s4, v1
	v_add_u32_e32 v3, s13, v3
	v_addc_co_u32_e32 v2, vcc, v4, v2, vcc
	v_ashrrev_i32_e32 v4, 31, v3
	v_lshlrev_b64 v[4:5], 3, v[3:4]
	v_mov_b32_e32 v6, s5
	v_add_co_u32_e32 v7, vcc, s4, v4
	v_addc_co_u32_e32 v8, vcc, v6, v5, vcc
	v_add_u32_e32 v5, s13, v3
	v_ashrrev_i32_e32 v6, 31, v5
	v_lshlrev_b64 v[3:4], 3, v[5:6]
	v_mov_b32_e32 v6, s5
	v_add_co_u32_e32 v3, vcc, s4, v3
	v_add_u32_e32 v5, s13, v5
	v_addc_co_u32_e32 v4, vcc, v6, v4, vcc
	v_ashrrev_i32_e32 v6, 31, v5
	v_lshlrev_b64 v[9:10], 3, v[5:6]
	v_add_u32_e32 v11, s13, v5
	v_mov_b32_e32 v6, s5
	v_add_co_u32_e32 v9, vcc, s4, v9
	v_ashrrev_i32_e32 v12, 31, v11
	v_addc_co_u32_e32 v10, vcc, v6, v10, vcc
	v_lshlrev_b64 v[5:6], 3, v[11:12]
	v_mov_b32_e32 v12, s5
	v_add_co_u32_e32 v5, vcc, s4, v5
	v_add_u32_e32 v11, s13, v11
	v_addc_co_u32_e32 v6, vcc, v12, v6, vcc
	v_ashrrev_i32_e32 v12, 31, v11
	v_lshlrev_b64 v[13:14], 3, v[11:12]
	v_mov_b32_e32 v12, s5
	v_add_co_u32_e32 v13, vcc, s4, v13
	v_add_u32_e32 v11, s13, v11
	v_addc_co_u32_e32 v14, vcc, v12, v14, vcc
	v_ashrrev_i32_e32 v12, 31, v11
	;; [unrolled: 6-line block ×4, first 2 shown]
	v_lshlrev_b64 v[11:12], 3, v[15:16]
	v_mov_b32_e32 v19, s5
	v_add_co_u32_e32 v11, vcc, s4, v11
	v_addc_co_u32_e32 v12, vcc, v19, v12, vcc
	v_add_u32_e32 v19, s13, v15
	v_ashrrev_i32_e32 v20, 31, v19
	v_lshlrev_b64 v[15:16], 3, v[19:20]
	v_mov_b32_e32 v23, s5
	v_add_co_u32_e32 v15, vcc, s4, v15
	v_addc_co_u32_e32 v16, vcc, v23, v16, vcc
	v_add_u32_e32 v23, s13, v19
	v_ashrrev_i32_e32 v24, 31, v23
	v_lshlrev_b64 v[19:20], 3, v[23:24]
	v_mov_b32_e32 v25, s5
	v_add_co_u32_e32 v19, vcc, s4, v19
	v_addc_co_u32_e32 v20, vcc, v25, v20, vcc
	v_add_u32_e32 v25, s13, v23
	v_ashrrev_i32_e32 v26, 31, v25
	v_lshlrev_b64 v[23:24], 3, v[25:26]
	v_mov_b32_e32 v27, s5
	v_add_co_u32_e32 v23, vcc, s4, v23
	v_addc_co_u32_e32 v24, vcc, v27, v24, vcc
	v_add_u32_e32 v27, s13, v25
	v_ashrrev_i32_e32 v28, 31, v27
	v_lshlrev_b64 v[25:26], 3, v[27:28]
	v_mov_b32_e32 v29, s5
	v_add_co_u32_e32 v25, vcc, s4, v25
	v_addc_co_u32_e32 v26, vcc, v29, v26, vcc
	v_add_u32_e32 v29, s13, v27
	v_ashrrev_i32_e32 v30, 31, v29
	v_lshlrev_b64 v[27:28], 3, v[29:30]
	v_mov_b32_e32 v31, s5
	v_add_co_u32_e32 v27, vcc, s4, v27
	v_addc_co_u32_e32 v28, vcc, v31, v28, vcc
	v_add_u32_e32 v31, s13, v29
	v_ashrrev_i32_e32 v32, 31, v31
	v_lshlrev_b64 v[29:30], 3, v[31:32]
	v_mov_b32_e32 v33, s5
	v_add_co_u32_e32 v29, vcc, s4, v29
	v_addc_co_u32_e32 v30, vcc, v33, v30, vcc
	v_add_u32_e32 v33, s13, v31
	v_ashrrev_i32_e32 v34, 31, v33
	v_lshlrev_b64 v[31:32], 3, v[33:34]
	v_mov_b32_e32 v35, s5
	v_add_co_u32_e32 v31, vcc, s4, v31
	v_addc_co_u32_e32 v32, vcc, v35, v32, vcc
	v_add_u32_e32 v35, s13, v33
	v_ashrrev_i32_e32 v36, 31, v35
	v_lshlrev_b64 v[33:34], 3, v[35:36]
	v_mov_b32_e32 v37, s5
	v_add_co_u32_e32 v33, vcc, s4, v33
	v_addc_co_u32_e32 v34, vcc, v37, v34, vcc
	v_add_u32_e32 v37, s13, v35
	v_ashrrev_i32_e32 v38, 31, v37
	v_lshlrev_b64 v[35:36], 3, v[37:38]
	v_mov_b32_e32 v39, s5
	v_add_co_u32_e32 v35, vcc, s4, v35
	v_addc_co_u32_e32 v36, vcc, v39, v36, vcc
	v_add_u32_e32 v39, s13, v37
	v_ashrrev_i32_e32 v40, 31, v39
	v_lshlrev_b64 v[37:38], 3, v[39:40]
	v_mov_b32_e32 v41, s5
	v_add_co_u32_e32 v37, vcc, s4, v37
	v_addc_co_u32_e32 v38, vcc, v41, v38, vcc
	v_add_u32_e32 v41, s13, v39
	v_ashrrev_i32_e32 v42, 31, v41
	v_lshlrev_b64 v[39:40], 3, v[41:42]
	v_mov_b32_e32 v43, s5
	v_add_co_u32_e32 v39, vcc, s4, v39
	v_addc_co_u32_e32 v40, vcc, v43, v40, vcc
	v_add_u32_e32 v43, s13, v41
	v_ashrrev_i32_e32 v44, 31, v43
	v_lshlrev_b64 v[41:42], 3, v[43:44]
	v_mov_b32_e32 v45, s5
	v_add_co_u32_e32 v41, vcc, s4, v41
	v_addc_co_u32_e32 v42, vcc, v45, v42, vcc
	v_add_u32_e32 v45, s13, v43
	v_ashrrev_i32_e32 v46, 31, v45
	v_lshlrev_b64 v[43:44], 3, v[45:46]
	v_mov_b32_e32 v47, s5
	v_add_co_u32_e32 v43, vcc, s4, v43
	v_addc_co_u32_e32 v44, vcc, v47, v44, vcc
	v_add_u32_e32 v47, s13, v45
	v_ashrrev_i32_e32 v48, 31, v47
	v_lshlrev_b64 v[45:46], 3, v[47:48]
	v_mov_b32_e32 v49, s5
	v_add_co_u32_e32 v45, vcc, s4, v45
	v_addc_co_u32_e32 v46, vcc, v49, v46, vcc
	v_add_u32_e32 v49, s13, v47
	v_ashrrev_i32_e32 v50, 31, v49
	v_lshlrev_b64 v[47:48], 3, v[49:50]
	v_mov_b32_e32 v51, s5
	v_add_co_u32_e32 v47, vcc, s4, v47
	v_addc_co_u32_e32 v48, vcc, v51, v48, vcc
	v_add_u32_e32 v51, s13, v49
	v_ashrrev_i32_e32 v52, 31, v51
	v_lshlrev_b64 v[49:50], 3, v[51:52]
	v_mov_b32_e32 v53, s5
	v_add_co_u32_e32 v49, vcc, s4, v49
	v_addc_co_u32_e32 v50, vcc, v53, v50, vcc
	v_add_u32_e32 v53, s13, v51
	v_ashrrev_i32_e32 v54, 31, v53
	v_lshlrev_b64 v[51:52], 3, v[53:54]
	v_mov_b32_e32 v55, s5
	v_add_co_u32_e32 v51, vcc, s4, v51
	v_addc_co_u32_e32 v52, vcc, v55, v52, vcc
	v_add_u32_e32 v55, s13, v53
	v_ashrrev_i32_e32 v56, 31, v55
	v_lshlrev_b64 v[53:54], 3, v[55:56]
	v_mov_b32_e32 v57, s5
	v_add_co_u32_e32 v53, vcc, s4, v53
	v_addc_co_u32_e32 v54, vcc, v57, v54, vcc
	v_add_u32_e32 v57, s13, v55
	v_ashrrev_i32_e32 v58, 31, v57
	v_lshlrev_b64 v[55:56], 3, v[57:58]
	v_mov_b32_e32 v59, s5
	v_add_co_u32_e32 v55, vcc, s4, v55
	v_addc_co_u32_e32 v56, vcc, v59, v56, vcc
	v_add_u32_e32 v59, s13, v57
	v_ashrrev_i32_e32 v60, 31, v59
	v_lshlrev_b64 v[57:58], 3, v[59:60]
	v_mov_b32_e32 v61, s5
	v_add_co_u32_e32 v57, vcc, s4, v57
	v_addc_co_u32_e32 v58, vcc, v61, v58, vcc
	v_add_u32_e32 v61, s13, v59
	v_ashrrev_i32_e32 v62, 31, v61
	v_lshlrev_b64 v[59:60], 3, v[61:62]
	v_mov_b32_e32 v63, s5
	v_add_co_u32_e32 v59, vcc, s4, v59
	v_addc_co_u32_e32 v60, vcc, v63, v60, vcc
	v_add_u32_e32 v63, s13, v61
	v_ashrrev_i32_e32 v64, 31, v63
	v_lshlrev_b64 v[61:62], 3, v[63:64]
	v_mov_b32_e32 v65, s5
	v_add_co_u32_e32 v61, vcc, s4, v61
	v_addc_co_u32_e32 v62, vcc, v65, v62, vcc
	v_add_u32_e32 v65, s13, v63
	v_ashrrev_i32_e32 v66, 31, v65
	v_lshlrev_b64 v[63:64], 3, v[65:66]
	v_mov_b32_e32 v67, s5
	v_add_co_u32_e32 v63, vcc, s4, v63
	v_addc_co_u32_e32 v64, vcc, v67, v64, vcc
	v_add_u32_e32 v67, s13, v65
	v_ashrrev_i32_e32 v68, 31, v67
	v_lshlrev_b64 v[65:66], 3, v[67:68]
	v_mov_b32_e32 v69, s5
	v_add_co_u32_e32 v65, vcc, s4, v65
	v_addc_co_u32_e32 v66, vcc, v69, v66, vcc
	v_add_u32_e32 v69, s13, v67
	v_ashrrev_i32_e32 v70, 31, v69
	v_lshlrev_b64 v[67:68], 3, v[69:70]
	v_mov_b32_e32 v71, s5
	v_add_co_u32_e32 v67, vcc, s4, v67
	v_addc_co_u32_e32 v68, vcc, v71, v68, vcc
	v_add_u32_e32 v71, s13, v69
	v_ashrrev_i32_e32 v72, 31, v71
	v_lshlrev_b64 v[69:70], 3, v[71:72]
	v_mov_b32_e32 v73, s5
	v_add_co_u32_e32 v69, vcc, s4, v69
	v_addc_co_u32_e32 v70, vcc, v73, v70, vcc
	v_add_u32_e32 v73, s13, v71
	v_mov_b32_e32 v71, s5
	v_add_co_u32_e32 v79, vcc, s4, v85
	s_ashr_i32 s7, s13, 31
	s_mov_b32 s6, s13
	v_addc_co_u32_e32 v80, vcc, 0, v71, vcc
	s_lshl_b64 s[6:7], s[6:7], 3
	v_mov_b32_e32 v71, s7
	v_add_co_u32_e32 v81, vcc, s6, v79
	v_ashrrev_i32_e32 v74, 31, v73
	v_addc_co_u32_e32 v82, vcc, v80, v71, vcc
	v_lshlrev_b64 v[71:72], 3, v[73:74]
	v_mov_b32_e32 v75, s5
	v_add_co_u32_e32 v71, vcc, s4, v71
	v_addc_co_u32_e32 v72, vcc, v75, v72, vcc
	v_add_u32_e32 v75, s13, v73
	v_ashrrev_i32_e32 v76, 31, v75
	v_lshlrev_b64 v[73:74], 3, v[75:76]
	v_mov_b32_e32 v77, s5
	v_add_co_u32_e32 v73, vcc, s4, v73
	v_addc_co_u32_e32 v74, vcc, v77, v74, vcc
	v_add_u32_e32 v77, s13, v75
	v_ashrrev_i32_e32 v78, 31, v77
	v_lshlrev_b64 v[75:76], 3, v[77:78]
	v_add_u32_e32 v77, s13, v77
	v_ashrrev_i32_e32 v78, 31, v77
	global_load_dwordx2 v[83:84], v85, s[4:5]
	global_load_dwordx2 v[86:87], v[81:82], off
	global_load_dwordx2 v[88:89], v[1:2], off
	;; [unrolled: 1-line block ×3, first 2 shown]
	v_mov_b32_e32 v116, s5
	v_add_co_u32_e32 v75, vcc, s4, v75
	v_lshlrev_b64 v[77:78], 3, v[77:78]
	v_addc_co_u32_e32 v76, vcc, v116, v76, vcc
	global_load_dwordx2 v[92:93], v[3:4], off
	global_load_dwordx2 v[94:95], v[9:10], off
	;; [unrolled: 1-line block ×4, first 2 shown]
	v_mov_b32_e32 v120, s5
	v_add_co_u32_e32 v77, vcc, s4, v77
	global_load_dwordx2 v[100:101], v[17:18], off
	global_load_dwordx2 v[104:105], v[11:12], off
	;; [unrolled: 1-line block ×10, first 2 shown]
	v_addc_co_u32_e32 v78, vcc, v120, v78, vcc
	global_load_dwordx2 v[120:121], v[33:34], off
	global_load_dwordx2 v[122:123], v[35:36], off
	s_waitcnt vmcnt(19)
	buffer_store_dword v84, off, s[0:3], 0 offset:4
	buffer_store_dword v83, off, s[0:3], 0
	global_load_dwordx2 v[83:84], v[37:38], off
	s_waitcnt vmcnt(21)
	buffer_store_dword v87, off, s[0:3], 0 offset:12
	buffer_store_dword v86, off, s[0:3], 0 offset:8
	s_waitcnt vmcnt(22)
	buffer_store_dword v89, off, s[0:3], 0 offset:20
	buffer_store_dword v88, off, s[0:3], 0 offset:16
	;; [unrolled: 3-line block ×9, first 2 shown]
	buffer_store_dword v104, off, s[0:3], 0 offset:80
	buffer_store_dword v105, off, s[0:3], 0 offset:84
	;; [unrolled: 1-line block ×3, first 2 shown]
	global_load_dwordx2 v[86:87], v[39:40], off
	global_load_dwordx2 v[88:89], v[41:42], off
	;; [unrolled: 1-line block ×11, first 2 shown]
	s_cmpk_lg_i32 s9, 0x84
	s_waitcnt vmcnt(37)
	buffer_store_dword v118, off, s[0:3], 0 offset:136
	buffer_store_dword v119, off, s[0:3], 0 offset:140
	s_waitcnt vmcnt(38)
	buffer_store_dword v120, off, s[0:3], 0 offset:144
	buffer_store_dword v121, off, s[0:3], 0 offset:148
	s_waitcnt vmcnt(39)
	buffer_store_dword v123, off, s[0:3], 0 offset:156
	global_load_dwordx2 v[118:119], v[71:72], off
	s_cselect_b64 s[10:11], -1, 0
	buffer_store_dword v122, off, s[0:3], 0 offset:152
	global_load_dwordx2 v[120:121], v[73:74], off
	s_cmpk_eq_i32 s9, 0x84
	global_load_dwordx2 v[122:123], v[75:76], off
	s_nop 0
	buffer_store_dword v107, off, s[0:3], 0 offset:92
	global_load_dwordx2 v[106:107], v[59:60], off
	s_nop 0
	buffer_store_dword v108, off, s[0:3], 0 offset:96
	buffer_store_dword v109, off, s[0:3], 0 offset:100
	global_load_dwordx2 v[108:109], v[61:62], off
	s_nop 0
	buffer_store_dword v110, off, s[0:3], 0 offset:104
	;; [unrolled: 4-line block ×5, first 2 shown]
	buffer_store_dword v117, off, s[0:3], 0 offset:132
	global_load_dwordx2 v[116:117], v[69:70], off
	s_waitcnt vmcnt(58)
	buffer_store_dword v84, off, s[0:3], 0 offset:164
	buffer_store_dword v83, off, s[0:3], 0 offset:160
	v_mov_b32_e32 v83, 0
	v_mov_b32_e32 v84, 0xbff00000
	s_waitcnt vmcnt(38)
	buffer_store_dword v86, off, s[0:3], 0 offset:168
	buffer_store_dword v87, off, s[0:3], 0 offset:172
	s_waitcnt vmcnt(39)
	buffer_store_dword v88, off, s[0:3], 0 offset:176
	buffer_store_dword v89, off, s[0:3], 0 offset:180
	;; [unrolled: 3-line block ×16, first 2 shown]
	buffer_store_dword v119, off, s[0:3], 0 offset:300
	buffer_store_dword v118, off, s[0:3], 0 offset:296
	;; [unrolled: 1-line block ×8, first 2 shown]
	s_cbranch_scc1 .LBB40_3
; %bb.2:
	v_mov_b32_e32 v83, 0
	v_lshl_add_u32 v94, v0, 3, v83
	buffer_load_dword v83, v94, s[0:3], 0 offen
	buffer_load_dword v84, v94, s[0:3], 0 offen offset:4
	s_waitcnt vmcnt(0)
	v_div_scale_f64 v[86:87], s[4:5], v[83:84], v[83:84], 1.0
	v_rcp_f64_e32 v[88:89], v[86:87]
	v_fma_f64 v[90:91], -v[86:87], v[88:89], 1.0
	v_fma_f64 v[88:89], v[88:89], v[90:91], v[88:89]
	v_div_scale_f64 v[90:91], vcc, 1.0, v[83:84], 1.0
	v_fma_f64 v[92:93], -v[86:87], v[88:89], 1.0
	v_fma_f64 v[88:89], v[88:89], v[92:93], v[88:89]
	v_mul_f64 v[92:93], v[90:91], v[88:89]
	v_fma_f64 v[86:87], -v[86:87], v[92:93], v[90:91]
	v_div_fmas_f64 v[86:87], v[86:87], v[88:89], v[92:93]
	v_div_fixup_f64 v[83:84], v[86:87], v[83:84], 1.0
	buffer_store_dword v83, v94, s[0:3], 0 offen
	buffer_store_dword v84, v94, s[0:3], 0 offen offset:4
	v_xor_b32_e32 v84, 0x80000000, v84
.LBB40_3:
	s_cmpk_eq_i32 s8, 0x79
	v_add_u32_e32 v86, 0x150, v85
	v_mov_b32_e32 v87, v85
	s_mov_b64 s[4:5], -1
	ds_write_b64 v85, v[83:84]
	s_cbranch_scc1 .LBB40_397
; %bb.4:
	buffer_load_dword v83, off, s[0:3], 0 offset:312
	buffer_load_dword v84, off, s[0:3], 0 offset:316
	s_movk_i32 s12, 0x48
	s_movk_i32 s13, 0x50
	;; [unrolled: 1-line block ×30, first 2 shown]
	v_cmp_eq_u32_e64 s[4:5], 40, v0
	s_waitcnt vmcnt(0)
	ds_write_b64 v86, v[83:84]
	s_waitcnt lgkmcnt(0)
	; wave barrier
	s_and_saveexec_b64 s[6:7], s[4:5]
	s_cbranch_execz .LBB40_10
; %bb.5:
	s_and_b64 vcc, exec, s[10:11]
	s_cbranch_vccz .LBB40_7
; %bb.6:
	buffer_load_dword v83, v87, s[0:3], 0 offen
	buffer_load_dword v84, v87, s[0:3], 0 offen offset:4
	ds_read_b64 v[88:89], v86
	s_waitcnt vmcnt(0) lgkmcnt(0)
	v_mul_f64 v[83:84], v[83:84], v[88:89]
	s_cbranch_execz .LBB40_8
	s_branch .LBB40_9
.LBB40_7:
                                        ; implicit-def: $vgpr83_vgpr84
.LBB40_8:
	ds_read_b64 v[83:84], v86
.LBB40_9:
	v_mov_b32_e32 v88, 0
	ds_read_b64 v[88:89], v88 offset:312
	s_waitcnt lgkmcnt(0)
	v_mul_f64 v[83:84], v[83:84], v[88:89]
	buffer_store_dword v84, off, s[0:3], 0 offset:316
	buffer_store_dword v83, off, s[0:3], 0 offset:312
.LBB40_10:
	s_or_b64 exec, exec, s[6:7]
	buffer_load_dword v83, off, s[0:3], 0 offset:304
	buffer_load_dword v84, off, s[0:3], 0 offset:308
	s_or_b32 s14, 0, 8
	s_mov_b32 s15, 16
	s_mov_b32 s16, 24
	;; [unrolled: 1-line block ×9, first 2 shown]
	v_cmp_lt_u32_e64 s[6:7], 38, v0
	s_waitcnt vmcnt(0)
	ds_write_b64 v86, v[83:84]
	s_waitcnt lgkmcnt(0)
	; wave barrier
	s_and_saveexec_b64 s[8:9], s[6:7]
	s_cbranch_execz .LBB40_16
; %bb.11:
	s_andn2_b64 vcc, exec, s[10:11]
	s_cbranch_vccnz .LBB40_13
; %bb.12:
	buffer_load_dword v83, v87, s[0:3], 0 offen
	buffer_load_dword v84, v87, s[0:3], 0 offen offset:4
	ds_read_b64 v[88:89], v86
	s_waitcnt vmcnt(0) lgkmcnt(0)
	v_mul_f64 v[83:84], v[83:84], v[88:89]
	s_cbranch_execz .LBB40_14
	s_branch .LBB40_15
.LBB40_13:
                                        ; implicit-def: $vgpr83_vgpr84
.LBB40_14:
	ds_read_b64 v[83:84], v86
.LBB40_15:
	buffer_load_dword v92, off, s[0:3], 0 offset:312
	buffer_load_dword v93, off, s[0:3], 0 offset:316
	v_mov_b32_e32 v88, 0
	ds_read2_b64 v[88:91], v88 offset0:38 offset1:81
	s_waitcnt vmcnt(0) lgkmcnt(0)
	v_fma_f64 v[90:91], v[92:93], v[90:91], v[83:84]
	v_cndmask_b32_e64 v84, v84, v91, s[4:5]
	v_cndmask_b32_e64 v83, v83, v90, s[4:5]
	v_mul_f64 v[83:84], v[83:84], v[88:89]
	buffer_store_dword v84, off, s[0:3], 0 offset:308
	buffer_store_dword v83, off, s[0:3], 0 offset:304
.LBB40_16:
	s_or_b64 exec, exec, s[8:9]
	buffer_load_dword v83, off, s[0:3], 0 offset:296
	buffer_load_dword v84, off, s[0:3], 0 offset:300
	v_cmp_lt_u32_e64 s[4:5], 37, v0
	s_waitcnt vmcnt(0)
	ds_write_b64 v86, v[83:84]
	s_waitcnt lgkmcnt(0)
	; wave barrier
	s_and_saveexec_b64 s[8:9], s[4:5]
	s_cbranch_execz .LBB40_26
; %bb.17:
	s_andn2_b64 vcc, exec, s[10:11]
	s_cbranch_vccnz .LBB40_19
; %bb.18:
	buffer_load_dword v83, v87, s[0:3], 0 offen
	buffer_load_dword v84, v87, s[0:3], 0 offen offset:4
	ds_read_b64 v[88:89], v86
	s_waitcnt vmcnt(0) lgkmcnt(0)
	v_mul_f64 v[83:84], v[83:84], v[88:89]
	s_cbranch_execz .LBB40_20
	s_branch .LBB40_21
.LBB40_19:
                                        ; implicit-def: $vgpr83_vgpr84
.LBB40_20:
	ds_read_b64 v[83:84], v86
.LBB40_21:
	s_and_saveexec_b64 s[12:13], s[6:7]
	s_cbranch_execz .LBB40_25
; %bb.22:
	v_subrev_u32_e32 v88, 38, v0
	s_movk_i32 s53, 0x280
	s_mov_b64 s[6:7], 0
.LBB40_23:                              ; =>This Inner Loop Header: Depth=1
	v_mov_b32_e32 v90, s52
	buffer_load_dword v89, v90, s[0:3], 0 offen
	s_nop 0
	buffer_load_dword v90, v90, s[0:3], 0 offen offset:4
	v_mov_b32_e32 v91, s53
	ds_read_b64 v[91:92], v91
	v_add_u32_e32 v88, -1, v88
	s_add_i32 s53, s53, 8
	s_add_i32 s52, s52, 8
	v_cmp_eq_u32_e32 vcc, 0, v88
	s_or_b64 s[6:7], vcc, s[6:7]
	s_waitcnt vmcnt(0) lgkmcnt(0)
	v_fma_f64 v[83:84], v[89:90], v[91:92], v[83:84]
	s_andn2_b64 exec, exec, s[6:7]
	s_cbranch_execnz .LBB40_23
; %bb.24:
	s_or_b64 exec, exec, s[6:7]
.LBB40_25:
	s_or_b64 exec, exec, s[12:13]
	v_mov_b32_e32 v88, 0
	ds_read_b64 v[88:89], v88 offset:296
	s_waitcnt lgkmcnt(0)
	v_mul_f64 v[83:84], v[83:84], v[88:89]
	buffer_store_dword v84, off, s[0:3], 0 offset:300
	buffer_store_dword v83, off, s[0:3], 0 offset:296
.LBB40_26:
	s_or_b64 exec, exec, s[8:9]
	buffer_load_dword v83, off, s[0:3], 0 offset:288
	buffer_load_dword v84, off, s[0:3], 0 offset:292
	v_cmp_lt_u32_e64 s[6:7], 36, v0
	s_waitcnt vmcnt(0)
	ds_write_b64 v86, v[83:84]
	s_waitcnt lgkmcnt(0)
	; wave barrier
	s_and_saveexec_b64 s[8:9], s[6:7]
	s_cbranch_execz .LBB40_36
; %bb.27:
	s_andn2_b64 vcc, exec, s[10:11]
	s_cbranch_vccnz .LBB40_29
; %bb.28:
	buffer_load_dword v83, v87, s[0:3], 0 offen
	buffer_load_dword v84, v87, s[0:3], 0 offen offset:4
	ds_read_b64 v[88:89], v86
	s_waitcnt vmcnt(0) lgkmcnt(0)
	v_mul_f64 v[83:84], v[83:84], v[88:89]
	s_cbranch_execz .LBB40_30
	s_branch .LBB40_31
.LBB40_29:
                                        ; implicit-def: $vgpr83_vgpr84
.LBB40_30:
	ds_read_b64 v[83:84], v86
.LBB40_31:
	s_and_saveexec_b64 s[12:13], s[4:5]
	s_cbranch_execz .LBB40_35
; %bb.32:
	v_subrev_u32_e32 v88, 37, v0
	s_movk_i32 s52, 0x278
	s_mov_b64 s[4:5], 0
.LBB40_33:                              ; =>This Inner Loop Header: Depth=1
	v_mov_b32_e32 v90, s51
	buffer_load_dword v89, v90, s[0:3], 0 offen
	s_nop 0
	buffer_load_dword v90, v90, s[0:3], 0 offen offset:4
	v_mov_b32_e32 v91, s52
	ds_read_b64 v[91:92], v91
	v_add_u32_e32 v88, -1, v88
	s_add_i32 s52, s52, 8
	s_add_i32 s51, s51, 8
	v_cmp_eq_u32_e32 vcc, 0, v88
	s_or_b64 s[4:5], vcc, s[4:5]
	s_waitcnt vmcnt(0) lgkmcnt(0)
	v_fma_f64 v[83:84], v[89:90], v[91:92], v[83:84]
	s_andn2_b64 exec, exec, s[4:5]
	s_cbranch_execnz .LBB40_33
; %bb.34:
	s_or_b64 exec, exec, s[4:5]
.LBB40_35:
	s_or_b64 exec, exec, s[12:13]
	v_mov_b32_e32 v88, 0
	ds_read_b64 v[88:89], v88 offset:288
	s_waitcnt lgkmcnt(0)
	v_mul_f64 v[83:84], v[83:84], v[88:89]
	buffer_store_dword v84, off, s[0:3], 0 offset:292
	buffer_store_dword v83, off, s[0:3], 0 offset:288
.LBB40_36:
	s_or_b64 exec, exec, s[8:9]
	buffer_load_dword v83, off, s[0:3], 0 offset:280
	buffer_load_dword v84, off, s[0:3], 0 offset:284
	v_cmp_lt_u32_e64 s[4:5], 35, v0
	s_waitcnt vmcnt(0)
	ds_write_b64 v86, v[83:84]
	s_waitcnt lgkmcnt(0)
	; wave barrier
	s_and_saveexec_b64 s[8:9], s[4:5]
	s_cbranch_execz .LBB40_46
; %bb.37:
	s_andn2_b64 vcc, exec, s[10:11]
	s_cbranch_vccnz .LBB40_39
; %bb.38:
	buffer_load_dword v83, v87, s[0:3], 0 offen
	buffer_load_dword v84, v87, s[0:3], 0 offen offset:4
	ds_read_b64 v[88:89], v86
	s_waitcnt vmcnt(0) lgkmcnt(0)
	v_mul_f64 v[83:84], v[83:84], v[88:89]
	s_cbranch_execz .LBB40_40
	s_branch .LBB40_41
.LBB40_39:
                                        ; implicit-def: $vgpr83_vgpr84
.LBB40_40:
	ds_read_b64 v[83:84], v86
.LBB40_41:
	s_and_saveexec_b64 s[12:13], s[6:7]
	s_cbranch_execz .LBB40_45
; %bb.42:
	v_subrev_u32_e32 v88, 36, v0
	s_movk_i32 s51, 0x270
	s_mov_b64 s[6:7], 0
.LBB40_43:                              ; =>This Inner Loop Header: Depth=1
	v_mov_b32_e32 v91, s50
	buffer_load_dword v89, v91, s[0:3], 0 offen
	buffer_load_dword v90, v91, s[0:3], 0 offen offset:4
	v_mov_b32_e32 v91, s51
	ds_read_b64 v[91:92], v91
	v_add_u32_e32 v88, -1, v88
	s_add_i32 s51, s51, 8
	s_add_i32 s50, s50, 8
	v_cmp_eq_u32_e32 vcc, 0, v88
	s_or_b64 s[6:7], vcc, s[6:7]
	s_waitcnt vmcnt(0) lgkmcnt(0)
	v_fma_f64 v[83:84], v[89:90], v[91:92], v[83:84]
	s_andn2_b64 exec, exec, s[6:7]
	s_cbranch_execnz .LBB40_43
; %bb.44:
	s_or_b64 exec, exec, s[6:7]
.LBB40_45:
	s_or_b64 exec, exec, s[12:13]
	v_mov_b32_e32 v88, 0
	ds_read_b64 v[88:89], v88 offset:280
	s_waitcnt lgkmcnt(0)
	v_mul_f64 v[83:84], v[83:84], v[88:89]
	buffer_store_dword v84, off, s[0:3], 0 offset:284
	buffer_store_dword v83, off, s[0:3], 0 offset:280
.LBB40_46:
	s_or_b64 exec, exec, s[8:9]
	buffer_load_dword v83, off, s[0:3], 0 offset:272
	buffer_load_dword v84, off, s[0:3], 0 offset:276
	v_cmp_lt_u32_e64 s[6:7], 34, v0
	s_waitcnt vmcnt(0)
	ds_write_b64 v86, v[83:84]
	s_waitcnt lgkmcnt(0)
	; wave barrier
	s_and_saveexec_b64 s[8:9], s[6:7]
	s_cbranch_execz .LBB40_56
; %bb.47:
	s_andn2_b64 vcc, exec, s[10:11]
	s_cbranch_vccnz .LBB40_49
; %bb.48:
	buffer_load_dword v83, v87, s[0:3], 0 offen
	buffer_load_dword v84, v87, s[0:3], 0 offen offset:4
	ds_read_b64 v[88:89], v86
	s_waitcnt vmcnt(0) lgkmcnt(0)
	v_mul_f64 v[83:84], v[83:84], v[88:89]
	s_cbranch_execz .LBB40_50
	s_branch .LBB40_51
.LBB40_49:
                                        ; implicit-def: $vgpr83_vgpr84
.LBB40_50:
	ds_read_b64 v[83:84], v86
.LBB40_51:
	s_and_saveexec_b64 s[12:13], s[4:5]
	s_cbranch_execz .LBB40_55
; %bb.52:
	v_subrev_u32_e32 v88, 35, v0
	s_movk_i32 s50, 0x268
	s_mov_b64 s[4:5], 0
.LBB40_53:                              ; =>This Inner Loop Header: Depth=1
	v_mov_b32_e32 v91, s49
	buffer_load_dword v89, v91, s[0:3], 0 offen
	buffer_load_dword v90, v91, s[0:3], 0 offen offset:4
	v_mov_b32_e32 v91, s50
	ds_read_b64 v[91:92], v91
	v_add_u32_e32 v88, -1, v88
	s_add_i32 s50, s50, 8
	s_add_i32 s49, s49, 8
	v_cmp_eq_u32_e32 vcc, 0, v88
	s_or_b64 s[4:5], vcc, s[4:5]
	s_waitcnt vmcnt(0) lgkmcnt(0)
	v_fma_f64 v[83:84], v[89:90], v[91:92], v[83:84]
	s_andn2_b64 exec, exec, s[4:5]
	s_cbranch_execnz .LBB40_53
; %bb.54:
	s_or_b64 exec, exec, s[4:5]
.LBB40_55:
	s_or_b64 exec, exec, s[12:13]
	v_mov_b32_e32 v88, 0
	ds_read_b64 v[88:89], v88 offset:272
	s_waitcnt lgkmcnt(0)
	v_mul_f64 v[83:84], v[83:84], v[88:89]
	buffer_store_dword v84, off, s[0:3], 0 offset:276
	buffer_store_dword v83, off, s[0:3], 0 offset:272
.LBB40_56:
	;; [unrolled: 58-line block ×6, first 2 shown]
	s_or_b64 exec, exec, s[8:9]
	buffer_load_dword v83, off, s[0:3], 0 offset:232
	buffer_load_dword v84, off, s[0:3], 0 offset:236
	v_cmp_lt_u32_e64 s[4:5], 29, v0
	s_waitcnt vmcnt(0)
	ds_write_b64 v86, v[83:84]
	s_waitcnt lgkmcnt(0)
	; wave barrier
	s_and_saveexec_b64 s[8:9], s[4:5]
	s_cbranch_execz .LBB40_106
; %bb.97:
	s_andn2_b64 vcc, exec, s[10:11]
	s_cbranch_vccnz .LBB40_99
; %bb.98:
	buffer_load_dword v83, v87, s[0:3], 0 offen
	buffer_load_dword v84, v87, s[0:3], 0 offen offset:4
	ds_read_b64 v[88:89], v86
	s_waitcnt vmcnt(0) lgkmcnt(0)
	v_mul_f64 v[83:84], v[83:84], v[88:89]
	s_cbranch_execz .LBB40_100
	s_branch .LBB40_101
.LBB40_99:
                                        ; implicit-def: $vgpr83_vgpr84
.LBB40_100:
	ds_read_b64 v[83:84], v86
.LBB40_101:
	s_and_saveexec_b64 s[12:13], s[6:7]
	s_cbranch_execz .LBB40_105
; %bb.102:
	v_subrev_u32_e32 v88, 30, v0
	s_movk_i32 s45, 0x240
	s_mov_b64 s[6:7], 0
.LBB40_103:                             ; =>This Inner Loop Header: Depth=1
	v_mov_b32_e32 v91, s44
	buffer_load_dword v89, v91, s[0:3], 0 offen
	buffer_load_dword v90, v91, s[0:3], 0 offen offset:4
	v_mov_b32_e32 v91, s45
	ds_read_b64 v[91:92], v91
	v_add_u32_e32 v88, -1, v88
	s_add_i32 s45, s45, 8
	s_add_i32 s44, s44, 8
	v_cmp_eq_u32_e32 vcc, 0, v88
	s_or_b64 s[6:7], vcc, s[6:7]
	s_waitcnt vmcnt(0) lgkmcnt(0)
	v_fma_f64 v[83:84], v[89:90], v[91:92], v[83:84]
	s_andn2_b64 exec, exec, s[6:7]
	s_cbranch_execnz .LBB40_103
; %bb.104:
	s_or_b64 exec, exec, s[6:7]
.LBB40_105:
	s_or_b64 exec, exec, s[12:13]
	v_mov_b32_e32 v88, 0
	ds_read_b64 v[88:89], v88 offset:232
	s_waitcnt lgkmcnt(0)
	v_mul_f64 v[83:84], v[83:84], v[88:89]
	buffer_store_dword v84, off, s[0:3], 0 offset:236
	buffer_store_dword v83, off, s[0:3], 0 offset:232
.LBB40_106:
	s_or_b64 exec, exec, s[8:9]
	buffer_load_dword v83, off, s[0:3], 0 offset:224
	buffer_load_dword v84, off, s[0:3], 0 offset:228
	v_cmp_lt_u32_e64 s[6:7], 28, v0
	s_waitcnt vmcnt(0)
	ds_write_b64 v86, v[83:84]
	s_waitcnt lgkmcnt(0)
	; wave barrier
	s_and_saveexec_b64 s[8:9], s[6:7]
	s_cbranch_execz .LBB40_116
; %bb.107:
	s_andn2_b64 vcc, exec, s[10:11]
	s_cbranch_vccnz .LBB40_109
; %bb.108:
	buffer_load_dword v83, v87, s[0:3], 0 offen
	buffer_load_dword v84, v87, s[0:3], 0 offen offset:4
	ds_read_b64 v[88:89], v86
	s_waitcnt vmcnt(0) lgkmcnt(0)
	v_mul_f64 v[83:84], v[83:84], v[88:89]
	s_cbranch_execz .LBB40_110
	s_branch .LBB40_111
.LBB40_109:
                                        ; implicit-def: $vgpr83_vgpr84
.LBB40_110:
	ds_read_b64 v[83:84], v86
.LBB40_111:
	s_and_saveexec_b64 s[12:13], s[4:5]
	s_cbranch_execz .LBB40_115
; %bb.112:
	v_subrev_u32_e32 v88, 29, v0
	s_movk_i32 s44, 0x238
	s_mov_b64 s[4:5], 0
.LBB40_113:                             ; =>This Inner Loop Header: Depth=1
	v_mov_b32_e32 v91, s43
	buffer_load_dword v89, v91, s[0:3], 0 offen
	buffer_load_dword v90, v91, s[0:3], 0 offen offset:4
	v_mov_b32_e32 v91, s44
	ds_read_b64 v[91:92], v91
	v_add_u32_e32 v88, -1, v88
	s_add_i32 s44, s44, 8
	s_add_i32 s43, s43, 8
	v_cmp_eq_u32_e32 vcc, 0, v88
	s_or_b64 s[4:5], vcc, s[4:5]
	s_waitcnt vmcnt(0) lgkmcnt(0)
	v_fma_f64 v[83:84], v[89:90], v[91:92], v[83:84]
	s_andn2_b64 exec, exec, s[4:5]
	s_cbranch_execnz .LBB40_113
; %bb.114:
	s_or_b64 exec, exec, s[4:5]
.LBB40_115:
	s_or_b64 exec, exec, s[12:13]
	v_mov_b32_e32 v88, 0
	ds_read_b64 v[88:89], v88 offset:224
	s_waitcnt lgkmcnt(0)
	v_mul_f64 v[83:84], v[83:84], v[88:89]
	buffer_store_dword v84, off, s[0:3], 0 offset:228
	buffer_store_dword v83, off, s[0:3], 0 offset:224
.LBB40_116:
	;; [unrolled: 58-line block ×14, first 2 shown]
	s_or_b64 exec, exec, s[8:9]
	buffer_load_dword v83, off, s[0:3], 0 offset:120
	buffer_load_dword v84, off, s[0:3], 0 offset:124
	v_cmp_lt_u32_e64 s[4:5], 15, v0
	s_waitcnt vmcnt(0)
	ds_write_b64 v86, v[83:84]
	s_waitcnt lgkmcnt(0)
	; wave barrier
	s_and_saveexec_b64 s[8:9], s[4:5]
	s_cbranch_execz .LBB40_246
; %bb.237:
	s_andn2_b64 vcc, exec, s[10:11]
	s_cbranch_vccnz .LBB40_239
; %bb.238:
	buffer_load_dword v83, v87, s[0:3], 0 offen
	buffer_load_dword v84, v87, s[0:3], 0 offen offset:4
	ds_read_b64 v[88:89], v86
	s_waitcnt vmcnt(0) lgkmcnt(0)
	v_mul_f64 v[83:84], v[83:84], v[88:89]
	s_cbranch_execz .LBB40_240
	s_branch .LBB40_241
.LBB40_239:
                                        ; implicit-def: $vgpr83_vgpr84
.LBB40_240:
	ds_read_b64 v[83:84], v86
.LBB40_241:
	s_and_saveexec_b64 s[12:13], s[6:7]
	s_cbranch_execz .LBB40_245
; %bb.242:
	v_add_u32_e32 v88, -16, v0
	s_movk_i32 s30, 0x1d0
	s_mov_b64 s[6:7], 0
.LBB40_243:                             ; =>This Inner Loop Header: Depth=1
	v_mov_b32_e32 v91, s29
	buffer_load_dword v89, v91, s[0:3], 0 offen
	buffer_load_dword v90, v91, s[0:3], 0 offen offset:4
	v_mov_b32_e32 v91, s30
	ds_read_b64 v[91:92], v91
	v_add_u32_e32 v88, -1, v88
	s_add_i32 s30, s30, 8
	s_add_i32 s29, s29, 8
	v_cmp_eq_u32_e32 vcc, 0, v88
	s_or_b64 s[6:7], vcc, s[6:7]
	s_waitcnt vmcnt(0) lgkmcnt(0)
	v_fma_f64 v[83:84], v[89:90], v[91:92], v[83:84]
	s_andn2_b64 exec, exec, s[6:7]
	s_cbranch_execnz .LBB40_243
; %bb.244:
	s_or_b64 exec, exec, s[6:7]
.LBB40_245:
	s_or_b64 exec, exec, s[12:13]
	v_mov_b32_e32 v88, 0
	ds_read_b64 v[88:89], v88 offset:120
	s_waitcnt lgkmcnt(0)
	v_mul_f64 v[83:84], v[83:84], v[88:89]
	buffer_store_dword v84, off, s[0:3], 0 offset:124
	buffer_store_dword v83, off, s[0:3], 0 offset:120
.LBB40_246:
	s_or_b64 exec, exec, s[8:9]
	buffer_load_dword v83, off, s[0:3], 0 offset:112
	buffer_load_dword v84, off, s[0:3], 0 offset:116
	v_cmp_lt_u32_e64 s[6:7], 14, v0
	s_waitcnt vmcnt(0)
	ds_write_b64 v86, v[83:84]
	s_waitcnt lgkmcnt(0)
	; wave barrier
	s_and_saveexec_b64 s[8:9], s[6:7]
	s_cbranch_execz .LBB40_256
; %bb.247:
	s_andn2_b64 vcc, exec, s[10:11]
	s_cbranch_vccnz .LBB40_249
; %bb.248:
	buffer_load_dword v83, v87, s[0:3], 0 offen
	buffer_load_dword v84, v87, s[0:3], 0 offen offset:4
	ds_read_b64 v[88:89], v86
	s_waitcnt vmcnt(0) lgkmcnt(0)
	v_mul_f64 v[83:84], v[83:84], v[88:89]
	s_cbranch_execz .LBB40_250
	s_branch .LBB40_251
.LBB40_249:
                                        ; implicit-def: $vgpr83_vgpr84
.LBB40_250:
	ds_read_b64 v[83:84], v86
.LBB40_251:
	s_and_saveexec_b64 s[12:13], s[4:5]
	s_cbranch_execz .LBB40_255
; %bb.252:
	v_add_u32_e32 v88, -15, v0
	s_movk_i32 s29, 0x1c8
	s_mov_b64 s[4:5], 0
.LBB40_253:                             ; =>This Inner Loop Header: Depth=1
	v_mov_b32_e32 v91, s28
	buffer_load_dword v89, v91, s[0:3], 0 offen
	buffer_load_dword v90, v91, s[0:3], 0 offen offset:4
	v_mov_b32_e32 v91, s29
	ds_read_b64 v[91:92], v91
	v_add_u32_e32 v88, -1, v88
	s_add_i32 s29, s29, 8
	s_add_i32 s28, s28, 8
	v_cmp_eq_u32_e32 vcc, 0, v88
	s_or_b64 s[4:5], vcc, s[4:5]
	s_waitcnt vmcnt(0) lgkmcnt(0)
	v_fma_f64 v[83:84], v[89:90], v[91:92], v[83:84]
	s_andn2_b64 exec, exec, s[4:5]
	s_cbranch_execnz .LBB40_253
; %bb.254:
	s_or_b64 exec, exec, s[4:5]
.LBB40_255:
	s_or_b64 exec, exec, s[12:13]
	v_mov_b32_e32 v88, 0
	ds_read_b64 v[88:89], v88 offset:112
	s_waitcnt lgkmcnt(0)
	v_mul_f64 v[83:84], v[83:84], v[88:89]
	buffer_store_dword v84, off, s[0:3], 0 offset:116
	buffer_store_dword v83, off, s[0:3], 0 offset:112
.LBB40_256:
	;; [unrolled: 58-line block ×15, first 2 shown]
	s_or_b64 exec, exec, s[8:9]
	buffer_load_dword v83, off, s[0:3], 0
	buffer_load_dword v84, off, s[0:3], 0 offset:4
	v_cmp_ne_u32_e32 vcc, 0, v0
	s_waitcnt vmcnt(0)
	ds_write_b64 v86, v[83:84]
	s_waitcnt lgkmcnt(0)
	; wave barrier
	s_and_saveexec_b64 s[6:7], vcc
	s_cbranch_execz .LBB40_396
; %bb.387:
	s_andn2_b64 vcc, exec, s[10:11]
	s_cbranch_vccnz .LBB40_389
; %bb.388:
	buffer_load_dword v83, v87, s[0:3], 0 offen
	buffer_load_dword v84, v87, s[0:3], 0 offen offset:4
	ds_read_b64 v[88:89], v86
	s_waitcnt vmcnt(0) lgkmcnt(0)
	v_mul_f64 v[83:84], v[83:84], v[88:89]
	s_cbranch_execz .LBB40_390
	s_branch .LBB40_391
.LBB40_389:
                                        ; implicit-def: $vgpr83_vgpr84
.LBB40_390:
	ds_read_b64 v[83:84], v86
.LBB40_391:
	s_and_saveexec_b64 s[8:9], s[4:5]
	s_cbranch_execz .LBB40_395
; %bb.392:
	v_add_u32_e32 v88, -1, v0
	s_movk_i32 s12, 0x158
	s_mov_b64 s[4:5], 0
.LBB40_393:                             ; =>This Inner Loop Header: Depth=1
	v_mov_b32_e32 v91, s14
	buffer_load_dword v89, v91, s[0:3], 0 offen
	buffer_load_dword v90, v91, s[0:3], 0 offen offset:4
	v_mov_b32_e32 v91, s12
	ds_read_b64 v[91:92], v91
	v_add_u32_e32 v88, -1, v88
	s_add_i32 s12, s12, 8
	s_add_i32 s14, s14, 8
	v_cmp_eq_u32_e32 vcc, 0, v88
	s_or_b64 s[4:5], vcc, s[4:5]
	s_waitcnt vmcnt(0) lgkmcnt(0)
	v_fma_f64 v[83:84], v[89:90], v[91:92], v[83:84]
	s_andn2_b64 exec, exec, s[4:5]
	s_cbranch_execnz .LBB40_393
; %bb.394:
	s_or_b64 exec, exec, s[4:5]
.LBB40_395:
	s_or_b64 exec, exec, s[8:9]
	v_mov_b32_e32 v88, 0
	ds_read_b64 v[88:89], v88
	s_waitcnt lgkmcnt(0)
	v_mul_f64 v[83:84], v[83:84], v[88:89]
	buffer_store_dword v84, off, s[0:3], 0 offset:4
	buffer_store_dword v83, off, s[0:3], 0
.LBB40_396:
	s_or_b64 exec, exec, s[6:7]
	s_mov_b64 s[4:5], 0
.LBB40_397:
	s_and_b64 vcc, exec, s[4:5]
	s_cbranch_vccz .LBB40_789
; %bb.398:
	buffer_load_dword v83, off, s[0:3], 0 offset:8
	buffer_load_dword v84, off, s[0:3], 0 offset:12
	v_cmp_eq_u32_e64 s[6:7], 0, v0
	s_waitcnt vmcnt(0)
	ds_write_b64 v86, v[83:84]
	s_waitcnt lgkmcnt(0)
	; wave barrier
	s_and_saveexec_b64 s[4:5], s[6:7]
	s_cbranch_execz .LBB40_404
; %bb.399:
	s_and_b64 vcc, exec, s[10:11]
	s_cbranch_vccz .LBB40_401
; %bb.400:
	buffer_load_dword v83, v87, s[0:3], 0 offen
	buffer_load_dword v84, v87, s[0:3], 0 offen offset:4
	ds_read_b64 v[88:89], v86
	s_waitcnt vmcnt(0) lgkmcnt(0)
	v_mul_f64 v[83:84], v[83:84], v[88:89]
	s_cbranch_execz .LBB40_402
	s_branch .LBB40_403
.LBB40_401:
                                        ; implicit-def: $vgpr83_vgpr84
.LBB40_402:
	ds_read_b64 v[83:84], v86
.LBB40_403:
	v_mov_b32_e32 v88, 0
	ds_read_b64 v[88:89], v88 offset:8
	s_waitcnt lgkmcnt(0)
	v_mul_f64 v[83:84], v[83:84], v[88:89]
	buffer_store_dword v84, off, s[0:3], 0 offset:12
	buffer_store_dword v83, off, s[0:3], 0 offset:8
.LBB40_404:
	s_or_b64 exec, exec, s[4:5]
	buffer_load_dword v83, off, s[0:3], 0 offset:16
	buffer_load_dword v84, off, s[0:3], 0 offset:20
	v_cndmask_b32_e64 v88, 0, 1, s[10:11]
	v_cmp_gt_u32_e32 vcc, 2, v0
	v_cmp_ne_u32_e64 s[4:5], 1, v88
	s_waitcnt vmcnt(0)
	ds_write_b64 v86, v[83:84]
	s_waitcnt lgkmcnt(0)
	; wave barrier
	s_and_saveexec_b64 s[8:9], vcc
	s_cbranch_execz .LBB40_410
; %bb.405:
	s_and_b64 vcc, exec, s[4:5]
	s_cbranch_vccnz .LBB40_407
; %bb.406:
	buffer_load_dword v83, v87, s[0:3], 0 offen
	buffer_load_dword v84, v87, s[0:3], 0 offen offset:4
	ds_read_b64 v[88:89], v86
	s_waitcnt vmcnt(0) lgkmcnt(0)
	v_mul_f64 v[83:84], v[83:84], v[88:89]
	s_cbranch_execz .LBB40_408
	s_branch .LBB40_409
.LBB40_407:
                                        ; implicit-def: $vgpr83_vgpr84
.LBB40_408:
	ds_read_b64 v[83:84], v86
.LBB40_409:
	buffer_load_dword v92, off, s[0:3], 0 offset:8
	buffer_load_dword v93, off, s[0:3], 0 offset:12
	v_mov_b32_e32 v88, 0
	ds_read2_b64 v[88:91], v88 offset0:2 offset1:43
	s_waitcnt vmcnt(0) lgkmcnt(0)
	v_fma_f64 v[90:91], v[92:93], v[90:91], v[83:84]
	v_cndmask_b32_e64 v84, v84, v91, s[6:7]
	v_cndmask_b32_e64 v83, v83, v90, s[6:7]
	v_mul_f64 v[83:84], v[83:84], v[88:89]
	buffer_store_dword v84, off, s[0:3], 0 offset:20
	buffer_store_dword v83, off, s[0:3], 0 offset:16
.LBB40_410:
	s_or_b64 exec, exec, s[8:9]
	buffer_load_dword v83, off, s[0:3], 0 offset:24
	buffer_load_dword v84, off, s[0:3], 0 offset:28
	v_cmp_gt_u32_e32 vcc, 3, v0
	s_waitcnt vmcnt(0)
	ds_write_b64 v86, v[83:84]
	s_waitcnt lgkmcnt(0)
	; wave barrier
	s_and_saveexec_b64 s[8:9], vcc
	s_cbranch_execz .LBB40_418
; %bb.411:
	s_and_b64 vcc, exec, s[4:5]
	s_cbranch_vccnz .LBB40_413
; %bb.412:
	buffer_load_dword v83, v87, s[0:3], 0 offen
	buffer_load_dword v84, v87, s[0:3], 0 offen offset:4
	ds_read_b64 v[88:89], v86
	s_waitcnt vmcnt(0) lgkmcnt(0)
	v_mul_f64 v[83:84], v[83:84], v[88:89]
	s_cbranch_execz .LBB40_414
	s_branch .LBB40_415
.LBB40_413:
                                        ; implicit-def: $vgpr83_vgpr84
.LBB40_414:
	ds_read_b64 v[83:84], v86
.LBB40_415:
	v_cmp_ne_u32_e32 vcc, 2, v0
	s_and_saveexec_b64 s[10:11], vcc
	s_cbranch_execz .LBB40_417
; %bb.416:
	buffer_load_dword v88, v87, s[0:3], 0 offen offset:8
	buffer_load_dword v89, v87, s[0:3], 0 offen offset:12
	buffer_load_dword v90, off, s[0:3], 0 offset:16
	buffer_load_dword v91, off, s[0:3], 0 offset:20
	ds_read_b64 v[92:93], v86 offset:8
	v_mov_b32_e32 v94, 0
	ds_read_b64 v[94:95], v94 offset:352
	s_waitcnt vmcnt(2) lgkmcnt(1)
	v_fma_f64 v[83:84], v[88:89], v[92:93], v[83:84]
	s_waitcnt vmcnt(0) lgkmcnt(0)
	v_fma_f64 v[88:89], v[90:91], v[94:95], v[83:84]
	v_cndmask_b32_e64 v84, v84, v89, s[6:7]
	v_cndmask_b32_e64 v83, v83, v88, s[6:7]
.LBB40_417:
	s_or_b64 exec, exec, s[10:11]
	v_mov_b32_e32 v88, 0
	ds_read_b64 v[88:89], v88 offset:24
	s_waitcnt lgkmcnt(0)
	v_mul_f64 v[83:84], v[83:84], v[88:89]
	buffer_store_dword v84, off, s[0:3], 0 offset:28
	buffer_store_dword v83, off, s[0:3], 0 offset:24
.LBB40_418:
	s_or_b64 exec, exec, s[8:9]
	buffer_load_dword v83, off, s[0:3], 0 offset:32
	buffer_load_dword v84, off, s[0:3], 0 offset:36
	v_cmp_gt_u32_e32 vcc, 4, v0
	s_waitcnt vmcnt(0)
	ds_write_b64 v86, v[83:84]
	s_waitcnt lgkmcnt(0)
	; wave barrier
	s_and_saveexec_b64 s[6:7], vcc
	s_cbranch_execz .LBB40_428
; %bb.419:
	s_and_b64 vcc, exec, s[4:5]
	s_cbranch_vccnz .LBB40_421
; %bb.420:
	buffer_load_dword v83, v87, s[0:3], 0 offen
	buffer_load_dword v84, v87, s[0:3], 0 offen offset:4
	ds_read_b64 v[88:89], v86
	s_waitcnt vmcnt(0) lgkmcnt(0)
	v_mul_f64 v[83:84], v[83:84], v[88:89]
	s_cbranch_execz .LBB40_422
	s_branch .LBB40_423
.LBB40_421:
                                        ; implicit-def: $vgpr83_vgpr84
.LBB40_422:
	ds_read_b64 v[83:84], v86
.LBB40_423:
	v_cmp_ne_u32_e32 vcc, 3, v0
	s_and_saveexec_b64 s[8:9], vcc
	s_cbranch_execz .LBB40_427
; %bb.424:
	s_mov_b32 s10, 0
	v_add_u32_e32 v88, 0x158, v85
	v_add3_u32 v89, v85, s10, 8
	s_mov_b64 s[10:11], 0
	v_mov_b32_e32 v90, v0
.LBB40_425:                             ; =>This Inner Loop Header: Depth=1
	buffer_load_dword v91, v89, s[0:3], 0 offen
	buffer_load_dword v92, v89, s[0:3], 0 offen offset:4
	ds_read_b64 v[93:94], v88
	v_add_u32_e32 v90, 1, v90
	v_cmp_lt_u32_e32 vcc, 2, v90
	v_add_u32_e32 v88, 8, v88
	s_or_b64 s[10:11], vcc, s[10:11]
	v_add_u32_e32 v89, 8, v89
	s_waitcnt vmcnt(0) lgkmcnt(0)
	v_fma_f64 v[83:84], v[91:92], v[93:94], v[83:84]
	s_andn2_b64 exec, exec, s[10:11]
	s_cbranch_execnz .LBB40_425
; %bb.426:
	s_or_b64 exec, exec, s[10:11]
.LBB40_427:
	s_or_b64 exec, exec, s[8:9]
	v_mov_b32_e32 v88, 0
	ds_read_b64 v[88:89], v88 offset:32
	s_waitcnt lgkmcnt(0)
	v_mul_f64 v[83:84], v[83:84], v[88:89]
	buffer_store_dword v84, off, s[0:3], 0 offset:36
	buffer_store_dword v83, off, s[0:3], 0 offset:32
.LBB40_428:
	s_or_b64 exec, exec, s[6:7]
	buffer_load_dword v83, off, s[0:3], 0 offset:40
	buffer_load_dword v84, off, s[0:3], 0 offset:44
	v_cmp_gt_u32_e32 vcc, 5, v0
	s_waitcnt vmcnt(0)
	ds_write_b64 v86, v[83:84]
	s_waitcnt lgkmcnt(0)
	; wave barrier
	s_and_saveexec_b64 s[6:7], vcc
	s_cbranch_execz .LBB40_438
; %bb.429:
	s_and_b64 vcc, exec, s[4:5]
	s_cbranch_vccnz .LBB40_431
; %bb.430:
	buffer_load_dword v83, v87, s[0:3], 0 offen
	buffer_load_dword v84, v87, s[0:3], 0 offen offset:4
	ds_read_b64 v[88:89], v86
	s_waitcnt vmcnt(0) lgkmcnt(0)
	v_mul_f64 v[83:84], v[83:84], v[88:89]
	s_cbranch_execz .LBB40_432
	s_branch .LBB40_433
.LBB40_431:
                                        ; implicit-def: $vgpr83_vgpr84
.LBB40_432:
	ds_read_b64 v[83:84], v86
.LBB40_433:
	v_cmp_ne_u32_e32 vcc, 4, v0
	s_and_saveexec_b64 s[8:9], vcc
	s_cbranch_execz .LBB40_437
; %bb.434:
	s_mov_b32 s10, 0
	v_add_u32_e32 v88, 0x158, v85
	v_add3_u32 v89, v85, s10, 8
	s_mov_b64 s[10:11], 0
	v_mov_b32_e32 v90, v0
.LBB40_435:                             ; =>This Inner Loop Header: Depth=1
	buffer_load_dword v91, v89, s[0:3], 0 offen
	buffer_load_dword v92, v89, s[0:3], 0 offen offset:4
	ds_read_b64 v[93:94], v88
	v_add_u32_e32 v90, 1, v90
	v_cmp_lt_u32_e32 vcc, 3, v90
	v_add_u32_e32 v88, 8, v88
	s_or_b64 s[10:11], vcc, s[10:11]
	v_add_u32_e32 v89, 8, v89
	s_waitcnt vmcnt(0) lgkmcnt(0)
	v_fma_f64 v[83:84], v[91:92], v[93:94], v[83:84]
	s_andn2_b64 exec, exec, s[10:11]
	s_cbranch_execnz .LBB40_435
; %bb.436:
	s_or_b64 exec, exec, s[10:11]
.LBB40_437:
	s_or_b64 exec, exec, s[8:9]
	v_mov_b32_e32 v88, 0
	ds_read_b64 v[88:89], v88 offset:40
	s_waitcnt lgkmcnt(0)
	v_mul_f64 v[83:84], v[83:84], v[88:89]
	buffer_store_dword v84, off, s[0:3], 0 offset:44
	buffer_store_dword v83, off, s[0:3], 0 offset:40
.LBB40_438:
	;; [unrolled: 59-line block ×35, first 2 shown]
	s_or_b64 exec, exec, s[6:7]
	buffer_load_dword v83, off, s[0:3], 0 offset:312
	buffer_load_dword v84, off, s[0:3], 0 offset:316
	v_cmp_gt_u32_e64 s[6:7], 39, v0
	s_waitcnt vmcnt(0)
	ds_write_b64 v86, v[83:84]
	s_waitcnt lgkmcnt(0)
	; wave barrier
	s_and_saveexec_b64 s[8:9], s[6:7]
	s_cbranch_execz .LBB40_778
; %bb.769:
	s_and_b64 vcc, exec, s[4:5]
	s_cbranch_vccnz .LBB40_771
; %bb.770:
	buffer_load_dword v83, v87, s[0:3], 0 offen
	buffer_load_dword v84, v87, s[0:3], 0 offen offset:4
	ds_read_b64 v[88:89], v86
	s_waitcnt vmcnt(0) lgkmcnt(0)
	v_mul_f64 v[83:84], v[83:84], v[88:89]
	s_cbranch_execz .LBB40_772
	s_branch .LBB40_773
.LBB40_771:
                                        ; implicit-def: $vgpr83_vgpr84
.LBB40_772:
	ds_read_b64 v[83:84], v86
.LBB40_773:
	v_cmp_ne_u32_e32 vcc, 38, v0
	s_and_saveexec_b64 s[10:11], vcc
	s_cbranch_execz .LBB40_777
; %bb.774:
	s_mov_b32 s12, 0
	v_add_u32_e32 v88, 0x158, v85
	v_add3_u32 v89, v85, s12, 8
	s_mov_b64 s[12:13], 0
	v_mov_b32_e32 v90, v0
.LBB40_775:                             ; =>This Inner Loop Header: Depth=1
	buffer_load_dword v91, v89, s[0:3], 0 offen
	buffer_load_dword v92, v89, s[0:3], 0 offen offset:4
	ds_read_b64 v[93:94], v88
	v_add_u32_e32 v90, 1, v90
	v_cmp_lt_u32_e32 vcc, 37, v90
	v_add_u32_e32 v88, 8, v88
	s_or_b64 s[12:13], vcc, s[12:13]
	v_add_u32_e32 v89, 8, v89
	s_waitcnt vmcnt(0) lgkmcnt(0)
	v_fma_f64 v[83:84], v[91:92], v[93:94], v[83:84]
	s_andn2_b64 exec, exec, s[12:13]
	s_cbranch_execnz .LBB40_775
; %bb.776:
	s_or_b64 exec, exec, s[12:13]
.LBB40_777:
	s_or_b64 exec, exec, s[10:11]
	v_mov_b32_e32 v88, 0
	ds_read_b64 v[88:89], v88 offset:312
	s_waitcnt lgkmcnt(0)
	v_mul_f64 v[83:84], v[83:84], v[88:89]
	buffer_store_dword v84, off, s[0:3], 0 offset:316
	buffer_store_dword v83, off, s[0:3], 0 offset:312
.LBB40_778:
	s_or_b64 exec, exec, s[8:9]
	buffer_load_dword v83, off, s[0:3], 0 offset:320
	buffer_load_dword v84, off, s[0:3], 0 offset:324
	v_cmp_ne_u32_e32 vcc, 40, v0
	s_waitcnt vmcnt(0)
	ds_write_b64 v86, v[83:84]
	s_waitcnt lgkmcnt(0)
	; wave barrier
	s_and_saveexec_b64 s[8:9], vcc
	s_cbranch_execz .LBB40_788
; %bb.779:
	s_and_b64 vcc, exec, s[4:5]
	s_cbranch_vccnz .LBB40_781
; %bb.780:
	buffer_load_dword v83, v87, s[0:3], 0 offen
	buffer_load_dword v84, v87, s[0:3], 0 offen offset:4
	ds_read_b64 v[87:88], v86
	s_waitcnt vmcnt(0) lgkmcnt(0)
	v_mul_f64 v[83:84], v[83:84], v[87:88]
	s_cbranch_execz .LBB40_782
	s_branch .LBB40_783
.LBB40_781:
                                        ; implicit-def: $vgpr83_vgpr84
.LBB40_782:
	ds_read_b64 v[83:84], v86
.LBB40_783:
	s_and_saveexec_b64 s[4:5], s[6:7]
	s_cbranch_execz .LBB40_787
; %bb.784:
	s_mov_b32 s6, 0
	v_add_u32_e32 v86, 0x158, v85
	v_add3_u32 v85, v85, s6, 8
	s_mov_b64 s[6:7], 0
.LBB40_785:                             ; =>This Inner Loop Header: Depth=1
	buffer_load_dword v87, v85, s[0:3], 0 offen
	buffer_load_dword v88, v85, s[0:3], 0 offen offset:4
	ds_read_b64 v[89:90], v86
	v_add_u32_e32 v0, 1, v0
	v_cmp_lt_u32_e32 vcc, 38, v0
	v_add_u32_e32 v86, 8, v86
	s_or_b64 s[6:7], vcc, s[6:7]
	v_add_u32_e32 v85, 8, v85
	s_waitcnt vmcnt(0) lgkmcnt(0)
	v_fma_f64 v[83:84], v[87:88], v[89:90], v[83:84]
	s_andn2_b64 exec, exec, s[6:7]
	s_cbranch_execnz .LBB40_785
; %bb.786:
	s_or_b64 exec, exec, s[6:7]
.LBB40_787:
	s_or_b64 exec, exec, s[4:5]
	v_mov_b32_e32 v0, 0
	ds_read_b64 v[85:86], v0 offset:320
	s_waitcnt lgkmcnt(0)
	v_mul_f64 v[83:84], v[83:84], v[85:86]
	buffer_store_dword v84, off, s[0:3], 0 offset:324
	buffer_store_dword v83, off, s[0:3], 0 offset:320
.LBB40_788:
	s_or_b64 exec, exec, s[8:9]
.LBB40_789:
	buffer_load_dword v83, off, s[0:3], 0
	buffer_load_dword v84, off, s[0:3], 0 offset:4
	buffer_load_dword v85, off, s[0:3], 0 offset:8
	;; [unrolled: 1-line block ×39, first 2 shown]
	s_waitcnt vmcnt(38)
	global_store_dwordx2 v[79:80], v[83:84], off
	s_waitcnt vmcnt(37)
	global_store_dwordx2 v[81:82], v[85:86], off
	buffer_load_dword v79, off, s[0:3], 0 offset:160
	buffer_load_dword v80, off, s[0:3], 0 offset:164
	s_nop 0
	buffer_load_dword v81, off, s[0:3], 0 offset:168
	buffer_load_dword v82, off, s[0:3], 0 offset:172
	buffer_load_dword v83, off, s[0:3], 0 offset:176
	buffer_load_dword v84, off, s[0:3], 0 offset:180
	buffer_load_dword v85, off, s[0:3], 0 offset:184
	buffer_load_dword v86, off, s[0:3], 0 offset:188
	s_waitcnt vmcnt(44)
	global_store_dwordx2 v[1:2], v[87:88], off
	s_waitcnt vmcnt(43)
	global_store_dwordx2 v[7:8], v[89:90], off
	buffer_load_dword v0, off, s[0:3], 0 offset:192
	buffer_load_dword v1, off, s[0:3], 0 offset:196
	s_nop 0
	buffer_load_dword v7, off, s[0:3], 0 offset:200
	buffer_load_dword v8, off, s[0:3], 0 offset:204
	buffer_load_dword v87, off, s[0:3], 0 offset:208
	buffer_load_dword v88, off, s[0:3], 0 offset:212
	buffer_load_dword v89, off, s[0:3], 0 offset:216
	buffer_load_dword v90, off, s[0:3], 0 offset:220
	;; [unrolled: 13-line block ×3, first 2 shown]
	s_waitcnt vmcnt(56)
	global_store_dwordx2 v[5:6], v[95:96], off
	s_waitcnt vmcnt(55)
	global_store_dwordx2 v[13:14], v[97:98], off
	;; [unrolled: 2-line block ×3, first 2 shown]
	global_store_dwordx2 v[21:22], v[101:102], off
	buffer_load_dword v4, off, s[0:3], 0 offset:256
	buffer_load_dword v5, off, s[0:3], 0 offset:260
	;; [unrolled: 1-line block ×18, first 2 shown]
	s_nop 0
	global_store_dwordx2 v[11:12], v[103:104], off
	global_store_dwordx2 v[15:16], v[105:106], off
	s_waitcnt vmcnt(62)
	global_store_dwordx2 v[19:20], v[107:108], off
	global_store_dwordx2 v[23:24], v[109:110], off
	;; [unrolled: 1-line block ×4, first 2 shown]
	s_waitcnt vmcnt(62)
	global_store_dwordx2 v[29:30], v[115:116], off
	global_store_dwordx2 v[31:32], v[117:118], off
	s_waitcnt vmcnt(62)
	global_store_dwordx2 v[33:34], v[119:120], off
	s_waitcnt vmcnt(61)
	;; [unrolled: 2-line block ×23, first 2 shown]
	global_store_dwordx2 v[77:78], v[123:124], off
.LBB40_790:
	s_endpgm
	.section	.rodata,"a",@progbits
	.p2align	6, 0x0
	.amdhsa_kernel _ZN9rocsolver6v33100L18trti2_kernel_smallILi41EdPdEEv13rocblas_fill_17rocblas_diagonal_T1_iil
		.amdhsa_group_segment_fixed_size 664
		.amdhsa_private_segment_fixed_size 336
		.amdhsa_kernarg_size 32
		.amdhsa_user_sgpr_count 6
		.amdhsa_user_sgpr_private_segment_buffer 1
		.amdhsa_user_sgpr_dispatch_ptr 0
		.amdhsa_user_sgpr_queue_ptr 0
		.amdhsa_user_sgpr_kernarg_segment_ptr 1
		.amdhsa_user_sgpr_dispatch_id 0
		.amdhsa_user_sgpr_flat_scratch_init 0
		.amdhsa_user_sgpr_private_segment_size 0
		.amdhsa_uses_dynamic_stack 0
		.amdhsa_system_sgpr_private_segment_wavefront_offset 1
		.amdhsa_system_sgpr_workgroup_id_x 1
		.amdhsa_system_sgpr_workgroup_id_y 0
		.amdhsa_system_sgpr_workgroup_id_z 0
		.amdhsa_system_sgpr_workgroup_info 0
		.amdhsa_system_vgpr_workitem_id 0
		.amdhsa_next_free_vgpr 126
		.amdhsa_next_free_sgpr 54
		.amdhsa_reserve_vcc 1
		.amdhsa_reserve_flat_scratch 0
		.amdhsa_float_round_mode_32 0
		.amdhsa_float_round_mode_16_64 0
		.amdhsa_float_denorm_mode_32 3
		.amdhsa_float_denorm_mode_16_64 3
		.amdhsa_dx10_clamp 1
		.amdhsa_ieee_mode 1
		.amdhsa_fp16_overflow 0
		.amdhsa_exception_fp_ieee_invalid_op 0
		.amdhsa_exception_fp_denorm_src 0
		.amdhsa_exception_fp_ieee_div_zero 0
		.amdhsa_exception_fp_ieee_overflow 0
		.amdhsa_exception_fp_ieee_underflow 0
		.amdhsa_exception_fp_ieee_inexact 0
		.amdhsa_exception_int_div_zero 0
	.end_amdhsa_kernel
	.section	.text._ZN9rocsolver6v33100L18trti2_kernel_smallILi41EdPdEEv13rocblas_fill_17rocblas_diagonal_T1_iil,"axG",@progbits,_ZN9rocsolver6v33100L18trti2_kernel_smallILi41EdPdEEv13rocblas_fill_17rocblas_diagonal_T1_iil,comdat
.Lfunc_end40:
	.size	_ZN9rocsolver6v33100L18trti2_kernel_smallILi41EdPdEEv13rocblas_fill_17rocblas_diagonal_T1_iil, .Lfunc_end40-_ZN9rocsolver6v33100L18trti2_kernel_smallILi41EdPdEEv13rocblas_fill_17rocblas_diagonal_T1_iil
                                        ; -- End function
	.set _ZN9rocsolver6v33100L18trti2_kernel_smallILi41EdPdEEv13rocblas_fill_17rocblas_diagonal_T1_iil.num_vgpr, 126
	.set _ZN9rocsolver6v33100L18trti2_kernel_smallILi41EdPdEEv13rocblas_fill_17rocblas_diagonal_T1_iil.num_agpr, 0
	.set _ZN9rocsolver6v33100L18trti2_kernel_smallILi41EdPdEEv13rocblas_fill_17rocblas_diagonal_T1_iil.numbered_sgpr, 54
	.set _ZN9rocsolver6v33100L18trti2_kernel_smallILi41EdPdEEv13rocblas_fill_17rocblas_diagonal_T1_iil.num_named_barrier, 0
	.set _ZN9rocsolver6v33100L18trti2_kernel_smallILi41EdPdEEv13rocblas_fill_17rocblas_diagonal_T1_iil.private_seg_size, 336
	.set _ZN9rocsolver6v33100L18trti2_kernel_smallILi41EdPdEEv13rocblas_fill_17rocblas_diagonal_T1_iil.uses_vcc, 1
	.set _ZN9rocsolver6v33100L18trti2_kernel_smallILi41EdPdEEv13rocblas_fill_17rocblas_diagonal_T1_iil.uses_flat_scratch, 0
	.set _ZN9rocsolver6v33100L18trti2_kernel_smallILi41EdPdEEv13rocblas_fill_17rocblas_diagonal_T1_iil.has_dyn_sized_stack, 0
	.set _ZN9rocsolver6v33100L18trti2_kernel_smallILi41EdPdEEv13rocblas_fill_17rocblas_diagonal_T1_iil.has_recursion, 0
	.set _ZN9rocsolver6v33100L18trti2_kernel_smallILi41EdPdEEv13rocblas_fill_17rocblas_diagonal_T1_iil.has_indirect_call, 0
	.section	.AMDGPU.csdata,"",@progbits
; Kernel info:
; codeLenInByte = 24020
; TotalNumSgprs: 58
; NumVgprs: 126
; ScratchSize: 336
; MemoryBound: 0
; FloatMode: 240
; IeeeMode: 1
; LDSByteSize: 664 bytes/workgroup (compile time only)
; SGPRBlocks: 7
; VGPRBlocks: 31
; NumSGPRsForWavesPerEU: 58
; NumVGPRsForWavesPerEU: 126
; Occupancy: 2
; WaveLimiterHint : 0
; COMPUTE_PGM_RSRC2:SCRATCH_EN: 1
; COMPUTE_PGM_RSRC2:USER_SGPR: 6
; COMPUTE_PGM_RSRC2:TRAP_HANDLER: 0
; COMPUTE_PGM_RSRC2:TGID_X_EN: 1
; COMPUTE_PGM_RSRC2:TGID_Y_EN: 0
; COMPUTE_PGM_RSRC2:TGID_Z_EN: 0
; COMPUTE_PGM_RSRC2:TIDIG_COMP_CNT: 0
	.section	.text._ZN9rocsolver6v33100L18trti2_kernel_smallILi42EdPdEEv13rocblas_fill_17rocblas_diagonal_T1_iil,"axG",@progbits,_ZN9rocsolver6v33100L18trti2_kernel_smallILi42EdPdEEv13rocblas_fill_17rocblas_diagonal_T1_iil,comdat
	.globl	_ZN9rocsolver6v33100L18trti2_kernel_smallILi42EdPdEEv13rocblas_fill_17rocblas_diagonal_T1_iil ; -- Begin function _ZN9rocsolver6v33100L18trti2_kernel_smallILi42EdPdEEv13rocblas_fill_17rocblas_diagonal_T1_iil
	.p2align	8
	.type	_ZN9rocsolver6v33100L18trti2_kernel_smallILi42EdPdEEv13rocblas_fill_17rocblas_diagonal_T1_iil,@function
_ZN9rocsolver6v33100L18trti2_kernel_smallILi42EdPdEEv13rocblas_fill_17rocblas_diagonal_T1_iil: ; @_ZN9rocsolver6v33100L18trti2_kernel_smallILi42EdPdEEv13rocblas_fill_17rocblas_diagonal_T1_iil
; %bb.0:
	s_add_u32 s0, s0, s7
	s_addc_u32 s1, s1, 0
	v_cmp_gt_u32_e32 vcc, 42, v0
	s_and_saveexec_b64 s[8:9], vcc
	s_cbranch_execz .LBB41_810
; %bb.1:
	s_load_dwordx8 s[8:15], s[4:5], 0x0
	s_ashr_i32 s7, s6, 31
	v_lshlrev_b32_e32 v87, 3, v0
	s_waitcnt lgkmcnt(0)
	s_ashr_i32 s5, s12, 31
	s_mov_b32 s4, s12
	s_mul_hi_u32 s12, s14, s6
	s_mul_i32 s7, s14, s7
	s_add_i32 s7, s12, s7
	s_mul_i32 s12, s15, s6
	s_add_i32 s7, s7, s12
	s_mul_i32 s6, s14, s6
	s_lshl_b64 s[6:7], s[6:7], 3
	s_add_u32 s6, s10, s6
	s_addc_u32 s7, s11, s7
	s_lshl_b64 s[4:5], s[4:5], 3
	s_add_u32 s4, s6, s4
	s_addc_u32 s5, s7, s5
	s_add_i32 s6, s13, s13
	v_add_u32_e32 v3, s6, v0
	v_ashrrev_i32_e32 v4, 31, v3
	v_lshlrev_b64 v[1:2], 3, v[3:4]
	v_mov_b32_e32 v4, s5
	v_add_co_u32_e32 v1, vcc, s4, v1
	v_add_u32_e32 v3, s13, v3
	v_addc_co_u32_e32 v2, vcc, v4, v2, vcc
	v_ashrrev_i32_e32 v4, 31, v3
	v_lshlrev_b64 v[4:5], 3, v[3:4]
	v_mov_b32_e32 v6, s5
	v_add_co_u32_e32 v7, vcc, s4, v4
	v_addc_co_u32_e32 v8, vcc, v6, v5, vcc
	v_add_u32_e32 v5, s13, v3
	v_ashrrev_i32_e32 v6, 31, v5
	v_lshlrev_b64 v[3:4], 3, v[5:6]
	v_mov_b32_e32 v6, s5
	v_add_co_u32_e32 v3, vcc, s4, v3
	v_add_u32_e32 v5, s13, v5
	v_addc_co_u32_e32 v4, vcc, v6, v4, vcc
	v_ashrrev_i32_e32 v6, 31, v5
	v_lshlrev_b64 v[9:10], 3, v[5:6]
	v_add_u32_e32 v11, s13, v5
	v_mov_b32_e32 v6, s5
	v_add_co_u32_e32 v9, vcc, s4, v9
	v_ashrrev_i32_e32 v12, 31, v11
	v_addc_co_u32_e32 v10, vcc, v6, v10, vcc
	v_lshlrev_b64 v[5:6], 3, v[11:12]
	v_add_u32_e32 v13, s13, v11
	v_mov_b32_e32 v12, s5
	v_add_co_u32_e32 v5, vcc, s4, v5
	v_ashrrev_i32_e32 v14, 31, v13
	v_addc_co_u32_e32 v6, vcc, v12, v6, vcc
	v_lshlrev_b64 v[11:12], 3, v[13:14]
	v_mov_b32_e32 v14, s5
	v_add_co_u32_e32 v11, vcc, s4, v11
	v_add_u32_e32 v13, s13, v13
	v_addc_co_u32_e32 v12, vcc, v14, v12, vcc
	v_ashrrev_i32_e32 v14, 31, v13
	v_lshlrev_b64 v[15:16], 3, v[13:14]
	v_mov_b32_e32 v14, s5
	v_add_co_u32_e32 v15, vcc, s4, v15
	v_add_u32_e32 v13, s13, v13
	v_addc_co_u32_e32 v16, vcc, v14, v16, vcc
	v_ashrrev_i32_e32 v14, 31, v13
	;; [unrolled: 6-line block ×4, first 2 shown]
	v_lshlrev_b64 v[13:14], 3, v[17:18]
	v_mov_b32_e32 v25, s5
	v_add_co_u32_e32 v13, vcc, s4, v13
	v_addc_co_u32_e32 v14, vcc, v21, v14, vcc
	v_add_u32_e32 v21, s13, v17
	v_ashrrev_i32_e32 v22, 31, v21
	v_lshlrev_b64 v[17:18], 3, v[21:22]
	v_mov_b32_e32 v27, s5
	v_add_co_u32_e32 v17, vcc, s4, v17
	v_addc_co_u32_e32 v18, vcc, v25, v18, vcc
	v_add_u32_e32 v25, s13, v21
	v_ashrrev_i32_e32 v26, 31, v25
	;; [unrolled: 6-line block ×22, first 2 shown]
	v_lshlrev_b64 v[63:64], 3, v[65:66]
	global_load_dwordx2 v[85:86], v87, s[4:5]
	global_load_dwordx2 v[90:91], v[1:2], off
	v_add_co_u32_e32 v63, vcc, s4, v63
	v_addc_co_u32_e32 v64, vcc, v67, v64, vcc
	v_add_u32_e32 v67, s13, v65
	v_ashrrev_i32_e32 v68, 31, v67
	v_lshlrev_b64 v[65:66], 3, v[67:68]
	v_mov_b32_e32 v68, s5
	v_add_co_u32_e32 v81, vcc, s4, v87
	s_ashr_i32 s7, s13, 31
	s_mov_b32 s6, s13
	v_addc_co_u32_e32 v82, vcc, 0, v68, vcc
	s_lshl_b64 s[6:7], s[6:7], 3
	v_mov_b32_e32 v68, s7
	v_add_co_u32_e32 v83, vcc, s6, v81
	v_addc_co_u32_e32 v84, vcc, v82, v68, vcc
	global_load_dwordx2 v[88:89], v[83:84], off
	global_load_dwordx2 v[92:93], v[7:8], off
	;; [unrolled: 1-line block ×3, first 2 shown]
	v_mov_b32_e32 v69, s5
	v_add_co_u32_e32 v65, vcc, s4, v65
	v_addc_co_u32_e32 v66, vcc, v69, v66, vcc
	v_add_u32_e32 v69, s13, v67
	v_ashrrev_i32_e32 v70, 31, v69
	v_lshlrev_b64 v[67:68], 3, v[69:70]
	v_mov_b32_e32 v71, s5
	v_add_co_u32_e32 v67, vcc, s4, v67
	v_addc_co_u32_e32 v68, vcc, v71, v68, vcc
	v_add_u32_e32 v71, s13, v69
	v_ashrrev_i32_e32 v72, 31, v71
	v_lshlrev_b64 v[69:70], 3, v[71:72]
	;; [unrolled: 6-line block ×3, first 2 shown]
	v_mov_b32_e32 v75, s5
	v_add_co_u32_e32 v71, vcc, s4, v71
	global_load_dwordx2 v[96:97], v[9:10], off
	global_load_dwordx2 v[98:99], v[5:6], off
	;; [unrolled: 1-line block ×10, first 2 shown]
	v_addc_co_u32_e32 v72, vcc, v75, v72, vcc
	v_add_u32_e32 v75, s13, v73
	v_ashrrev_i32_e32 v76, 31, v75
	v_lshlrev_b64 v[73:74], 3, v[75:76]
	v_mov_b32_e32 v77, s5
	v_add_co_u32_e32 v73, vcc, s4, v73
	v_addc_co_u32_e32 v74, vcc, v77, v74, vcc
	v_add_u32_e32 v77, s13, v75
	v_ashrrev_i32_e32 v78, 31, v77
	v_lshlrev_b64 v[75:76], 3, v[77:78]
	v_mov_b32_e32 v79, s5
	v_add_co_u32_e32 v75, vcc, s4, v75
	v_addc_co_u32_e32 v76, vcc, v79, v76, vcc
	v_add_u32_e32 v79, s13, v77
	v_ashrrev_i32_e32 v80, 31, v79
	v_lshlrev_b64 v[77:78], 3, v[79:80]
	v_add_u32_e32 v79, s13, v79
	v_ashrrev_i32_e32 v80, 31, v79
	v_mov_b32_e32 v116, s5
	v_add_co_u32_e32 v77, vcc, s4, v77
	v_lshlrev_b64 v[79:80], 3, v[79:80]
	v_addc_co_u32_e32 v78, vcc, v116, v78, vcc
	v_mov_b32_e32 v120, s5
	v_add_co_u32_e32 v79, vcc, s4, v79
	global_load_dwordx2 v[116:117], v[27:28], off
	global_load_dwordx2 v[118:119], v[29:30], off
	v_addc_co_u32_e32 v80, vcc, v120, v80, vcc
	global_load_dwordx2 v[120:121], v[31:32], off
	global_load_dwordx2 v[122:123], v[79:80], off
	s_waitcnt vmcnt(18)
	buffer_store_dword v86, off, s[0:3], 0 offset:4
	buffer_store_dword v85, off, s[0:3], 0
	global_load_dwordx2 v[85:86], v[33:34], off
	s_waitcnt vmcnt(19)
	buffer_store_dword v89, off, s[0:3], 0 offset:12
	buffer_store_dword v88, off, s[0:3], 0 offset:8
	global_load_dwordx2 v[88:89], v[35:36], off
	s_nop 0
	buffer_store_dword v91, off, s[0:3], 0 offset:20
	buffer_store_dword v90, off, s[0:3], 0 offset:16
	global_load_dwordx2 v[90:91], v[37:38], off
	s_waitcnt vmcnt(24)
	buffer_store_dword v93, off, s[0:3], 0 offset:28
	buffer_store_dword v92, off, s[0:3], 0 offset:24
	global_load_dwordx2 v[92:93], v[39:40], off
	s_waitcnt vmcnt(26)
	;; [unrolled: 4-line block ×3, first 2 shown]
	buffer_store_dword v97, off, s[0:3], 0 offset:44
	buffer_store_dword v96, off, s[0:3], 0 offset:40
	s_waitcnt vmcnt(29)
	buffer_store_dword v99, off, s[0:3], 0 offset:52
	buffer_store_dword v98, off, s[0:3], 0 offset:48
	s_waitcnt vmcnt(30)
	;; [unrolled: 3-line block ×9, first 2 shown]
	buffer_store_dword v115, off, s[0:3], 0 offset:116
	global_load_dwordx2 v[96:97], v[43:44], off
	global_load_dwordx2 v[98:99], v[45:46], off
	;; [unrolled: 1-line block ×9, first 2 shown]
	s_cmpk_lg_i32 s9, 0x84
	buffer_store_dword v114, off, s[0:3], 0 offset:112
	global_load_dwordx2 v[114:115], v[63:64], off
	s_cselect_b64 s[10:11], -1, 0
	s_cmpk_eq_i32 s9, 0x84
	s_waitcnt vmcnt(48)
	buffer_store_dword v116, off, s[0:3], 0 offset:120
	buffer_store_dword v117, off, s[0:3], 0 offset:124
	global_load_dwordx2 v[116:117], v[67:68], off
	s_waitcnt vmcnt(50)
	buffer_store_dword v118, off, s[0:3], 0 offset:128
	buffer_store_dword v119, off, s[0:3], 0 offset:132
	s_waitcnt vmcnt(47)
	buffer_store_dword v85, off, s[0:3], 0 offset:144
	buffer_store_dword v86, off, s[0:3], 0 offset:148
	global_load_dwordx2 v[85:86], v[61:62], off
	s_nop 0
	global_load_dwordx2 v[118:119], v[71:72], off
	s_nop 0
	buffer_store_dword v120, off, s[0:3], 0 offset:136
	buffer_store_dword v121, off, s[0:3], 0 offset:140
	s_waitcnt vmcnt(50)
	buffer_store_dword v89, off, s[0:3], 0 offset:156
	buffer_store_dword v88, off, s[0:3], 0 offset:152
	global_load_dwordx2 v[88:89], v[65:66], off
	s_waitcnt vmcnt(50)
	buffer_store_dword v91, off, s[0:3], 0 offset:164
	buffer_store_dword v90, off, s[0:3], 0 offset:160
	global_load_dwordx2 v[90:91], v[69:70], off
	;; [unrolled: 4-line block ×3, first 2 shown]
	s_nop 0
	global_load_dwordx2 v[120:121], v[75:76], off
	s_waitcnt vmcnt(51)
	buffer_store_dword v94, off, s[0:3], 0 offset:176
	buffer_store_dword v95, off, s[0:3], 0 offset:180
	global_load_dwordx2 v[94:95], v[77:78], off
	s_waitcnt vmcnt(34)
	buffer_store_dword v96, off, s[0:3], 0 offset:184
	buffer_store_dword v97, off, s[0:3], 0 offset:188
	s_waitcnt vmcnt(35)
	buffer_store_dword v98, off, s[0:3], 0 offset:192
	buffer_store_dword v99, off, s[0:3], 0 offset:196
	;; [unrolled: 3-line block ×10, first 2 shown]
	buffer_store_dword v114, off, s[0:3], 0 offset:264
	buffer_store_dword v115, off, s[0:3], 0 offset:268
	s_waitcnt vmcnt(32)
	buffer_store_dword v88, off, s[0:3], 0 offset:272
	buffer_store_dword v89, off, s[0:3], 0 offset:276
	buffer_store_dword v116, off, s[0:3], 0 offset:280
	buffer_store_dword v117, off, s[0:3], 0 offset:284
	s_waitcnt vmcnt(33)
	buffer_store_dword v90, off, s[0:3], 0 offset:288
	buffer_store_dword v91, off, s[0:3], 0 offset:292
	;; [unrolled: 5-line block ×3, first 2 shown]
	s_waitcnt vmcnt(35)
	buffer_store_dword v120, off, s[0:3], 0 offset:312
	buffer_store_dword v121, off, s[0:3], 0 offset:316
	s_waitcnt vmcnt(34)
	buffer_store_dword v94, off, s[0:3], 0 offset:320
	buffer_store_dword v95, off, s[0:3], 0 offset:324
	;; [unrolled: 1-line block ×3, first 2 shown]
	v_mov_b32_e32 v85, 0
	v_mov_b32_e32 v86, 0xbff00000
	buffer_store_dword v123, off, s[0:3], 0 offset:332
	s_cbranch_scc1 .LBB41_3
; %bb.2:
	v_mov_b32_e32 v85, 0
	v_lshl_add_u32 v96, v0, 3, v85
	buffer_load_dword v85, v96, s[0:3], 0 offen
	buffer_load_dword v86, v96, s[0:3], 0 offen offset:4
	s_waitcnt vmcnt(0)
	v_div_scale_f64 v[88:89], s[4:5], v[85:86], v[85:86], 1.0
	v_rcp_f64_e32 v[90:91], v[88:89]
	v_fma_f64 v[92:93], -v[88:89], v[90:91], 1.0
	v_fma_f64 v[90:91], v[90:91], v[92:93], v[90:91]
	v_div_scale_f64 v[92:93], vcc, 1.0, v[85:86], 1.0
	v_fma_f64 v[94:95], -v[88:89], v[90:91], 1.0
	v_fma_f64 v[90:91], v[90:91], v[94:95], v[90:91]
	v_mul_f64 v[94:95], v[92:93], v[90:91]
	v_fma_f64 v[88:89], -v[88:89], v[94:95], v[92:93]
	v_div_fmas_f64 v[88:89], v[88:89], v[90:91], v[94:95]
	v_div_fixup_f64 v[85:86], v[88:89], v[85:86], 1.0
	buffer_store_dword v85, v96, s[0:3], 0 offen
	buffer_store_dword v86, v96, s[0:3], 0 offen offset:4
	v_xor_b32_e32 v86, 0x80000000, v86
.LBB41_3:
	s_cmpk_eq_i32 s8, 0x79
	v_add_u32_e32 v88, 0x150, v87
	v_mov_b32_e32 v89, v87
	s_mov_b64 s[4:5], -1
	ds_write_b64 v87, v[85:86]
	s_cbranch_scc1 .LBB41_407
; %bb.4:
	buffer_load_dword v85, off, s[0:3], 0 offset:320
	buffer_load_dword v86, off, s[0:3], 0 offset:324
	s_movk_i32 s12, 0x48
	s_movk_i32 s13, 0x50
	;; [unrolled: 1-line block ×31, first 2 shown]
	v_cmp_eq_u32_e64 s[4:5], 41, v0
	s_waitcnt vmcnt(0)
	ds_write_b64 v88, v[85:86]
	s_waitcnt lgkmcnt(0)
	; wave barrier
	s_and_saveexec_b64 s[6:7], s[4:5]
	s_cbranch_execz .LBB41_10
; %bb.5:
	s_and_b64 vcc, exec, s[10:11]
	s_cbranch_vccz .LBB41_7
; %bb.6:
	buffer_load_dword v85, v89, s[0:3], 0 offen
	buffer_load_dword v86, v89, s[0:3], 0 offen offset:4
	ds_read_b64 v[90:91], v88
	s_waitcnt vmcnt(0) lgkmcnt(0)
	v_mul_f64 v[85:86], v[85:86], v[90:91]
	s_cbranch_execz .LBB41_8
	s_branch .LBB41_9
.LBB41_7:
                                        ; implicit-def: $vgpr85_vgpr86
.LBB41_8:
	ds_read_b64 v[85:86], v88
.LBB41_9:
	v_mov_b32_e32 v90, 0
	ds_read_b64 v[90:91], v90 offset:320
	s_waitcnt lgkmcnt(0)
	v_mul_f64 v[85:86], v[85:86], v[90:91]
	buffer_store_dword v86, off, s[0:3], 0 offset:324
	buffer_store_dword v85, off, s[0:3], 0 offset:320
.LBB41_10:
	s_or_b64 exec, exec, s[6:7]
	buffer_load_dword v85, off, s[0:3], 0 offset:312
	buffer_load_dword v86, off, s[0:3], 0 offset:316
	s_or_b32 s14, 0, 8
	s_mov_b32 s15, 16
	s_mov_b32 s16, 24
	;; [unrolled: 1-line block ×9, first 2 shown]
	v_cmp_lt_u32_e64 s[6:7], 39, v0
	s_waitcnt vmcnt(0)
	ds_write_b64 v88, v[85:86]
	s_waitcnt lgkmcnt(0)
	; wave barrier
	s_and_saveexec_b64 s[8:9], s[6:7]
	s_cbranch_execz .LBB41_16
; %bb.11:
	s_andn2_b64 vcc, exec, s[10:11]
	s_cbranch_vccnz .LBB41_13
; %bb.12:
	buffer_load_dword v85, v89, s[0:3], 0 offen
	buffer_load_dword v86, v89, s[0:3], 0 offen offset:4
	ds_read_b64 v[90:91], v88
	s_waitcnt vmcnt(0) lgkmcnt(0)
	v_mul_f64 v[85:86], v[85:86], v[90:91]
	s_cbranch_execz .LBB41_14
	s_branch .LBB41_15
.LBB41_13:
                                        ; implicit-def: $vgpr85_vgpr86
.LBB41_14:
	ds_read_b64 v[85:86], v88
.LBB41_15:
	buffer_load_dword v94, off, s[0:3], 0 offset:320
	buffer_load_dword v95, off, s[0:3], 0 offset:324
	v_mov_b32_e32 v90, 0
	ds_read2_b64 v[90:93], v90 offset0:39 offset1:82
	s_waitcnt vmcnt(0) lgkmcnt(0)
	v_fma_f64 v[92:93], v[94:95], v[92:93], v[85:86]
	v_cndmask_b32_e64 v86, v86, v93, s[4:5]
	v_cndmask_b32_e64 v85, v85, v92, s[4:5]
	v_mul_f64 v[85:86], v[85:86], v[90:91]
	buffer_store_dword v86, off, s[0:3], 0 offset:316
	buffer_store_dword v85, off, s[0:3], 0 offset:312
.LBB41_16:
	s_or_b64 exec, exec, s[8:9]
	buffer_load_dword v85, off, s[0:3], 0 offset:304
	buffer_load_dword v86, off, s[0:3], 0 offset:308
	v_cmp_lt_u32_e64 s[4:5], 38, v0
	s_waitcnt vmcnt(0)
	ds_write_b64 v88, v[85:86]
	s_waitcnt lgkmcnt(0)
	; wave barrier
	s_and_saveexec_b64 s[8:9], s[4:5]
	s_cbranch_execz .LBB41_26
; %bb.17:
	s_andn2_b64 vcc, exec, s[10:11]
	s_cbranch_vccnz .LBB41_19
; %bb.18:
	buffer_load_dword v85, v89, s[0:3], 0 offen
	buffer_load_dword v86, v89, s[0:3], 0 offen offset:4
	ds_read_b64 v[90:91], v88
	s_waitcnt vmcnt(0) lgkmcnt(0)
	v_mul_f64 v[85:86], v[85:86], v[90:91]
	s_cbranch_execz .LBB41_20
	s_branch .LBB41_21
.LBB41_19:
                                        ; implicit-def: $vgpr85_vgpr86
.LBB41_20:
	ds_read_b64 v[85:86], v88
.LBB41_21:
	s_and_saveexec_b64 s[12:13], s[6:7]
	s_cbranch_execz .LBB41_25
; %bb.22:
	v_subrev_u32_e32 v90, 39, v0
	s_movk_i32 s54, 0x288
	s_mov_b64 s[6:7], 0
.LBB41_23:                              ; =>This Inner Loop Header: Depth=1
	v_mov_b32_e32 v92, s53
	buffer_load_dword v91, v92, s[0:3], 0 offen
	s_nop 0
	buffer_load_dword v92, v92, s[0:3], 0 offen offset:4
	v_mov_b32_e32 v93, s54
	ds_read_b64 v[93:94], v93
	v_add_u32_e32 v90, -1, v90
	s_add_i32 s54, s54, 8
	s_add_i32 s53, s53, 8
	v_cmp_eq_u32_e32 vcc, 0, v90
	s_or_b64 s[6:7], vcc, s[6:7]
	s_waitcnt vmcnt(0) lgkmcnt(0)
	v_fma_f64 v[85:86], v[91:92], v[93:94], v[85:86]
	s_andn2_b64 exec, exec, s[6:7]
	s_cbranch_execnz .LBB41_23
; %bb.24:
	s_or_b64 exec, exec, s[6:7]
.LBB41_25:
	s_or_b64 exec, exec, s[12:13]
	v_mov_b32_e32 v90, 0
	ds_read_b64 v[90:91], v90 offset:304
	s_waitcnt lgkmcnt(0)
	v_mul_f64 v[85:86], v[85:86], v[90:91]
	buffer_store_dword v86, off, s[0:3], 0 offset:308
	buffer_store_dword v85, off, s[0:3], 0 offset:304
.LBB41_26:
	s_or_b64 exec, exec, s[8:9]
	buffer_load_dword v85, off, s[0:3], 0 offset:296
	buffer_load_dword v86, off, s[0:3], 0 offset:300
	v_cmp_lt_u32_e64 s[6:7], 37, v0
	s_waitcnt vmcnt(0)
	ds_write_b64 v88, v[85:86]
	s_waitcnt lgkmcnt(0)
	; wave barrier
	s_and_saveexec_b64 s[8:9], s[6:7]
	s_cbranch_execz .LBB41_36
; %bb.27:
	s_andn2_b64 vcc, exec, s[10:11]
	s_cbranch_vccnz .LBB41_29
; %bb.28:
	buffer_load_dword v85, v89, s[0:3], 0 offen
	buffer_load_dword v86, v89, s[0:3], 0 offen offset:4
	ds_read_b64 v[90:91], v88
	s_waitcnt vmcnt(0) lgkmcnt(0)
	v_mul_f64 v[85:86], v[85:86], v[90:91]
	s_cbranch_execz .LBB41_30
	s_branch .LBB41_31
.LBB41_29:
                                        ; implicit-def: $vgpr85_vgpr86
.LBB41_30:
	ds_read_b64 v[85:86], v88
.LBB41_31:
	s_and_saveexec_b64 s[12:13], s[4:5]
	s_cbranch_execz .LBB41_35
; %bb.32:
	v_subrev_u32_e32 v90, 38, v0
	s_movk_i32 s53, 0x280
	s_mov_b64 s[4:5], 0
.LBB41_33:                              ; =>This Inner Loop Header: Depth=1
	v_mov_b32_e32 v92, s52
	buffer_load_dword v91, v92, s[0:3], 0 offen
	s_nop 0
	buffer_load_dword v92, v92, s[0:3], 0 offen offset:4
	v_mov_b32_e32 v93, s53
	ds_read_b64 v[93:94], v93
	v_add_u32_e32 v90, -1, v90
	s_add_i32 s53, s53, 8
	s_add_i32 s52, s52, 8
	v_cmp_eq_u32_e32 vcc, 0, v90
	s_or_b64 s[4:5], vcc, s[4:5]
	s_waitcnt vmcnt(0) lgkmcnt(0)
	v_fma_f64 v[85:86], v[91:92], v[93:94], v[85:86]
	s_andn2_b64 exec, exec, s[4:5]
	s_cbranch_execnz .LBB41_33
; %bb.34:
	s_or_b64 exec, exec, s[4:5]
.LBB41_35:
	s_or_b64 exec, exec, s[12:13]
	v_mov_b32_e32 v90, 0
	ds_read_b64 v[90:91], v90 offset:296
	s_waitcnt lgkmcnt(0)
	v_mul_f64 v[85:86], v[85:86], v[90:91]
	buffer_store_dword v86, off, s[0:3], 0 offset:300
	buffer_store_dword v85, off, s[0:3], 0 offset:296
.LBB41_36:
	;; [unrolled: 59-line block ×3, first 2 shown]
	s_or_b64 exec, exec, s[4:5]
	buffer_load_dword v85, off, s[0:3], 0 offset:280
	buffer_load_dword v86, off, s[0:3], 0 offset:284
	v_cmp_lt_u32_e64 s[4:5], 35, v0
	s_waitcnt vmcnt(0)
	ds_write_b64 v88, v[85:86]
	s_waitcnt lgkmcnt(0)
	; wave barrier
	s_and_saveexec_b64 s[6:7], s[4:5]
	s_cbranch_execz .LBB41_56
; %bb.47:
	s_andn2_b64 vcc, exec, s[10:11]
	s_cbranch_vccnz .LBB41_49
; %bb.48:
	buffer_load_dword v85, v89, s[0:3], 0 offen
	buffer_load_dword v86, v89, s[0:3], 0 offen offset:4
	ds_read_b64 v[90:91], v88
	s_waitcnt vmcnt(0) lgkmcnt(0)
	v_mul_f64 v[85:86], v[85:86], v[90:91]
	s_cbranch_execz .LBB41_50
	s_branch .LBB41_51
.LBB41_49:
                                        ; implicit-def: $vgpr85_vgpr86
.LBB41_50:
	ds_read_b64 v[85:86], v88
.LBB41_51:
	s_and_saveexec_b64 s[12:13], s[8:9]
	s_cbranch_execz .LBB41_55
; %bb.52:
	v_subrev_u32_e32 v90, 36, v0
	s_movk_i32 s51, 0x270
	s_mov_b64 s[8:9], 0
.LBB41_53:                              ; =>This Inner Loop Header: Depth=1
	v_mov_b32_e32 v93, s50
	buffer_load_dword v91, v93, s[0:3], 0 offen
	buffer_load_dword v92, v93, s[0:3], 0 offen offset:4
	v_mov_b32_e32 v93, s51
	ds_read_b64 v[93:94], v93
	v_add_u32_e32 v90, -1, v90
	s_add_i32 s51, s51, 8
	s_add_i32 s50, s50, 8
	v_cmp_eq_u32_e32 vcc, 0, v90
	s_or_b64 s[8:9], vcc, s[8:9]
	s_waitcnt vmcnt(0) lgkmcnt(0)
	v_fma_f64 v[85:86], v[91:92], v[93:94], v[85:86]
	s_andn2_b64 exec, exec, s[8:9]
	s_cbranch_execnz .LBB41_53
; %bb.54:
	s_or_b64 exec, exec, s[8:9]
.LBB41_55:
	s_or_b64 exec, exec, s[12:13]
	v_mov_b32_e32 v90, 0
	ds_read_b64 v[90:91], v90 offset:280
	s_waitcnt lgkmcnt(0)
	v_mul_f64 v[85:86], v[85:86], v[90:91]
	buffer_store_dword v86, off, s[0:3], 0 offset:284
	buffer_store_dword v85, off, s[0:3], 0 offset:280
.LBB41_56:
	s_or_b64 exec, exec, s[6:7]
	buffer_load_dword v85, off, s[0:3], 0 offset:272
	buffer_load_dword v86, off, s[0:3], 0 offset:276
	v_cmp_lt_u32_e64 s[6:7], 34, v0
	s_waitcnt vmcnt(0)
	ds_write_b64 v88, v[85:86]
	s_waitcnt lgkmcnt(0)
	; wave barrier
	s_and_saveexec_b64 s[8:9], s[6:7]
	s_cbranch_execz .LBB41_66
; %bb.57:
	s_andn2_b64 vcc, exec, s[10:11]
	s_cbranch_vccnz .LBB41_59
; %bb.58:
	buffer_load_dword v85, v89, s[0:3], 0 offen
	buffer_load_dword v86, v89, s[0:3], 0 offen offset:4
	ds_read_b64 v[90:91], v88
	s_waitcnt vmcnt(0) lgkmcnt(0)
	v_mul_f64 v[85:86], v[85:86], v[90:91]
	s_cbranch_execz .LBB41_60
	s_branch .LBB41_61
.LBB41_59:
                                        ; implicit-def: $vgpr85_vgpr86
.LBB41_60:
	ds_read_b64 v[85:86], v88
.LBB41_61:
	s_and_saveexec_b64 s[12:13], s[4:5]
	s_cbranch_execz .LBB41_65
; %bb.62:
	v_subrev_u32_e32 v90, 35, v0
	s_movk_i32 s50, 0x268
	s_mov_b64 s[4:5], 0
.LBB41_63:                              ; =>This Inner Loop Header: Depth=1
	v_mov_b32_e32 v93, s49
	buffer_load_dword v91, v93, s[0:3], 0 offen
	buffer_load_dword v92, v93, s[0:3], 0 offen offset:4
	v_mov_b32_e32 v93, s50
	ds_read_b64 v[93:94], v93
	v_add_u32_e32 v90, -1, v90
	s_add_i32 s50, s50, 8
	s_add_i32 s49, s49, 8
	v_cmp_eq_u32_e32 vcc, 0, v90
	s_or_b64 s[4:5], vcc, s[4:5]
	s_waitcnt vmcnt(0) lgkmcnt(0)
	v_fma_f64 v[85:86], v[91:92], v[93:94], v[85:86]
	s_andn2_b64 exec, exec, s[4:5]
	s_cbranch_execnz .LBB41_63
; %bb.64:
	s_or_b64 exec, exec, s[4:5]
.LBB41_65:
	s_or_b64 exec, exec, s[12:13]
	v_mov_b32_e32 v90, 0
	ds_read_b64 v[90:91], v90 offset:272
	s_waitcnt lgkmcnt(0)
	v_mul_f64 v[85:86], v[85:86], v[90:91]
	buffer_store_dword v86, off, s[0:3], 0 offset:276
	buffer_store_dword v85, off, s[0:3], 0 offset:272
.LBB41_66:
	;; [unrolled: 58-line block ×5, first 2 shown]
	s_or_b64 exec, exec, s[8:9]
	buffer_load_dword v85, off, s[0:3], 0 offset:240
	buffer_load_dword v86, off, s[0:3], 0 offset:244
	v_cmp_lt_u32_e64 s[6:7], 30, v0
	s_waitcnt vmcnt(0)
	ds_write_b64 v88, v[85:86]
	s_waitcnt lgkmcnt(0)
	; wave barrier
	s_and_saveexec_b64 s[8:9], s[6:7]
	s_cbranch_execz .LBB41_106
; %bb.97:
	s_andn2_b64 vcc, exec, s[10:11]
	s_cbranch_vccnz .LBB41_99
; %bb.98:
	buffer_load_dword v85, v89, s[0:3], 0 offen
	buffer_load_dword v86, v89, s[0:3], 0 offen offset:4
	ds_read_b64 v[90:91], v88
	s_waitcnt vmcnt(0) lgkmcnt(0)
	v_mul_f64 v[85:86], v[85:86], v[90:91]
	s_cbranch_execz .LBB41_100
	s_branch .LBB41_101
.LBB41_99:
                                        ; implicit-def: $vgpr85_vgpr86
.LBB41_100:
	ds_read_b64 v[85:86], v88
.LBB41_101:
	s_and_saveexec_b64 s[12:13], s[4:5]
	s_cbranch_execz .LBB41_105
; %bb.102:
	v_subrev_u32_e32 v90, 31, v0
	s_movk_i32 s46, 0x248
	s_mov_b64 s[4:5], 0
.LBB41_103:                             ; =>This Inner Loop Header: Depth=1
	v_mov_b32_e32 v93, s45
	buffer_load_dword v91, v93, s[0:3], 0 offen
	buffer_load_dword v92, v93, s[0:3], 0 offen offset:4
	v_mov_b32_e32 v93, s46
	ds_read_b64 v[93:94], v93
	v_add_u32_e32 v90, -1, v90
	s_add_i32 s46, s46, 8
	s_add_i32 s45, s45, 8
	v_cmp_eq_u32_e32 vcc, 0, v90
	s_or_b64 s[4:5], vcc, s[4:5]
	s_waitcnt vmcnt(0) lgkmcnt(0)
	v_fma_f64 v[85:86], v[91:92], v[93:94], v[85:86]
	s_andn2_b64 exec, exec, s[4:5]
	s_cbranch_execnz .LBB41_103
; %bb.104:
	s_or_b64 exec, exec, s[4:5]
.LBB41_105:
	s_or_b64 exec, exec, s[12:13]
	v_mov_b32_e32 v90, 0
	ds_read_b64 v[90:91], v90 offset:240
	s_waitcnt lgkmcnt(0)
	v_mul_f64 v[85:86], v[85:86], v[90:91]
	buffer_store_dword v86, off, s[0:3], 0 offset:244
	buffer_store_dword v85, off, s[0:3], 0 offset:240
.LBB41_106:
	s_or_b64 exec, exec, s[8:9]
	buffer_load_dword v85, off, s[0:3], 0 offset:232
	buffer_load_dword v86, off, s[0:3], 0 offset:236
	v_cmp_lt_u32_e64 s[4:5], 29, v0
	s_waitcnt vmcnt(0)
	ds_write_b64 v88, v[85:86]
	s_waitcnt lgkmcnt(0)
	; wave barrier
	s_and_saveexec_b64 s[8:9], s[4:5]
	s_cbranch_execz .LBB41_116
; %bb.107:
	s_andn2_b64 vcc, exec, s[10:11]
	s_cbranch_vccnz .LBB41_109
; %bb.108:
	buffer_load_dword v85, v89, s[0:3], 0 offen
	buffer_load_dword v86, v89, s[0:3], 0 offen offset:4
	ds_read_b64 v[90:91], v88
	s_waitcnt vmcnt(0) lgkmcnt(0)
	v_mul_f64 v[85:86], v[85:86], v[90:91]
	s_cbranch_execz .LBB41_110
	s_branch .LBB41_111
.LBB41_109:
                                        ; implicit-def: $vgpr85_vgpr86
.LBB41_110:
	ds_read_b64 v[85:86], v88
.LBB41_111:
	s_and_saveexec_b64 s[12:13], s[6:7]
	s_cbranch_execz .LBB41_115
; %bb.112:
	v_subrev_u32_e32 v90, 30, v0
	s_movk_i32 s45, 0x240
	s_mov_b64 s[6:7], 0
.LBB41_113:                             ; =>This Inner Loop Header: Depth=1
	v_mov_b32_e32 v93, s44
	buffer_load_dword v91, v93, s[0:3], 0 offen
	buffer_load_dword v92, v93, s[0:3], 0 offen offset:4
	v_mov_b32_e32 v93, s45
	ds_read_b64 v[93:94], v93
	v_add_u32_e32 v90, -1, v90
	s_add_i32 s45, s45, 8
	s_add_i32 s44, s44, 8
	v_cmp_eq_u32_e32 vcc, 0, v90
	s_or_b64 s[6:7], vcc, s[6:7]
	s_waitcnt vmcnt(0) lgkmcnt(0)
	v_fma_f64 v[85:86], v[91:92], v[93:94], v[85:86]
	s_andn2_b64 exec, exec, s[6:7]
	s_cbranch_execnz .LBB41_113
; %bb.114:
	s_or_b64 exec, exec, s[6:7]
.LBB41_115:
	s_or_b64 exec, exec, s[12:13]
	v_mov_b32_e32 v90, 0
	ds_read_b64 v[90:91], v90 offset:232
	s_waitcnt lgkmcnt(0)
	v_mul_f64 v[85:86], v[85:86], v[90:91]
	buffer_store_dword v86, off, s[0:3], 0 offset:236
	buffer_store_dword v85, off, s[0:3], 0 offset:232
.LBB41_116:
	s_or_b64 exec, exec, s[8:9]
	buffer_load_dword v85, off, s[0:3], 0 offset:224
	buffer_load_dword v86, off, s[0:3], 0 offset:228
	v_cmp_lt_u32_e64 s[6:7], 28, v0
	s_waitcnt vmcnt(0)
	ds_write_b64 v88, v[85:86]
	s_waitcnt lgkmcnt(0)
	; wave barrier
	s_and_saveexec_b64 s[8:9], s[6:7]
	s_cbranch_execz .LBB41_126
; %bb.117:
	s_andn2_b64 vcc, exec, s[10:11]
	s_cbranch_vccnz .LBB41_119
; %bb.118:
	buffer_load_dword v85, v89, s[0:3], 0 offen
	buffer_load_dword v86, v89, s[0:3], 0 offen offset:4
	ds_read_b64 v[90:91], v88
	s_waitcnt vmcnt(0) lgkmcnt(0)
	v_mul_f64 v[85:86], v[85:86], v[90:91]
	s_cbranch_execz .LBB41_120
	s_branch .LBB41_121
.LBB41_119:
                                        ; implicit-def: $vgpr85_vgpr86
.LBB41_120:
	ds_read_b64 v[85:86], v88
.LBB41_121:
	s_and_saveexec_b64 s[12:13], s[4:5]
	s_cbranch_execz .LBB41_125
; %bb.122:
	v_subrev_u32_e32 v90, 29, v0
	s_movk_i32 s44, 0x238
	s_mov_b64 s[4:5], 0
.LBB41_123:                             ; =>This Inner Loop Header: Depth=1
	v_mov_b32_e32 v93, s43
	buffer_load_dword v91, v93, s[0:3], 0 offen
	buffer_load_dword v92, v93, s[0:3], 0 offen offset:4
	v_mov_b32_e32 v93, s44
	ds_read_b64 v[93:94], v93
	v_add_u32_e32 v90, -1, v90
	s_add_i32 s44, s44, 8
	s_add_i32 s43, s43, 8
	v_cmp_eq_u32_e32 vcc, 0, v90
	s_or_b64 s[4:5], vcc, s[4:5]
	s_waitcnt vmcnt(0) lgkmcnt(0)
	v_fma_f64 v[85:86], v[91:92], v[93:94], v[85:86]
	s_andn2_b64 exec, exec, s[4:5]
	s_cbranch_execnz .LBB41_123
; %bb.124:
	s_or_b64 exec, exec, s[4:5]
.LBB41_125:
	s_or_b64 exec, exec, s[12:13]
	v_mov_b32_e32 v90, 0
	ds_read_b64 v[90:91], v90 offset:224
	s_waitcnt lgkmcnt(0)
	v_mul_f64 v[85:86], v[85:86], v[90:91]
	buffer_store_dword v86, off, s[0:3], 0 offset:228
	buffer_store_dword v85, off, s[0:3], 0 offset:224
.LBB41_126:
	s_or_b64 exec, exec, s[8:9]
	buffer_load_dword v85, off, s[0:3], 0 offset:216
	buffer_load_dword v86, off, s[0:3], 0 offset:220
	v_cmp_lt_u32_e64 s[4:5], 27, v0
	s_waitcnt vmcnt(0)
	ds_write_b64 v88, v[85:86]
	s_waitcnt lgkmcnt(0)
	; wave barrier
	s_and_saveexec_b64 s[8:9], s[4:5]
	s_cbranch_execz .LBB41_136
; %bb.127:
	s_andn2_b64 vcc, exec, s[10:11]
	s_cbranch_vccnz .LBB41_129
; %bb.128:
	buffer_load_dword v85, v89, s[0:3], 0 offen
	buffer_load_dword v86, v89, s[0:3], 0 offen offset:4
	ds_read_b64 v[90:91], v88
	s_waitcnt vmcnt(0) lgkmcnt(0)
	v_mul_f64 v[85:86], v[85:86], v[90:91]
	s_cbranch_execz .LBB41_130
	s_branch .LBB41_131
.LBB41_129:
                                        ; implicit-def: $vgpr85_vgpr86
.LBB41_130:
	ds_read_b64 v[85:86], v88
.LBB41_131:
	s_and_saveexec_b64 s[12:13], s[6:7]
	s_cbranch_execz .LBB41_135
; %bb.132:
	v_subrev_u32_e32 v90, 28, v0
	s_movk_i32 s43, 0x230
	s_mov_b64 s[6:7], 0
.LBB41_133:                             ; =>This Inner Loop Header: Depth=1
	v_mov_b32_e32 v93, s42
	buffer_load_dword v91, v93, s[0:3], 0 offen
	buffer_load_dword v92, v93, s[0:3], 0 offen offset:4
	v_mov_b32_e32 v93, s43
	ds_read_b64 v[93:94], v93
	v_add_u32_e32 v90, -1, v90
	s_add_i32 s43, s43, 8
	s_add_i32 s42, s42, 8
	v_cmp_eq_u32_e32 vcc, 0, v90
	s_or_b64 s[6:7], vcc, s[6:7]
	s_waitcnt vmcnt(0) lgkmcnt(0)
	v_fma_f64 v[85:86], v[91:92], v[93:94], v[85:86]
	s_andn2_b64 exec, exec, s[6:7]
	s_cbranch_execnz .LBB41_133
; %bb.134:
	s_or_b64 exec, exec, s[6:7]
.LBB41_135:
	s_or_b64 exec, exec, s[12:13]
	v_mov_b32_e32 v90, 0
	ds_read_b64 v[90:91], v90 offset:216
	s_waitcnt lgkmcnt(0)
	v_mul_f64 v[85:86], v[85:86], v[90:91]
	buffer_store_dword v86, off, s[0:3], 0 offset:220
	buffer_store_dword v85, off, s[0:3], 0 offset:216
.LBB41_136:
	s_or_b64 exec, exec, s[8:9]
	buffer_load_dword v85, off, s[0:3], 0 offset:208
	buffer_load_dword v86, off, s[0:3], 0 offset:212
	v_cmp_lt_u32_e64 s[6:7], 26, v0
	s_waitcnt vmcnt(0)
	ds_write_b64 v88, v[85:86]
	s_waitcnt lgkmcnt(0)
	; wave barrier
	s_and_saveexec_b64 s[8:9], s[6:7]
	s_cbranch_execz .LBB41_146
; %bb.137:
	s_andn2_b64 vcc, exec, s[10:11]
	s_cbranch_vccnz .LBB41_139
; %bb.138:
	buffer_load_dword v85, v89, s[0:3], 0 offen
	buffer_load_dword v86, v89, s[0:3], 0 offen offset:4
	ds_read_b64 v[90:91], v88
	s_waitcnt vmcnt(0) lgkmcnt(0)
	v_mul_f64 v[85:86], v[85:86], v[90:91]
	s_cbranch_execz .LBB41_140
	s_branch .LBB41_141
.LBB41_139:
                                        ; implicit-def: $vgpr85_vgpr86
.LBB41_140:
	ds_read_b64 v[85:86], v88
.LBB41_141:
	s_and_saveexec_b64 s[12:13], s[4:5]
	s_cbranch_execz .LBB41_145
; %bb.142:
	v_subrev_u32_e32 v90, 27, v0
	s_movk_i32 s42, 0x228
	s_mov_b64 s[4:5], 0
.LBB41_143:                             ; =>This Inner Loop Header: Depth=1
	v_mov_b32_e32 v93, s41
	buffer_load_dword v91, v93, s[0:3], 0 offen
	buffer_load_dword v92, v93, s[0:3], 0 offen offset:4
	v_mov_b32_e32 v93, s42
	ds_read_b64 v[93:94], v93
	v_add_u32_e32 v90, -1, v90
	s_add_i32 s42, s42, 8
	s_add_i32 s41, s41, 8
	v_cmp_eq_u32_e32 vcc, 0, v90
	s_or_b64 s[4:5], vcc, s[4:5]
	s_waitcnt vmcnt(0) lgkmcnt(0)
	v_fma_f64 v[85:86], v[91:92], v[93:94], v[85:86]
	s_andn2_b64 exec, exec, s[4:5]
	s_cbranch_execnz .LBB41_143
; %bb.144:
	s_or_b64 exec, exec, s[4:5]
.LBB41_145:
	s_or_b64 exec, exec, s[12:13]
	v_mov_b32_e32 v90, 0
	ds_read_b64 v[90:91], v90 offset:208
	s_waitcnt lgkmcnt(0)
	v_mul_f64 v[85:86], v[85:86], v[90:91]
	buffer_store_dword v86, off, s[0:3], 0 offset:212
	buffer_store_dword v85, off, s[0:3], 0 offset:208
.LBB41_146:
	s_or_b64 exec, exec, s[8:9]
	buffer_load_dword v85, off, s[0:3], 0 offset:200
	buffer_load_dword v86, off, s[0:3], 0 offset:204
	v_cmp_lt_u32_e64 s[4:5], 25, v0
	s_waitcnt vmcnt(0)
	ds_write_b64 v88, v[85:86]
	s_waitcnt lgkmcnt(0)
	; wave barrier
	s_and_saveexec_b64 s[8:9], s[4:5]
	s_cbranch_execz .LBB41_156
; %bb.147:
	s_andn2_b64 vcc, exec, s[10:11]
	s_cbranch_vccnz .LBB41_149
; %bb.148:
	buffer_load_dword v85, v89, s[0:3], 0 offen
	buffer_load_dword v86, v89, s[0:3], 0 offen offset:4
	ds_read_b64 v[90:91], v88
	s_waitcnt vmcnt(0) lgkmcnt(0)
	v_mul_f64 v[85:86], v[85:86], v[90:91]
	s_cbranch_execz .LBB41_150
	s_branch .LBB41_151
.LBB41_149:
                                        ; implicit-def: $vgpr85_vgpr86
.LBB41_150:
	ds_read_b64 v[85:86], v88
.LBB41_151:
	s_and_saveexec_b64 s[12:13], s[6:7]
	s_cbranch_execz .LBB41_155
; %bb.152:
	v_subrev_u32_e32 v90, 26, v0
	s_movk_i32 s41, 0x220
	s_mov_b64 s[6:7], 0
.LBB41_153:                             ; =>This Inner Loop Header: Depth=1
	v_mov_b32_e32 v93, s40
	buffer_load_dword v91, v93, s[0:3], 0 offen
	buffer_load_dword v92, v93, s[0:3], 0 offen offset:4
	v_mov_b32_e32 v93, s41
	ds_read_b64 v[93:94], v93
	v_add_u32_e32 v90, -1, v90
	s_add_i32 s41, s41, 8
	s_add_i32 s40, s40, 8
	v_cmp_eq_u32_e32 vcc, 0, v90
	s_or_b64 s[6:7], vcc, s[6:7]
	s_waitcnt vmcnt(0) lgkmcnt(0)
	v_fma_f64 v[85:86], v[91:92], v[93:94], v[85:86]
	s_andn2_b64 exec, exec, s[6:7]
	s_cbranch_execnz .LBB41_153
; %bb.154:
	s_or_b64 exec, exec, s[6:7]
.LBB41_155:
	s_or_b64 exec, exec, s[12:13]
	v_mov_b32_e32 v90, 0
	ds_read_b64 v[90:91], v90 offset:200
	s_waitcnt lgkmcnt(0)
	v_mul_f64 v[85:86], v[85:86], v[90:91]
	buffer_store_dword v86, off, s[0:3], 0 offset:204
	buffer_store_dword v85, off, s[0:3], 0 offset:200
.LBB41_156:
	s_or_b64 exec, exec, s[8:9]
	buffer_load_dword v85, off, s[0:3], 0 offset:192
	buffer_load_dword v86, off, s[0:3], 0 offset:196
	v_cmp_lt_u32_e64 s[6:7], 24, v0
	s_waitcnt vmcnt(0)
	ds_write_b64 v88, v[85:86]
	s_waitcnt lgkmcnt(0)
	; wave barrier
	s_and_saveexec_b64 s[8:9], s[6:7]
	s_cbranch_execz .LBB41_166
; %bb.157:
	s_andn2_b64 vcc, exec, s[10:11]
	s_cbranch_vccnz .LBB41_159
; %bb.158:
	buffer_load_dword v85, v89, s[0:3], 0 offen
	buffer_load_dword v86, v89, s[0:3], 0 offen offset:4
	ds_read_b64 v[90:91], v88
	s_waitcnt vmcnt(0) lgkmcnt(0)
	v_mul_f64 v[85:86], v[85:86], v[90:91]
	s_cbranch_execz .LBB41_160
	s_branch .LBB41_161
.LBB41_159:
                                        ; implicit-def: $vgpr85_vgpr86
.LBB41_160:
	ds_read_b64 v[85:86], v88
.LBB41_161:
	s_and_saveexec_b64 s[12:13], s[4:5]
	s_cbranch_execz .LBB41_165
; %bb.162:
	v_subrev_u32_e32 v90, 25, v0
	s_movk_i32 s40, 0x218
	s_mov_b64 s[4:5], 0
.LBB41_163:                             ; =>This Inner Loop Header: Depth=1
	v_mov_b32_e32 v93, s39
	buffer_load_dword v91, v93, s[0:3], 0 offen
	buffer_load_dword v92, v93, s[0:3], 0 offen offset:4
	v_mov_b32_e32 v93, s40
	ds_read_b64 v[93:94], v93
	v_add_u32_e32 v90, -1, v90
	s_add_i32 s40, s40, 8
	s_add_i32 s39, s39, 8
	v_cmp_eq_u32_e32 vcc, 0, v90
	s_or_b64 s[4:5], vcc, s[4:5]
	s_waitcnt vmcnt(0) lgkmcnt(0)
	v_fma_f64 v[85:86], v[91:92], v[93:94], v[85:86]
	s_andn2_b64 exec, exec, s[4:5]
	s_cbranch_execnz .LBB41_163
; %bb.164:
	s_or_b64 exec, exec, s[4:5]
.LBB41_165:
	s_or_b64 exec, exec, s[12:13]
	v_mov_b32_e32 v90, 0
	ds_read_b64 v[90:91], v90 offset:192
	s_waitcnt lgkmcnt(0)
	v_mul_f64 v[85:86], v[85:86], v[90:91]
	buffer_store_dword v86, off, s[0:3], 0 offset:196
	buffer_store_dword v85, off, s[0:3], 0 offset:192
.LBB41_166:
	s_or_b64 exec, exec, s[8:9]
	buffer_load_dword v85, off, s[0:3], 0 offset:184
	buffer_load_dword v86, off, s[0:3], 0 offset:188
	v_cmp_lt_u32_e64 s[4:5], 23, v0
	s_waitcnt vmcnt(0)
	ds_write_b64 v88, v[85:86]
	s_waitcnt lgkmcnt(0)
	; wave barrier
	s_and_saveexec_b64 s[8:9], s[4:5]
	s_cbranch_execz .LBB41_176
; %bb.167:
	s_andn2_b64 vcc, exec, s[10:11]
	s_cbranch_vccnz .LBB41_169
; %bb.168:
	buffer_load_dword v85, v89, s[0:3], 0 offen
	buffer_load_dword v86, v89, s[0:3], 0 offen offset:4
	ds_read_b64 v[90:91], v88
	s_waitcnt vmcnt(0) lgkmcnt(0)
	v_mul_f64 v[85:86], v[85:86], v[90:91]
	s_cbranch_execz .LBB41_170
	s_branch .LBB41_171
.LBB41_169:
                                        ; implicit-def: $vgpr85_vgpr86
.LBB41_170:
	ds_read_b64 v[85:86], v88
.LBB41_171:
	s_and_saveexec_b64 s[12:13], s[6:7]
	s_cbranch_execz .LBB41_175
; %bb.172:
	v_subrev_u32_e32 v90, 24, v0
	s_movk_i32 s39, 0x210
	s_mov_b64 s[6:7], 0
.LBB41_173:                             ; =>This Inner Loop Header: Depth=1
	v_mov_b32_e32 v93, s38
	buffer_load_dword v91, v93, s[0:3], 0 offen
	buffer_load_dword v92, v93, s[0:3], 0 offen offset:4
	v_mov_b32_e32 v93, s39
	ds_read_b64 v[93:94], v93
	v_add_u32_e32 v90, -1, v90
	s_add_i32 s39, s39, 8
	s_add_i32 s38, s38, 8
	v_cmp_eq_u32_e32 vcc, 0, v90
	s_or_b64 s[6:7], vcc, s[6:7]
	s_waitcnt vmcnt(0) lgkmcnt(0)
	v_fma_f64 v[85:86], v[91:92], v[93:94], v[85:86]
	s_andn2_b64 exec, exec, s[6:7]
	s_cbranch_execnz .LBB41_173
; %bb.174:
	s_or_b64 exec, exec, s[6:7]
.LBB41_175:
	s_or_b64 exec, exec, s[12:13]
	v_mov_b32_e32 v90, 0
	ds_read_b64 v[90:91], v90 offset:184
	s_waitcnt lgkmcnt(0)
	v_mul_f64 v[85:86], v[85:86], v[90:91]
	buffer_store_dword v86, off, s[0:3], 0 offset:188
	buffer_store_dword v85, off, s[0:3], 0 offset:184
.LBB41_176:
	s_or_b64 exec, exec, s[8:9]
	buffer_load_dword v85, off, s[0:3], 0 offset:176
	buffer_load_dword v86, off, s[0:3], 0 offset:180
	v_cmp_lt_u32_e64 s[6:7], 22, v0
	s_waitcnt vmcnt(0)
	ds_write_b64 v88, v[85:86]
	s_waitcnt lgkmcnt(0)
	; wave barrier
	s_and_saveexec_b64 s[8:9], s[6:7]
	s_cbranch_execz .LBB41_186
; %bb.177:
	s_andn2_b64 vcc, exec, s[10:11]
	s_cbranch_vccnz .LBB41_179
; %bb.178:
	buffer_load_dword v85, v89, s[0:3], 0 offen
	buffer_load_dword v86, v89, s[0:3], 0 offen offset:4
	ds_read_b64 v[90:91], v88
	s_waitcnt vmcnt(0) lgkmcnt(0)
	v_mul_f64 v[85:86], v[85:86], v[90:91]
	s_cbranch_execz .LBB41_180
	s_branch .LBB41_181
.LBB41_179:
                                        ; implicit-def: $vgpr85_vgpr86
.LBB41_180:
	ds_read_b64 v[85:86], v88
.LBB41_181:
	s_and_saveexec_b64 s[12:13], s[4:5]
	s_cbranch_execz .LBB41_185
; %bb.182:
	v_subrev_u32_e32 v90, 23, v0
	s_movk_i32 s38, 0x208
	s_mov_b64 s[4:5], 0
.LBB41_183:                             ; =>This Inner Loop Header: Depth=1
	v_mov_b32_e32 v93, s37
	buffer_load_dword v91, v93, s[0:3], 0 offen
	buffer_load_dword v92, v93, s[0:3], 0 offen offset:4
	v_mov_b32_e32 v93, s38
	ds_read_b64 v[93:94], v93
	v_add_u32_e32 v90, -1, v90
	s_add_i32 s38, s38, 8
	s_add_i32 s37, s37, 8
	v_cmp_eq_u32_e32 vcc, 0, v90
	s_or_b64 s[4:5], vcc, s[4:5]
	s_waitcnt vmcnt(0) lgkmcnt(0)
	v_fma_f64 v[85:86], v[91:92], v[93:94], v[85:86]
	s_andn2_b64 exec, exec, s[4:5]
	s_cbranch_execnz .LBB41_183
; %bb.184:
	s_or_b64 exec, exec, s[4:5]
.LBB41_185:
	s_or_b64 exec, exec, s[12:13]
	v_mov_b32_e32 v90, 0
	ds_read_b64 v[90:91], v90 offset:176
	s_waitcnt lgkmcnt(0)
	v_mul_f64 v[85:86], v[85:86], v[90:91]
	buffer_store_dword v86, off, s[0:3], 0 offset:180
	buffer_store_dword v85, off, s[0:3], 0 offset:176
.LBB41_186:
	s_or_b64 exec, exec, s[8:9]
	buffer_load_dword v85, off, s[0:3], 0 offset:168
	buffer_load_dword v86, off, s[0:3], 0 offset:172
	v_cmp_lt_u32_e64 s[4:5], 21, v0
	s_waitcnt vmcnt(0)
	ds_write_b64 v88, v[85:86]
	s_waitcnt lgkmcnt(0)
	; wave barrier
	s_and_saveexec_b64 s[8:9], s[4:5]
	s_cbranch_execz .LBB41_196
; %bb.187:
	s_andn2_b64 vcc, exec, s[10:11]
	s_cbranch_vccnz .LBB41_189
; %bb.188:
	buffer_load_dword v85, v89, s[0:3], 0 offen
	buffer_load_dword v86, v89, s[0:3], 0 offen offset:4
	ds_read_b64 v[90:91], v88
	s_waitcnt vmcnt(0) lgkmcnt(0)
	v_mul_f64 v[85:86], v[85:86], v[90:91]
	s_cbranch_execz .LBB41_190
	s_branch .LBB41_191
.LBB41_189:
                                        ; implicit-def: $vgpr85_vgpr86
.LBB41_190:
	ds_read_b64 v[85:86], v88
.LBB41_191:
	s_and_saveexec_b64 s[12:13], s[6:7]
	s_cbranch_execz .LBB41_195
; %bb.192:
	v_subrev_u32_e32 v90, 22, v0
	s_movk_i32 s37, 0x200
	s_mov_b64 s[6:7], 0
.LBB41_193:                             ; =>This Inner Loop Header: Depth=1
	v_mov_b32_e32 v93, s36
	buffer_load_dword v91, v93, s[0:3], 0 offen
	buffer_load_dword v92, v93, s[0:3], 0 offen offset:4
	v_mov_b32_e32 v93, s37
	ds_read_b64 v[93:94], v93
	v_add_u32_e32 v90, -1, v90
	s_add_i32 s37, s37, 8
	s_add_i32 s36, s36, 8
	v_cmp_eq_u32_e32 vcc, 0, v90
	s_or_b64 s[6:7], vcc, s[6:7]
	s_waitcnt vmcnt(0) lgkmcnt(0)
	v_fma_f64 v[85:86], v[91:92], v[93:94], v[85:86]
	s_andn2_b64 exec, exec, s[6:7]
	s_cbranch_execnz .LBB41_193
; %bb.194:
	s_or_b64 exec, exec, s[6:7]
.LBB41_195:
	s_or_b64 exec, exec, s[12:13]
	v_mov_b32_e32 v90, 0
	ds_read_b64 v[90:91], v90 offset:168
	s_waitcnt lgkmcnt(0)
	v_mul_f64 v[85:86], v[85:86], v[90:91]
	buffer_store_dword v86, off, s[0:3], 0 offset:172
	buffer_store_dword v85, off, s[0:3], 0 offset:168
.LBB41_196:
	s_or_b64 exec, exec, s[8:9]
	buffer_load_dword v85, off, s[0:3], 0 offset:160
	buffer_load_dword v86, off, s[0:3], 0 offset:164
	v_cmp_lt_u32_e64 s[6:7], 20, v0
	s_waitcnt vmcnt(0)
	ds_write_b64 v88, v[85:86]
	s_waitcnt lgkmcnt(0)
	; wave barrier
	s_and_saveexec_b64 s[8:9], s[6:7]
	s_cbranch_execz .LBB41_206
; %bb.197:
	s_andn2_b64 vcc, exec, s[10:11]
	s_cbranch_vccnz .LBB41_199
; %bb.198:
	buffer_load_dword v85, v89, s[0:3], 0 offen
	buffer_load_dword v86, v89, s[0:3], 0 offen offset:4
	ds_read_b64 v[90:91], v88
	s_waitcnt vmcnt(0) lgkmcnt(0)
	v_mul_f64 v[85:86], v[85:86], v[90:91]
	s_cbranch_execz .LBB41_200
	s_branch .LBB41_201
.LBB41_199:
                                        ; implicit-def: $vgpr85_vgpr86
.LBB41_200:
	ds_read_b64 v[85:86], v88
.LBB41_201:
	s_and_saveexec_b64 s[12:13], s[4:5]
	s_cbranch_execz .LBB41_205
; %bb.202:
	v_subrev_u32_e32 v90, 21, v0
	s_movk_i32 s36, 0x1f8
	s_mov_b64 s[4:5], 0
.LBB41_203:                             ; =>This Inner Loop Header: Depth=1
	v_mov_b32_e32 v93, s35
	buffer_load_dword v91, v93, s[0:3], 0 offen
	buffer_load_dword v92, v93, s[0:3], 0 offen offset:4
	v_mov_b32_e32 v93, s36
	ds_read_b64 v[93:94], v93
	v_add_u32_e32 v90, -1, v90
	s_add_i32 s36, s36, 8
	s_add_i32 s35, s35, 8
	v_cmp_eq_u32_e32 vcc, 0, v90
	s_or_b64 s[4:5], vcc, s[4:5]
	s_waitcnt vmcnt(0) lgkmcnt(0)
	v_fma_f64 v[85:86], v[91:92], v[93:94], v[85:86]
	s_andn2_b64 exec, exec, s[4:5]
	s_cbranch_execnz .LBB41_203
; %bb.204:
	s_or_b64 exec, exec, s[4:5]
.LBB41_205:
	s_or_b64 exec, exec, s[12:13]
	v_mov_b32_e32 v90, 0
	ds_read_b64 v[90:91], v90 offset:160
	s_waitcnt lgkmcnt(0)
	v_mul_f64 v[85:86], v[85:86], v[90:91]
	buffer_store_dword v86, off, s[0:3], 0 offset:164
	buffer_store_dword v85, off, s[0:3], 0 offset:160
.LBB41_206:
	s_or_b64 exec, exec, s[8:9]
	buffer_load_dword v85, off, s[0:3], 0 offset:152
	buffer_load_dword v86, off, s[0:3], 0 offset:156
	v_cmp_lt_u32_e64 s[4:5], 19, v0
	s_waitcnt vmcnt(0)
	ds_write_b64 v88, v[85:86]
	s_waitcnt lgkmcnt(0)
	; wave barrier
	s_and_saveexec_b64 s[8:9], s[4:5]
	s_cbranch_execz .LBB41_216
; %bb.207:
	s_andn2_b64 vcc, exec, s[10:11]
	s_cbranch_vccnz .LBB41_209
; %bb.208:
	buffer_load_dword v85, v89, s[0:3], 0 offen
	buffer_load_dword v86, v89, s[0:3], 0 offen offset:4
	ds_read_b64 v[90:91], v88
	s_waitcnt vmcnt(0) lgkmcnt(0)
	v_mul_f64 v[85:86], v[85:86], v[90:91]
	s_cbranch_execz .LBB41_210
	s_branch .LBB41_211
.LBB41_209:
                                        ; implicit-def: $vgpr85_vgpr86
.LBB41_210:
	ds_read_b64 v[85:86], v88
.LBB41_211:
	s_and_saveexec_b64 s[12:13], s[6:7]
	s_cbranch_execz .LBB41_215
; %bb.212:
	v_subrev_u32_e32 v90, 20, v0
	s_movk_i32 s35, 0x1f0
	s_mov_b64 s[6:7], 0
.LBB41_213:                             ; =>This Inner Loop Header: Depth=1
	v_mov_b32_e32 v93, s34
	buffer_load_dword v91, v93, s[0:3], 0 offen
	buffer_load_dword v92, v93, s[0:3], 0 offen offset:4
	v_mov_b32_e32 v93, s35
	ds_read_b64 v[93:94], v93
	v_add_u32_e32 v90, -1, v90
	s_add_i32 s35, s35, 8
	s_add_i32 s34, s34, 8
	v_cmp_eq_u32_e32 vcc, 0, v90
	s_or_b64 s[6:7], vcc, s[6:7]
	s_waitcnt vmcnt(0) lgkmcnt(0)
	v_fma_f64 v[85:86], v[91:92], v[93:94], v[85:86]
	s_andn2_b64 exec, exec, s[6:7]
	s_cbranch_execnz .LBB41_213
; %bb.214:
	s_or_b64 exec, exec, s[6:7]
.LBB41_215:
	s_or_b64 exec, exec, s[12:13]
	v_mov_b32_e32 v90, 0
	ds_read_b64 v[90:91], v90 offset:152
	s_waitcnt lgkmcnt(0)
	v_mul_f64 v[85:86], v[85:86], v[90:91]
	buffer_store_dword v86, off, s[0:3], 0 offset:156
	buffer_store_dword v85, off, s[0:3], 0 offset:152
.LBB41_216:
	s_or_b64 exec, exec, s[8:9]
	buffer_load_dword v85, off, s[0:3], 0 offset:144
	buffer_load_dword v86, off, s[0:3], 0 offset:148
	v_cmp_lt_u32_e64 s[6:7], 18, v0
	s_waitcnt vmcnt(0)
	ds_write_b64 v88, v[85:86]
	s_waitcnt lgkmcnt(0)
	; wave barrier
	s_and_saveexec_b64 s[8:9], s[6:7]
	s_cbranch_execz .LBB41_226
; %bb.217:
	s_andn2_b64 vcc, exec, s[10:11]
	s_cbranch_vccnz .LBB41_219
; %bb.218:
	buffer_load_dword v85, v89, s[0:3], 0 offen
	buffer_load_dword v86, v89, s[0:3], 0 offen offset:4
	ds_read_b64 v[90:91], v88
	s_waitcnt vmcnt(0) lgkmcnt(0)
	v_mul_f64 v[85:86], v[85:86], v[90:91]
	s_cbranch_execz .LBB41_220
	s_branch .LBB41_221
.LBB41_219:
                                        ; implicit-def: $vgpr85_vgpr86
.LBB41_220:
	ds_read_b64 v[85:86], v88
.LBB41_221:
	s_and_saveexec_b64 s[12:13], s[4:5]
	s_cbranch_execz .LBB41_225
; %bb.222:
	v_subrev_u32_e32 v90, 19, v0
	s_movk_i32 s34, 0x1e8
	s_mov_b64 s[4:5], 0
.LBB41_223:                             ; =>This Inner Loop Header: Depth=1
	v_mov_b32_e32 v93, s33
	buffer_load_dword v91, v93, s[0:3], 0 offen
	buffer_load_dword v92, v93, s[0:3], 0 offen offset:4
	v_mov_b32_e32 v93, s34
	ds_read_b64 v[93:94], v93
	v_add_u32_e32 v90, -1, v90
	s_add_i32 s34, s34, 8
	s_add_i32 s33, s33, 8
	v_cmp_eq_u32_e32 vcc, 0, v90
	s_or_b64 s[4:5], vcc, s[4:5]
	s_waitcnt vmcnt(0) lgkmcnt(0)
	v_fma_f64 v[85:86], v[91:92], v[93:94], v[85:86]
	s_andn2_b64 exec, exec, s[4:5]
	s_cbranch_execnz .LBB41_223
; %bb.224:
	s_or_b64 exec, exec, s[4:5]
.LBB41_225:
	s_or_b64 exec, exec, s[12:13]
	v_mov_b32_e32 v90, 0
	ds_read_b64 v[90:91], v90 offset:144
	s_waitcnt lgkmcnt(0)
	v_mul_f64 v[85:86], v[85:86], v[90:91]
	buffer_store_dword v86, off, s[0:3], 0 offset:148
	buffer_store_dword v85, off, s[0:3], 0 offset:144
.LBB41_226:
	s_or_b64 exec, exec, s[8:9]
	buffer_load_dword v85, off, s[0:3], 0 offset:136
	buffer_load_dword v86, off, s[0:3], 0 offset:140
	v_cmp_lt_u32_e64 s[4:5], 17, v0
	s_waitcnt vmcnt(0)
	ds_write_b64 v88, v[85:86]
	s_waitcnt lgkmcnt(0)
	; wave barrier
	s_and_saveexec_b64 s[8:9], s[4:5]
	s_cbranch_execz .LBB41_236
; %bb.227:
	s_andn2_b64 vcc, exec, s[10:11]
	s_cbranch_vccnz .LBB41_229
; %bb.228:
	buffer_load_dword v85, v89, s[0:3], 0 offen
	buffer_load_dword v86, v89, s[0:3], 0 offen offset:4
	ds_read_b64 v[90:91], v88
	s_waitcnt vmcnt(0) lgkmcnt(0)
	v_mul_f64 v[85:86], v[85:86], v[90:91]
	s_cbranch_execz .LBB41_230
	s_branch .LBB41_231
.LBB41_229:
                                        ; implicit-def: $vgpr85_vgpr86
.LBB41_230:
	ds_read_b64 v[85:86], v88
.LBB41_231:
	s_and_saveexec_b64 s[12:13], s[6:7]
	s_cbranch_execz .LBB41_235
; %bb.232:
	v_subrev_u32_e32 v90, 18, v0
	s_movk_i32 s33, 0x1e0
	s_mov_b64 s[6:7], 0
.LBB41_233:                             ; =>This Inner Loop Header: Depth=1
	v_mov_b32_e32 v93, s31
	buffer_load_dword v91, v93, s[0:3], 0 offen
	buffer_load_dword v92, v93, s[0:3], 0 offen offset:4
	v_mov_b32_e32 v93, s33
	ds_read_b64 v[93:94], v93
	v_add_u32_e32 v90, -1, v90
	s_add_i32 s33, s33, 8
	s_add_i32 s31, s31, 8
	v_cmp_eq_u32_e32 vcc, 0, v90
	s_or_b64 s[6:7], vcc, s[6:7]
	s_waitcnt vmcnt(0) lgkmcnt(0)
	v_fma_f64 v[85:86], v[91:92], v[93:94], v[85:86]
	s_andn2_b64 exec, exec, s[6:7]
	s_cbranch_execnz .LBB41_233
; %bb.234:
	s_or_b64 exec, exec, s[6:7]
.LBB41_235:
	s_or_b64 exec, exec, s[12:13]
	v_mov_b32_e32 v90, 0
	ds_read_b64 v[90:91], v90 offset:136
	s_waitcnt lgkmcnt(0)
	v_mul_f64 v[85:86], v[85:86], v[90:91]
	buffer_store_dword v86, off, s[0:3], 0 offset:140
	buffer_store_dword v85, off, s[0:3], 0 offset:136
.LBB41_236:
	s_or_b64 exec, exec, s[8:9]
	buffer_load_dword v85, off, s[0:3], 0 offset:128
	buffer_load_dword v86, off, s[0:3], 0 offset:132
	v_cmp_lt_u32_e64 s[6:7], 16, v0
	s_waitcnt vmcnt(0)
	ds_write_b64 v88, v[85:86]
	s_waitcnt lgkmcnt(0)
	; wave barrier
	s_and_saveexec_b64 s[8:9], s[6:7]
	s_cbranch_execz .LBB41_246
; %bb.237:
	s_andn2_b64 vcc, exec, s[10:11]
	s_cbranch_vccnz .LBB41_239
; %bb.238:
	buffer_load_dword v85, v89, s[0:3], 0 offen
	buffer_load_dword v86, v89, s[0:3], 0 offen offset:4
	ds_read_b64 v[90:91], v88
	s_waitcnt vmcnt(0) lgkmcnt(0)
	v_mul_f64 v[85:86], v[85:86], v[90:91]
	s_cbranch_execz .LBB41_240
	s_branch .LBB41_241
.LBB41_239:
                                        ; implicit-def: $vgpr85_vgpr86
.LBB41_240:
	ds_read_b64 v[85:86], v88
.LBB41_241:
	s_and_saveexec_b64 s[12:13], s[4:5]
	s_cbranch_execz .LBB41_245
; %bb.242:
	v_subrev_u32_e32 v90, 17, v0
	s_movk_i32 s31, 0x1d8
	s_mov_b64 s[4:5], 0
.LBB41_243:                             ; =>This Inner Loop Header: Depth=1
	v_mov_b32_e32 v93, s30
	buffer_load_dword v91, v93, s[0:3], 0 offen
	buffer_load_dword v92, v93, s[0:3], 0 offen offset:4
	v_mov_b32_e32 v93, s31
	ds_read_b64 v[93:94], v93
	v_add_u32_e32 v90, -1, v90
	s_add_i32 s31, s31, 8
	s_add_i32 s30, s30, 8
	v_cmp_eq_u32_e32 vcc, 0, v90
	s_or_b64 s[4:5], vcc, s[4:5]
	s_waitcnt vmcnt(0) lgkmcnt(0)
	v_fma_f64 v[85:86], v[91:92], v[93:94], v[85:86]
	s_andn2_b64 exec, exec, s[4:5]
	s_cbranch_execnz .LBB41_243
; %bb.244:
	s_or_b64 exec, exec, s[4:5]
.LBB41_245:
	s_or_b64 exec, exec, s[12:13]
	v_mov_b32_e32 v90, 0
	ds_read_b64 v[90:91], v90 offset:128
	s_waitcnt lgkmcnt(0)
	v_mul_f64 v[85:86], v[85:86], v[90:91]
	buffer_store_dword v86, off, s[0:3], 0 offset:132
	buffer_store_dword v85, off, s[0:3], 0 offset:128
.LBB41_246:
	s_or_b64 exec, exec, s[8:9]
	buffer_load_dword v85, off, s[0:3], 0 offset:120
	buffer_load_dword v86, off, s[0:3], 0 offset:124
	v_cmp_lt_u32_e64 s[4:5], 15, v0
	s_waitcnt vmcnt(0)
	ds_write_b64 v88, v[85:86]
	s_waitcnt lgkmcnt(0)
	; wave barrier
	s_and_saveexec_b64 s[8:9], s[4:5]
	s_cbranch_execz .LBB41_256
; %bb.247:
	s_andn2_b64 vcc, exec, s[10:11]
	s_cbranch_vccnz .LBB41_249
; %bb.248:
	buffer_load_dword v85, v89, s[0:3], 0 offen
	buffer_load_dword v86, v89, s[0:3], 0 offen offset:4
	ds_read_b64 v[90:91], v88
	s_waitcnt vmcnt(0) lgkmcnt(0)
	v_mul_f64 v[85:86], v[85:86], v[90:91]
	s_cbranch_execz .LBB41_250
	s_branch .LBB41_251
.LBB41_249:
                                        ; implicit-def: $vgpr85_vgpr86
.LBB41_250:
	ds_read_b64 v[85:86], v88
.LBB41_251:
	s_and_saveexec_b64 s[12:13], s[6:7]
	s_cbranch_execz .LBB41_255
; %bb.252:
	v_add_u32_e32 v90, -16, v0
	s_movk_i32 s30, 0x1d0
	s_mov_b64 s[6:7], 0
.LBB41_253:                             ; =>This Inner Loop Header: Depth=1
	v_mov_b32_e32 v93, s29
	buffer_load_dword v91, v93, s[0:3], 0 offen
	buffer_load_dword v92, v93, s[0:3], 0 offen offset:4
	v_mov_b32_e32 v93, s30
	ds_read_b64 v[93:94], v93
	v_add_u32_e32 v90, -1, v90
	s_add_i32 s30, s30, 8
	s_add_i32 s29, s29, 8
	v_cmp_eq_u32_e32 vcc, 0, v90
	s_or_b64 s[6:7], vcc, s[6:7]
	s_waitcnt vmcnt(0) lgkmcnt(0)
	v_fma_f64 v[85:86], v[91:92], v[93:94], v[85:86]
	s_andn2_b64 exec, exec, s[6:7]
	s_cbranch_execnz .LBB41_253
; %bb.254:
	s_or_b64 exec, exec, s[6:7]
.LBB41_255:
	s_or_b64 exec, exec, s[12:13]
	v_mov_b32_e32 v90, 0
	ds_read_b64 v[90:91], v90 offset:120
	s_waitcnt lgkmcnt(0)
	v_mul_f64 v[85:86], v[85:86], v[90:91]
	buffer_store_dword v86, off, s[0:3], 0 offset:124
	buffer_store_dword v85, off, s[0:3], 0 offset:120
.LBB41_256:
	s_or_b64 exec, exec, s[8:9]
	buffer_load_dword v85, off, s[0:3], 0 offset:112
	buffer_load_dword v86, off, s[0:3], 0 offset:116
	v_cmp_lt_u32_e64 s[6:7], 14, v0
	s_waitcnt vmcnt(0)
	ds_write_b64 v88, v[85:86]
	s_waitcnt lgkmcnt(0)
	; wave barrier
	s_and_saveexec_b64 s[8:9], s[6:7]
	s_cbranch_execz .LBB41_266
; %bb.257:
	s_andn2_b64 vcc, exec, s[10:11]
	s_cbranch_vccnz .LBB41_259
; %bb.258:
	buffer_load_dword v85, v89, s[0:3], 0 offen
	buffer_load_dword v86, v89, s[0:3], 0 offen offset:4
	ds_read_b64 v[90:91], v88
	s_waitcnt vmcnt(0) lgkmcnt(0)
	v_mul_f64 v[85:86], v[85:86], v[90:91]
	s_cbranch_execz .LBB41_260
	s_branch .LBB41_261
.LBB41_259:
                                        ; implicit-def: $vgpr85_vgpr86
.LBB41_260:
	ds_read_b64 v[85:86], v88
.LBB41_261:
	s_and_saveexec_b64 s[12:13], s[4:5]
	s_cbranch_execz .LBB41_265
; %bb.262:
	v_add_u32_e32 v90, -15, v0
	s_movk_i32 s29, 0x1c8
	s_mov_b64 s[4:5], 0
.LBB41_263:                             ; =>This Inner Loop Header: Depth=1
	v_mov_b32_e32 v93, s28
	buffer_load_dword v91, v93, s[0:3], 0 offen
	buffer_load_dword v92, v93, s[0:3], 0 offen offset:4
	v_mov_b32_e32 v93, s29
	ds_read_b64 v[93:94], v93
	v_add_u32_e32 v90, -1, v90
	s_add_i32 s29, s29, 8
	s_add_i32 s28, s28, 8
	v_cmp_eq_u32_e32 vcc, 0, v90
	s_or_b64 s[4:5], vcc, s[4:5]
	s_waitcnt vmcnt(0) lgkmcnt(0)
	v_fma_f64 v[85:86], v[91:92], v[93:94], v[85:86]
	s_andn2_b64 exec, exec, s[4:5]
	s_cbranch_execnz .LBB41_263
; %bb.264:
	s_or_b64 exec, exec, s[4:5]
.LBB41_265:
	s_or_b64 exec, exec, s[12:13]
	v_mov_b32_e32 v90, 0
	ds_read_b64 v[90:91], v90 offset:112
	s_waitcnt lgkmcnt(0)
	v_mul_f64 v[85:86], v[85:86], v[90:91]
	buffer_store_dword v86, off, s[0:3], 0 offset:116
	buffer_store_dword v85, off, s[0:3], 0 offset:112
.LBB41_266:
	;; [unrolled: 58-line block ×15, first 2 shown]
	s_or_b64 exec, exec, s[8:9]
	buffer_load_dword v85, off, s[0:3], 0
	buffer_load_dword v86, off, s[0:3], 0 offset:4
	v_cmp_ne_u32_e32 vcc, 0, v0
	s_waitcnt vmcnt(0)
	ds_write_b64 v88, v[85:86]
	s_waitcnt lgkmcnt(0)
	; wave barrier
	s_and_saveexec_b64 s[6:7], vcc
	s_cbranch_execz .LBB41_406
; %bb.397:
	s_andn2_b64 vcc, exec, s[10:11]
	s_cbranch_vccnz .LBB41_399
; %bb.398:
	buffer_load_dword v85, v89, s[0:3], 0 offen
	buffer_load_dword v86, v89, s[0:3], 0 offen offset:4
	ds_read_b64 v[90:91], v88
	s_waitcnt vmcnt(0) lgkmcnt(0)
	v_mul_f64 v[85:86], v[85:86], v[90:91]
	s_cbranch_execz .LBB41_400
	s_branch .LBB41_401
.LBB41_399:
                                        ; implicit-def: $vgpr85_vgpr86
.LBB41_400:
	ds_read_b64 v[85:86], v88
.LBB41_401:
	s_and_saveexec_b64 s[8:9], s[4:5]
	s_cbranch_execz .LBB41_405
; %bb.402:
	v_add_u32_e32 v90, -1, v0
	s_movk_i32 s12, 0x158
	s_mov_b64 s[4:5], 0
.LBB41_403:                             ; =>This Inner Loop Header: Depth=1
	v_mov_b32_e32 v93, s14
	buffer_load_dword v91, v93, s[0:3], 0 offen
	buffer_load_dword v92, v93, s[0:3], 0 offen offset:4
	v_mov_b32_e32 v93, s12
	ds_read_b64 v[93:94], v93
	v_add_u32_e32 v90, -1, v90
	s_add_i32 s12, s12, 8
	s_add_i32 s14, s14, 8
	v_cmp_eq_u32_e32 vcc, 0, v90
	s_or_b64 s[4:5], vcc, s[4:5]
	s_waitcnt vmcnt(0) lgkmcnt(0)
	v_fma_f64 v[85:86], v[91:92], v[93:94], v[85:86]
	s_andn2_b64 exec, exec, s[4:5]
	s_cbranch_execnz .LBB41_403
; %bb.404:
	s_or_b64 exec, exec, s[4:5]
.LBB41_405:
	s_or_b64 exec, exec, s[8:9]
	v_mov_b32_e32 v90, 0
	ds_read_b64 v[90:91], v90
	s_waitcnt lgkmcnt(0)
	v_mul_f64 v[85:86], v[85:86], v[90:91]
	buffer_store_dword v86, off, s[0:3], 0 offset:4
	buffer_store_dword v85, off, s[0:3], 0
.LBB41_406:
	s_or_b64 exec, exec, s[6:7]
	s_mov_b64 s[4:5], 0
.LBB41_407:
	s_and_b64 vcc, exec, s[4:5]
	s_cbranch_vccz .LBB41_809
; %bb.408:
	buffer_load_dword v85, off, s[0:3], 0 offset:8
	buffer_load_dword v86, off, s[0:3], 0 offset:12
	v_cmp_eq_u32_e64 s[6:7], 0, v0
	s_waitcnt vmcnt(0)
	ds_write_b64 v88, v[85:86]
	s_waitcnt lgkmcnt(0)
	; wave barrier
	s_and_saveexec_b64 s[4:5], s[6:7]
	s_cbranch_execz .LBB41_414
; %bb.409:
	s_and_b64 vcc, exec, s[10:11]
	s_cbranch_vccz .LBB41_411
; %bb.410:
	buffer_load_dword v85, v89, s[0:3], 0 offen
	buffer_load_dword v86, v89, s[0:3], 0 offen offset:4
	ds_read_b64 v[90:91], v88
	s_waitcnt vmcnt(0) lgkmcnt(0)
	v_mul_f64 v[85:86], v[85:86], v[90:91]
	s_cbranch_execz .LBB41_412
	s_branch .LBB41_413
.LBB41_411:
                                        ; implicit-def: $vgpr85_vgpr86
.LBB41_412:
	ds_read_b64 v[85:86], v88
.LBB41_413:
	v_mov_b32_e32 v90, 0
	ds_read_b64 v[90:91], v90 offset:8
	s_waitcnt lgkmcnt(0)
	v_mul_f64 v[85:86], v[85:86], v[90:91]
	buffer_store_dword v86, off, s[0:3], 0 offset:12
	buffer_store_dword v85, off, s[0:3], 0 offset:8
.LBB41_414:
	s_or_b64 exec, exec, s[4:5]
	buffer_load_dword v85, off, s[0:3], 0 offset:16
	buffer_load_dword v86, off, s[0:3], 0 offset:20
	v_cndmask_b32_e64 v90, 0, 1, s[10:11]
	v_cmp_gt_u32_e32 vcc, 2, v0
	v_cmp_ne_u32_e64 s[4:5], 1, v90
	s_waitcnt vmcnt(0)
	ds_write_b64 v88, v[85:86]
	s_waitcnt lgkmcnt(0)
	; wave barrier
	s_and_saveexec_b64 s[8:9], vcc
	s_cbranch_execz .LBB41_420
; %bb.415:
	s_and_b64 vcc, exec, s[4:5]
	s_cbranch_vccnz .LBB41_417
; %bb.416:
	buffer_load_dword v85, v89, s[0:3], 0 offen
	buffer_load_dword v86, v89, s[0:3], 0 offen offset:4
	ds_read_b64 v[90:91], v88
	s_waitcnt vmcnt(0) lgkmcnt(0)
	v_mul_f64 v[85:86], v[85:86], v[90:91]
	s_cbranch_execz .LBB41_418
	s_branch .LBB41_419
.LBB41_417:
                                        ; implicit-def: $vgpr85_vgpr86
.LBB41_418:
	ds_read_b64 v[85:86], v88
.LBB41_419:
	buffer_load_dword v94, off, s[0:3], 0 offset:8
	buffer_load_dword v95, off, s[0:3], 0 offset:12
	v_mov_b32_e32 v90, 0
	ds_read2_b64 v[90:93], v90 offset0:2 offset1:43
	s_waitcnt vmcnt(0) lgkmcnt(0)
	v_fma_f64 v[92:93], v[94:95], v[92:93], v[85:86]
	v_cndmask_b32_e64 v86, v86, v93, s[6:7]
	v_cndmask_b32_e64 v85, v85, v92, s[6:7]
	v_mul_f64 v[85:86], v[85:86], v[90:91]
	buffer_store_dword v86, off, s[0:3], 0 offset:20
	buffer_store_dword v85, off, s[0:3], 0 offset:16
.LBB41_420:
	s_or_b64 exec, exec, s[8:9]
	buffer_load_dword v85, off, s[0:3], 0 offset:24
	buffer_load_dword v86, off, s[0:3], 0 offset:28
	v_cmp_gt_u32_e32 vcc, 3, v0
	s_waitcnt vmcnt(0)
	ds_write_b64 v88, v[85:86]
	s_waitcnt lgkmcnt(0)
	; wave barrier
	s_and_saveexec_b64 s[8:9], vcc
	s_cbranch_execz .LBB41_428
; %bb.421:
	s_and_b64 vcc, exec, s[4:5]
	s_cbranch_vccnz .LBB41_423
; %bb.422:
	buffer_load_dword v85, v89, s[0:3], 0 offen
	buffer_load_dword v86, v89, s[0:3], 0 offen offset:4
	ds_read_b64 v[90:91], v88
	s_waitcnt vmcnt(0) lgkmcnt(0)
	v_mul_f64 v[85:86], v[85:86], v[90:91]
	s_cbranch_execz .LBB41_424
	s_branch .LBB41_425
.LBB41_423:
                                        ; implicit-def: $vgpr85_vgpr86
.LBB41_424:
	ds_read_b64 v[85:86], v88
.LBB41_425:
	v_cmp_ne_u32_e32 vcc, 2, v0
	s_and_saveexec_b64 s[10:11], vcc
	s_cbranch_execz .LBB41_427
; %bb.426:
	buffer_load_dword v90, v89, s[0:3], 0 offen offset:8
	buffer_load_dword v91, v89, s[0:3], 0 offen offset:12
	buffer_load_dword v92, off, s[0:3], 0 offset:16
	buffer_load_dword v93, off, s[0:3], 0 offset:20
	ds_read_b64 v[94:95], v88 offset:8
	v_mov_b32_e32 v96, 0
	ds_read_b64 v[96:97], v96 offset:352
	s_waitcnt vmcnt(2) lgkmcnt(1)
	v_fma_f64 v[85:86], v[90:91], v[94:95], v[85:86]
	s_waitcnt vmcnt(0) lgkmcnt(0)
	v_fma_f64 v[90:91], v[92:93], v[96:97], v[85:86]
	v_cndmask_b32_e64 v86, v86, v91, s[6:7]
	v_cndmask_b32_e64 v85, v85, v90, s[6:7]
.LBB41_427:
	s_or_b64 exec, exec, s[10:11]
	v_mov_b32_e32 v90, 0
	ds_read_b64 v[90:91], v90 offset:24
	s_waitcnt lgkmcnt(0)
	v_mul_f64 v[85:86], v[85:86], v[90:91]
	buffer_store_dword v86, off, s[0:3], 0 offset:28
	buffer_store_dword v85, off, s[0:3], 0 offset:24
.LBB41_428:
	s_or_b64 exec, exec, s[8:9]
	buffer_load_dword v85, off, s[0:3], 0 offset:32
	buffer_load_dword v86, off, s[0:3], 0 offset:36
	v_cmp_gt_u32_e32 vcc, 4, v0
	s_waitcnt vmcnt(0)
	ds_write_b64 v88, v[85:86]
	s_waitcnt lgkmcnt(0)
	; wave barrier
	s_and_saveexec_b64 s[6:7], vcc
	s_cbranch_execz .LBB41_438
; %bb.429:
	s_and_b64 vcc, exec, s[4:5]
	s_cbranch_vccnz .LBB41_431
; %bb.430:
	buffer_load_dword v85, v89, s[0:3], 0 offen
	buffer_load_dword v86, v89, s[0:3], 0 offen offset:4
	ds_read_b64 v[90:91], v88
	s_waitcnt vmcnt(0) lgkmcnt(0)
	v_mul_f64 v[85:86], v[85:86], v[90:91]
	s_cbranch_execz .LBB41_432
	s_branch .LBB41_433
.LBB41_431:
                                        ; implicit-def: $vgpr85_vgpr86
.LBB41_432:
	ds_read_b64 v[85:86], v88
.LBB41_433:
	v_cmp_ne_u32_e32 vcc, 3, v0
	s_and_saveexec_b64 s[8:9], vcc
	s_cbranch_execz .LBB41_437
; %bb.434:
	s_mov_b32 s10, 0
	v_add_u32_e32 v90, 0x158, v87
	v_add3_u32 v91, v87, s10, 8
	s_mov_b64 s[10:11], 0
	v_mov_b32_e32 v92, v0
.LBB41_435:                             ; =>This Inner Loop Header: Depth=1
	buffer_load_dword v93, v91, s[0:3], 0 offen
	buffer_load_dword v94, v91, s[0:3], 0 offen offset:4
	ds_read_b64 v[95:96], v90
	v_add_u32_e32 v92, 1, v92
	v_cmp_lt_u32_e32 vcc, 2, v92
	v_add_u32_e32 v90, 8, v90
	s_or_b64 s[10:11], vcc, s[10:11]
	v_add_u32_e32 v91, 8, v91
	s_waitcnt vmcnt(0) lgkmcnt(0)
	v_fma_f64 v[85:86], v[93:94], v[95:96], v[85:86]
	s_andn2_b64 exec, exec, s[10:11]
	s_cbranch_execnz .LBB41_435
; %bb.436:
	s_or_b64 exec, exec, s[10:11]
.LBB41_437:
	s_or_b64 exec, exec, s[8:9]
	v_mov_b32_e32 v90, 0
	ds_read_b64 v[90:91], v90 offset:32
	s_waitcnt lgkmcnt(0)
	v_mul_f64 v[85:86], v[85:86], v[90:91]
	buffer_store_dword v86, off, s[0:3], 0 offset:36
	buffer_store_dword v85, off, s[0:3], 0 offset:32
.LBB41_438:
	s_or_b64 exec, exec, s[6:7]
	buffer_load_dword v85, off, s[0:3], 0 offset:40
	buffer_load_dword v86, off, s[0:3], 0 offset:44
	v_cmp_gt_u32_e32 vcc, 5, v0
	s_waitcnt vmcnt(0)
	ds_write_b64 v88, v[85:86]
	s_waitcnt lgkmcnt(0)
	; wave barrier
	s_and_saveexec_b64 s[6:7], vcc
	s_cbranch_execz .LBB41_448
; %bb.439:
	s_and_b64 vcc, exec, s[4:5]
	s_cbranch_vccnz .LBB41_441
; %bb.440:
	buffer_load_dword v85, v89, s[0:3], 0 offen
	buffer_load_dword v86, v89, s[0:3], 0 offen offset:4
	ds_read_b64 v[90:91], v88
	s_waitcnt vmcnt(0) lgkmcnt(0)
	v_mul_f64 v[85:86], v[85:86], v[90:91]
	s_cbranch_execz .LBB41_442
	s_branch .LBB41_443
.LBB41_441:
                                        ; implicit-def: $vgpr85_vgpr86
.LBB41_442:
	ds_read_b64 v[85:86], v88
.LBB41_443:
	v_cmp_ne_u32_e32 vcc, 4, v0
	s_and_saveexec_b64 s[8:9], vcc
	s_cbranch_execz .LBB41_447
; %bb.444:
	s_mov_b32 s10, 0
	v_add_u32_e32 v90, 0x158, v87
	v_add3_u32 v91, v87, s10, 8
	s_mov_b64 s[10:11], 0
	v_mov_b32_e32 v92, v0
.LBB41_445:                             ; =>This Inner Loop Header: Depth=1
	buffer_load_dword v93, v91, s[0:3], 0 offen
	buffer_load_dword v94, v91, s[0:3], 0 offen offset:4
	ds_read_b64 v[95:96], v90
	v_add_u32_e32 v92, 1, v92
	v_cmp_lt_u32_e32 vcc, 3, v92
	v_add_u32_e32 v90, 8, v90
	s_or_b64 s[10:11], vcc, s[10:11]
	v_add_u32_e32 v91, 8, v91
	s_waitcnt vmcnt(0) lgkmcnt(0)
	v_fma_f64 v[85:86], v[93:94], v[95:96], v[85:86]
	s_andn2_b64 exec, exec, s[10:11]
	s_cbranch_execnz .LBB41_445
; %bb.446:
	s_or_b64 exec, exec, s[10:11]
.LBB41_447:
	s_or_b64 exec, exec, s[8:9]
	v_mov_b32_e32 v90, 0
	ds_read_b64 v[90:91], v90 offset:40
	s_waitcnt lgkmcnt(0)
	v_mul_f64 v[85:86], v[85:86], v[90:91]
	buffer_store_dword v86, off, s[0:3], 0 offset:44
	buffer_store_dword v85, off, s[0:3], 0 offset:40
.LBB41_448:
	;; [unrolled: 59-line block ×36, first 2 shown]
	s_or_b64 exec, exec, s[6:7]
	buffer_load_dword v85, off, s[0:3], 0 offset:320
	buffer_load_dword v86, off, s[0:3], 0 offset:324
	v_cmp_gt_u32_e64 s[6:7], 40, v0
	s_waitcnt vmcnt(0)
	ds_write_b64 v88, v[85:86]
	s_waitcnt lgkmcnt(0)
	; wave barrier
	s_and_saveexec_b64 s[8:9], s[6:7]
	s_cbranch_execz .LBB41_798
; %bb.789:
	s_and_b64 vcc, exec, s[4:5]
	s_cbranch_vccnz .LBB41_791
; %bb.790:
	buffer_load_dword v85, v89, s[0:3], 0 offen
	buffer_load_dword v86, v89, s[0:3], 0 offen offset:4
	ds_read_b64 v[90:91], v88
	s_waitcnt vmcnt(0) lgkmcnt(0)
	v_mul_f64 v[85:86], v[85:86], v[90:91]
	s_cbranch_execz .LBB41_792
	s_branch .LBB41_793
.LBB41_791:
                                        ; implicit-def: $vgpr85_vgpr86
.LBB41_792:
	ds_read_b64 v[85:86], v88
.LBB41_793:
	v_cmp_ne_u32_e32 vcc, 39, v0
	s_and_saveexec_b64 s[10:11], vcc
	s_cbranch_execz .LBB41_797
; %bb.794:
	s_mov_b32 s12, 0
	v_add_u32_e32 v90, 0x158, v87
	v_add3_u32 v91, v87, s12, 8
	s_mov_b64 s[12:13], 0
	v_mov_b32_e32 v92, v0
.LBB41_795:                             ; =>This Inner Loop Header: Depth=1
	buffer_load_dword v93, v91, s[0:3], 0 offen
	buffer_load_dword v94, v91, s[0:3], 0 offen offset:4
	ds_read_b64 v[95:96], v90
	v_add_u32_e32 v92, 1, v92
	v_cmp_lt_u32_e32 vcc, 38, v92
	v_add_u32_e32 v90, 8, v90
	s_or_b64 s[12:13], vcc, s[12:13]
	v_add_u32_e32 v91, 8, v91
	s_waitcnt vmcnt(0) lgkmcnt(0)
	v_fma_f64 v[85:86], v[93:94], v[95:96], v[85:86]
	s_andn2_b64 exec, exec, s[12:13]
	s_cbranch_execnz .LBB41_795
; %bb.796:
	s_or_b64 exec, exec, s[12:13]
.LBB41_797:
	s_or_b64 exec, exec, s[10:11]
	v_mov_b32_e32 v90, 0
	ds_read_b64 v[90:91], v90 offset:320
	s_waitcnt lgkmcnt(0)
	v_mul_f64 v[85:86], v[85:86], v[90:91]
	buffer_store_dword v86, off, s[0:3], 0 offset:324
	buffer_store_dword v85, off, s[0:3], 0 offset:320
.LBB41_798:
	s_or_b64 exec, exec, s[8:9]
	buffer_load_dword v85, off, s[0:3], 0 offset:328
	buffer_load_dword v86, off, s[0:3], 0 offset:332
	v_cmp_ne_u32_e32 vcc, 41, v0
	s_waitcnt vmcnt(0)
	ds_write_b64 v88, v[85:86]
	s_waitcnt lgkmcnt(0)
	; wave barrier
	s_and_saveexec_b64 s[8:9], vcc
	s_cbranch_execz .LBB41_808
; %bb.799:
	s_and_b64 vcc, exec, s[4:5]
	s_cbranch_vccnz .LBB41_801
; %bb.800:
	buffer_load_dword v85, v89, s[0:3], 0 offen
	buffer_load_dword v86, v89, s[0:3], 0 offen offset:4
	ds_read_b64 v[89:90], v88
	s_waitcnt vmcnt(0) lgkmcnt(0)
	v_mul_f64 v[85:86], v[85:86], v[89:90]
	s_cbranch_execz .LBB41_802
	s_branch .LBB41_803
.LBB41_801:
                                        ; implicit-def: $vgpr85_vgpr86
.LBB41_802:
	ds_read_b64 v[85:86], v88
.LBB41_803:
	s_and_saveexec_b64 s[4:5], s[6:7]
	s_cbranch_execz .LBB41_807
; %bb.804:
	s_mov_b32 s6, 0
	v_add_u32_e32 v88, 0x158, v87
	v_add3_u32 v87, v87, s6, 8
	s_mov_b64 s[6:7], 0
.LBB41_805:                             ; =>This Inner Loop Header: Depth=1
	buffer_load_dword v89, v87, s[0:3], 0 offen
	buffer_load_dword v90, v87, s[0:3], 0 offen offset:4
	ds_read_b64 v[91:92], v88
	v_add_u32_e32 v0, 1, v0
	v_cmp_lt_u32_e32 vcc, 39, v0
	v_add_u32_e32 v88, 8, v88
	s_or_b64 s[6:7], vcc, s[6:7]
	v_add_u32_e32 v87, 8, v87
	s_waitcnt vmcnt(0) lgkmcnt(0)
	v_fma_f64 v[85:86], v[89:90], v[91:92], v[85:86]
	s_andn2_b64 exec, exec, s[6:7]
	s_cbranch_execnz .LBB41_805
; %bb.806:
	s_or_b64 exec, exec, s[6:7]
.LBB41_807:
	s_or_b64 exec, exec, s[4:5]
	v_mov_b32_e32 v0, 0
	ds_read_b64 v[87:88], v0 offset:328
	s_waitcnt lgkmcnt(0)
	v_mul_f64 v[85:86], v[85:86], v[87:88]
	buffer_store_dword v86, off, s[0:3], 0 offset:332
	buffer_store_dword v85, off, s[0:3], 0 offset:328
.LBB41_808:
	s_or_b64 exec, exec, s[8:9]
.LBB41_809:
	buffer_load_dword v85, off, s[0:3], 0
	buffer_load_dword v86, off, s[0:3], 0 offset:4
	buffer_load_dword v87, off, s[0:3], 0 offset:8
	;; [unrolled: 1-line block ×39, first 2 shown]
	s_waitcnt vmcnt(38)
	global_store_dwordx2 v[81:82], v[85:86], off
	s_waitcnt vmcnt(37)
	global_store_dwordx2 v[83:84], v[87:88], off
	buffer_load_dword v81, off, s[0:3], 0 offset:160
	buffer_load_dword v82, off, s[0:3], 0 offset:164
	s_nop 0
	buffer_load_dword v83, off, s[0:3], 0 offset:168
	buffer_load_dword v84, off, s[0:3], 0 offset:172
	buffer_load_dword v85, off, s[0:3], 0 offset:176
	buffer_load_dword v86, off, s[0:3], 0 offset:180
	buffer_load_dword v87, off, s[0:3], 0 offset:184
	buffer_load_dword v88, off, s[0:3], 0 offset:188
	s_waitcnt vmcnt(44)
	global_store_dwordx2 v[1:2], v[89:90], off
	s_waitcnt vmcnt(43)
	global_store_dwordx2 v[7:8], v[91:92], off
	buffer_load_dword v0, off, s[0:3], 0 offset:192
	buffer_load_dword v1, off, s[0:3], 0 offset:196
	s_nop 0
	buffer_load_dword v7, off, s[0:3], 0 offset:200
	buffer_load_dword v8, off, s[0:3], 0 offset:204
	buffer_load_dword v89, off, s[0:3], 0 offset:208
	buffer_load_dword v90, off, s[0:3], 0 offset:212
	buffer_load_dword v91, off, s[0:3], 0 offset:216
	buffer_load_dword v92, off, s[0:3], 0 offset:220
	;; [unrolled: 13-line block ×3, first 2 shown]
	s_waitcnt vmcnt(56)
	global_store_dwordx2 v[5:6], v[97:98], off
	s_waitcnt vmcnt(55)
	global_store_dwordx2 v[11:12], v[99:100], off
	;; [unrolled: 2-line block ×3, first 2 shown]
	global_store_dwordx2 v[19:20], v[103:104], off
	global_store_dwordx2 v[23:24], v[105:106], off
	buffer_load_dword v4, off, s[0:3], 0 offset:256
	buffer_load_dword v5, off, s[0:3], 0 offset:260
	;; [unrolled: 1-line block ×20, first 2 shown]
	s_nop 0
	global_store_dwordx2 v[13:14], v[107:108], off
	s_waitcnt vmcnt(62)
	global_store_dwordx2 v[17:18], v[109:110], off
	global_store_dwordx2 v[21:22], v[111:112], off
	;; [unrolled: 1-line block ×5, first 2 shown]
	s_waitcnt vmcnt(62)
	global_store_dwordx2 v[31:32], v[119:120], off
	global_store_dwordx2 v[33:34], v[121:122], off
	s_waitcnt vmcnt(62)
	global_store_dwordx2 v[35:36], v[123:124], off
	s_waitcnt vmcnt(60)
	;; [unrolled: 2-line block ×23, first 2 shown]
	global_store_dwordx2 v[79:80], v[105:106], off
.LBB41_810:
	s_endpgm
	.section	.rodata,"a",@progbits
	.p2align	6, 0x0
	.amdhsa_kernel _ZN9rocsolver6v33100L18trti2_kernel_smallILi42EdPdEEv13rocblas_fill_17rocblas_diagonal_T1_iil
		.amdhsa_group_segment_fixed_size 672
		.amdhsa_private_segment_fixed_size 352
		.amdhsa_kernarg_size 32
		.amdhsa_user_sgpr_count 6
		.amdhsa_user_sgpr_private_segment_buffer 1
		.amdhsa_user_sgpr_dispatch_ptr 0
		.amdhsa_user_sgpr_queue_ptr 0
		.amdhsa_user_sgpr_kernarg_segment_ptr 1
		.amdhsa_user_sgpr_dispatch_id 0
		.amdhsa_user_sgpr_flat_scratch_init 0
		.amdhsa_user_sgpr_private_segment_size 0
		.amdhsa_uses_dynamic_stack 0
		.amdhsa_system_sgpr_private_segment_wavefront_offset 1
		.amdhsa_system_sgpr_workgroup_id_x 1
		.amdhsa_system_sgpr_workgroup_id_y 0
		.amdhsa_system_sgpr_workgroup_id_z 0
		.amdhsa_system_sgpr_workgroup_info 0
		.amdhsa_system_vgpr_workitem_id 0
		.amdhsa_next_free_vgpr 125
		.amdhsa_next_free_sgpr 55
		.amdhsa_reserve_vcc 1
		.amdhsa_reserve_flat_scratch 0
		.amdhsa_float_round_mode_32 0
		.amdhsa_float_round_mode_16_64 0
		.amdhsa_float_denorm_mode_32 3
		.amdhsa_float_denorm_mode_16_64 3
		.amdhsa_dx10_clamp 1
		.amdhsa_ieee_mode 1
		.amdhsa_fp16_overflow 0
		.amdhsa_exception_fp_ieee_invalid_op 0
		.amdhsa_exception_fp_denorm_src 0
		.amdhsa_exception_fp_ieee_div_zero 0
		.amdhsa_exception_fp_ieee_overflow 0
		.amdhsa_exception_fp_ieee_underflow 0
		.amdhsa_exception_fp_ieee_inexact 0
		.amdhsa_exception_int_div_zero 0
	.end_amdhsa_kernel
	.section	.text._ZN9rocsolver6v33100L18trti2_kernel_smallILi42EdPdEEv13rocblas_fill_17rocblas_diagonal_T1_iil,"axG",@progbits,_ZN9rocsolver6v33100L18trti2_kernel_smallILi42EdPdEEv13rocblas_fill_17rocblas_diagonal_T1_iil,comdat
.Lfunc_end41:
	.size	_ZN9rocsolver6v33100L18trti2_kernel_smallILi42EdPdEEv13rocblas_fill_17rocblas_diagonal_T1_iil, .Lfunc_end41-_ZN9rocsolver6v33100L18trti2_kernel_smallILi42EdPdEEv13rocblas_fill_17rocblas_diagonal_T1_iil
                                        ; -- End function
	.set _ZN9rocsolver6v33100L18trti2_kernel_smallILi42EdPdEEv13rocblas_fill_17rocblas_diagonal_T1_iil.num_vgpr, 125
	.set _ZN9rocsolver6v33100L18trti2_kernel_smallILi42EdPdEEv13rocblas_fill_17rocblas_diagonal_T1_iil.num_agpr, 0
	.set _ZN9rocsolver6v33100L18trti2_kernel_smallILi42EdPdEEv13rocblas_fill_17rocblas_diagonal_T1_iil.numbered_sgpr, 55
	.set _ZN9rocsolver6v33100L18trti2_kernel_smallILi42EdPdEEv13rocblas_fill_17rocblas_diagonal_T1_iil.num_named_barrier, 0
	.set _ZN9rocsolver6v33100L18trti2_kernel_smallILi42EdPdEEv13rocblas_fill_17rocblas_diagonal_T1_iil.private_seg_size, 352
	.set _ZN9rocsolver6v33100L18trti2_kernel_smallILi42EdPdEEv13rocblas_fill_17rocblas_diagonal_T1_iil.uses_vcc, 1
	.set _ZN9rocsolver6v33100L18trti2_kernel_smallILi42EdPdEEv13rocblas_fill_17rocblas_diagonal_T1_iil.uses_flat_scratch, 0
	.set _ZN9rocsolver6v33100L18trti2_kernel_smallILi42EdPdEEv13rocblas_fill_17rocblas_diagonal_T1_iil.has_dyn_sized_stack, 0
	.set _ZN9rocsolver6v33100L18trti2_kernel_smallILi42EdPdEEv13rocblas_fill_17rocblas_diagonal_T1_iil.has_recursion, 0
	.set _ZN9rocsolver6v33100L18trti2_kernel_smallILi42EdPdEEv13rocblas_fill_17rocblas_diagonal_T1_iil.has_indirect_call, 0
	.section	.AMDGPU.csdata,"",@progbits
; Kernel info:
; codeLenInByte = 24628
; TotalNumSgprs: 59
; NumVgprs: 125
; ScratchSize: 352
; MemoryBound: 0
; FloatMode: 240
; IeeeMode: 1
; LDSByteSize: 672 bytes/workgroup (compile time only)
; SGPRBlocks: 7
; VGPRBlocks: 31
; NumSGPRsForWavesPerEU: 59
; NumVGPRsForWavesPerEU: 125
; Occupancy: 2
; WaveLimiterHint : 0
; COMPUTE_PGM_RSRC2:SCRATCH_EN: 1
; COMPUTE_PGM_RSRC2:USER_SGPR: 6
; COMPUTE_PGM_RSRC2:TRAP_HANDLER: 0
; COMPUTE_PGM_RSRC2:TGID_X_EN: 1
; COMPUTE_PGM_RSRC2:TGID_Y_EN: 0
; COMPUTE_PGM_RSRC2:TGID_Z_EN: 0
; COMPUTE_PGM_RSRC2:TIDIG_COMP_CNT: 0
	.section	.text._ZN9rocsolver6v33100L18trti2_kernel_smallILi43EdPdEEv13rocblas_fill_17rocblas_diagonal_T1_iil,"axG",@progbits,_ZN9rocsolver6v33100L18trti2_kernel_smallILi43EdPdEEv13rocblas_fill_17rocblas_diagonal_T1_iil,comdat
	.globl	_ZN9rocsolver6v33100L18trti2_kernel_smallILi43EdPdEEv13rocblas_fill_17rocblas_diagonal_T1_iil ; -- Begin function _ZN9rocsolver6v33100L18trti2_kernel_smallILi43EdPdEEv13rocblas_fill_17rocblas_diagonal_T1_iil
	.p2align	8
	.type	_ZN9rocsolver6v33100L18trti2_kernel_smallILi43EdPdEEv13rocblas_fill_17rocblas_diagonal_T1_iil,@function
_ZN9rocsolver6v33100L18trti2_kernel_smallILi43EdPdEEv13rocblas_fill_17rocblas_diagonal_T1_iil: ; @_ZN9rocsolver6v33100L18trti2_kernel_smallILi43EdPdEEv13rocblas_fill_17rocblas_diagonal_T1_iil
; %bb.0:
	s_add_u32 s0, s0, s7
	s_addc_u32 s1, s1, 0
	v_cmp_gt_u32_e32 vcc, 43, v0
	s_and_saveexec_b64 s[8:9], vcc
	s_cbranch_execz .LBB42_830
; %bb.1:
	s_load_dwordx8 s[8:15], s[4:5], 0x0
	s_ashr_i32 s7, s6, 31
	v_lshlrev_b32_e32 v89, 3, v0
	s_waitcnt lgkmcnt(0)
	s_ashr_i32 s5, s12, 31
	s_mov_b32 s4, s12
	s_mul_hi_u32 s12, s14, s6
	s_mul_i32 s7, s14, s7
	s_add_i32 s7, s12, s7
	s_mul_i32 s12, s15, s6
	s_add_i32 s7, s7, s12
	s_mul_i32 s6, s14, s6
	s_lshl_b64 s[6:7], s[6:7], 3
	s_add_u32 s6, s10, s6
	s_addc_u32 s7, s11, s7
	s_lshl_b64 s[4:5], s[4:5], 3
	s_add_u32 s4, s6, s4
	s_addc_u32 s5, s7, s5
	s_add_i32 s6, s13, s13
	v_add_u32_e32 v1, s6, v0
	v_ashrrev_i32_e32 v2, 31, v1
	v_lshlrev_b64 v[2:3], 3, v[1:2]
	v_mov_b32_e32 v4, s5
	v_add_co_u32_e32 v5, vcc, s4, v2
	v_addc_co_u32_e32 v6, vcc, v4, v3, vcc
	v_add_u32_e32 v3, s13, v1
	v_ashrrev_i32_e32 v4, 31, v3
	v_lshlrev_b64 v[1:2], 3, v[3:4]
	v_mov_b32_e32 v4, s5
	v_add_co_u32_e32 v1, vcc, s4, v1
	v_add_u32_e32 v3, s13, v3
	v_addc_co_u32_e32 v2, vcc, v4, v2, vcc
	v_ashrrev_i32_e32 v4, 31, v3
	v_lshlrev_b64 v[7:8], 3, v[3:4]
	v_mov_b32_e32 v4, s5
	v_add_co_u32_e32 v9, vcc, s4, v7
	v_add_u32_e32 v7, s13, v3
	v_addc_co_u32_e32 v10, vcc, v4, v8, vcc
	;; [unrolled: 6-line block ×3, first 2 shown]
	v_ashrrev_i32_e32 v8, 31, v7
	v_lshlrev_b64 v[11:12], 3, v[7:8]
	v_add_u32_e32 v13, s13, v7
	v_mov_b32_e32 v8, s5
	v_add_co_u32_e32 v11, vcc, s4, v11
	v_ashrrev_i32_e32 v14, 31, v13
	v_addc_co_u32_e32 v12, vcc, v8, v12, vcc
	v_lshlrev_b64 v[7:8], 3, v[13:14]
	v_add_u32_e32 v15, s13, v13
	v_mov_b32_e32 v14, s5
	v_add_co_u32_e32 v7, vcc, s4, v7
	v_ashrrev_i32_e32 v16, 31, v15
	v_addc_co_u32_e32 v8, vcc, v14, v8, vcc
	v_lshlrev_b64 v[13:14], 3, v[15:16]
	v_mov_b32_e32 v16, s5
	v_add_co_u32_e32 v13, vcc, s4, v13
	v_add_u32_e32 v15, s13, v15
	v_addc_co_u32_e32 v14, vcc, v16, v14, vcc
	v_ashrrev_i32_e32 v16, 31, v15
	v_lshlrev_b64 v[17:18], 3, v[15:16]
	v_mov_b32_e32 v16, s5
	v_add_co_u32_e32 v17, vcc, s4, v17
	v_add_u32_e32 v15, s13, v15
	v_addc_co_u32_e32 v18, vcc, v16, v18, vcc
	v_ashrrev_i32_e32 v16, 31, v15
	v_lshlrev_b64 v[19:20], 3, v[15:16]
	v_add_u32_e32 v15, s13, v15
	v_mov_b32_e32 v22, s5
	v_add_co_u32_e32 v21, vcc, s4, v19
	v_ashrrev_i32_e32 v16, 31, v15
	v_addc_co_u32_e32 v22, vcc, v22, v20, vcc
	v_lshlrev_b64 v[19:20], 3, v[15:16]
	v_mov_b32_e32 v23, s5
	v_add_co_u32_e32 v25, vcc, s4, v19
	v_add_u32_e32 v19, s13, v15
	v_addc_co_u32_e32 v26, vcc, v23, v20, vcc
	v_ashrrev_i32_e32 v20, 31, v19
	v_lshlrev_b64 v[15:16], 3, v[19:20]
	v_mov_b32_e32 v27, s5
	v_add_co_u32_e32 v15, vcc, s4, v15
	v_addc_co_u32_e32 v16, vcc, v23, v16, vcc
	v_add_u32_e32 v23, s13, v19
	v_ashrrev_i32_e32 v24, 31, v23
	v_lshlrev_b64 v[19:20], 3, v[23:24]
	v_mov_b32_e32 v29, s5
	v_add_co_u32_e32 v19, vcc, s4, v19
	v_addc_co_u32_e32 v20, vcc, v27, v20, vcc
	v_add_u32_e32 v27, s13, v23
	;; [unrolled: 6-line block ×22, first 2 shown]
	v_ashrrev_i32_e32 v68, 31, v67
	v_lshlrev_b64 v[65:66], 3, v[67:68]
	global_load_dwordx2 v[87:88], v89, s[4:5]
	global_load_dwordx2 v[92:93], v[5:6], off
	global_load_dwordx2 v[94:95], v[1:2], off
	;; [unrolled: 1-line block ×3, first 2 shown]
	v_add_co_u32_e32 v65, vcc, s4, v65
	v_addc_co_u32_e32 v66, vcc, v69, v66, vcc
	v_add_u32_e32 v69, s13, v67
	v_ashrrev_i32_e32 v70, 31, v69
	v_lshlrev_b64 v[67:68], 3, v[69:70]
	v_mov_b32_e32 v70, s5
	v_add_co_u32_e32 v85, vcc, s4, v89
	s_ashr_i32 s7, s13, 31
	s_mov_b32 s6, s13
	v_addc_co_u32_e32 v86, vcc, 0, v70, vcc
	s_lshl_b64 s[6:7], s[6:7], 3
	v_mov_b32_e32 v70, s7
	v_add_co_u32_e32 v83, vcc, s6, v85
	v_addc_co_u32_e32 v84, vcc, v86, v70, vcc
	global_load_dwordx2 v[90:91], v[83:84], off
	global_load_dwordx2 v[96:97], v[9:10], off
	;; [unrolled: 1-line block ×4, first 2 shown]
	v_mov_b32_e32 v71, s5
	v_add_co_u32_e32 v67, vcc, s4, v67
	v_addc_co_u32_e32 v68, vcc, v71, v68, vcc
	v_add_u32_e32 v71, s13, v69
	v_ashrrev_i32_e32 v72, 31, v71
	v_lshlrev_b64 v[69:70], 3, v[71:72]
	v_mov_b32_e32 v73, s5
	v_add_co_u32_e32 v69, vcc, s4, v69
	v_addc_co_u32_e32 v70, vcc, v73, v70, vcc
	v_add_u32_e32 v73, s13, v71
	v_ashrrev_i32_e32 v74, 31, v73
	v_lshlrev_b64 v[71:72], 3, v[73:74]
	;; [unrolled: 6-line block ×6, first 2 shown]
	v_add_u32_e32 v81, s13, v81
	v_ashrrev_i32_e32 v82, 31, v81
	v_mov_b32_e32 v104, s5
	v_add_co_u32_e32 v79, vcc, s4, v79
	v_lshlrev_b64 v[81:82], 3, v[81:82]
	v_addc_co_u32_e32 v80, vcc, v104, v80, vcc
	v_mov_b32_e32 v118, s5
	v_add_co_u32_e32 v81, vcc, s4, v81
	global_load_dwordx2 v[104:105], v[13:14], off
	global_load_dwordx2 v[106:107], v[17:18], off
	;; [unrolled: 1-line block ×7, first 2 shown]
	v_addc_co_u32_e32 v82, vcc, v118, v82, vcc
	global_load_dwordx2 v[118:119], v[27:28], off
	global_load_dwordx2 v[120:121], v[81:82], off
	;; [unrolled: 1-line block ×3, first 2 shown]
	s_waitcnt vmcnt(17)
	buffer_store_dword v88, off, s[0:3], 0 offset:4
	buffer_store_dword v87, off, s[0:3], 0
	global_load_dwordx2 v[87:88], v[31:32], off
	s_waitcnt vmcnt(16)
	buffer_store_dword v91, off, s[0:3], 0 offset:12
	buffer_store_dword v90, off, s[0:3], 0 offset:8
	global_load_dwordx2 v[90:91], v[33:34], off
	s_nop 0
	buffer_store_dword v93, off, s[0:3], 0 offset:20
	buffer_store_dword v92, off, s[0:3], 0 offset:16
	global_load_dwordx2 v[92:93], v[35:36], off
	s_nop 0
	buffer_store_dword v95, off, s[0:3], 0 offset:28
	buffer_store_dword v94, off, s[0:3], 0 offset:24
	global_load_dwordx2 v[94:95], v[37:38], off
	s_waitcnt vmcnt(24)
	buffer_store_dword v97, off, s[0:3], 0 offset:36
	buffer_store_dword v96, off, s[0:3], 0 offset:32
	global_load_dwordx2 v[96:97], v[39:40], off
	s_nop 0
	buffer_store_dword v99, off, s[0:3], 0 offset:44
	buffer_store_dword v98, off, s[0:3], 0 offset:40
	global_load_dwordx2 v[98:99], v[41:42], off
	s_waitcnt vmcnt(29)
	buffer_store_dword v101, off, s[0:3], 0 offset:52
	buffer_store_dword v100, off, s[0:3], 0 offset:48
	global_load_dwordx2 v[100:101], v[43:44], off
	s_waitcnt vmcnt(31)
	;; [unrolled: 4-line block ×3, first 2 shown]
	buffer_store_dword v105, off, s[0:3], 0 offset:68
	buffer_store_dword v104, off, s[0:3], 0 offset:64
	s_waitcnt vmcnt(34)
	buffer_store_dword v106, off, s[0:3], 0 offset:72
	buffer_store_dword v107, off, s[0:3], 0 offset:76
	s_waitcnt vmcnt(35)
	;; [unrolled: 3-line block ×8, first 2 shown]
	buffer_store_dword v122, off, s[0:3], 0 offset:128
	buffer_store_dword v123, off, s[0:3], 0 offset:132
	global_load_dwordx2 v[104:105], v[47:48], off
	global_load_dwordx2 v[106:107], v[49:50], off
	;; [unrolled: 1-line block ×9, first 2 shown]
	s_cmpk_lg_i32 s9, 0x84
	s_waitcnt vmcnt(48)
	buffer_store_dword v87, off, s[0:3], 0 offset:136
	buffer_store_dword v88, off, s[0:3], 0 offset:140
	global_load_dwordx2 v[87:88], v[51:52], off
	s_cselect_b64 s[10:11], -1, 0
	s_waitcnt vmcnt(48)
	buffer_store_dword v90, off, s[0:3], 0 offset:144
	buffer_store_dword v91, off, s[0:3], 0 offset:148
	global_load_dwordx2 v[90:91], v[55:56], off
	s_cmpk_eq_i32 s9, 0x84
	s_waitcnt vmcnt(48)
	buffer_store_dword v93, off, s[0:3], 0 offset:156
	buffer_store_dword v92, off, s[0:3], 0 offset:152
	global_load_dwordx2 v[92:93], v[59:60], off
	s_waitcnt vmcnt(48)
	buffer_store_dword v95, off, s[0:3], 0 offset:164
	buffer_store_dword v94, off, s[0:3], 0 offset:160
	global_load_dwordx2 v[94:95], v[63:64], off
	;; [unrolled: 4-line block ×6, first 2 shown]
	s_waitcnt vmcnt(32)
	buffer_store_dword v105, off, s[0:3], 0 offset:204
	buffer_store_dword v104, off, s[0:3], 0 offset:200
	s_waitcnt vmcnt(33)
	buffer_store_dword v107, off, s[0:3], 0 offset:212
	buffer_store_dword v106, off, s[0:3], 0 offset:208
	;; [unrolled: 3-line block ×3, first 2 shown]
	buffer_store_dword v108, off, s[0:3], 0 offset:224
	buffer_store_dword v109, off, s[0:3], 0 offset:228
	s_waitcnt vmcnt(26)
	buffer_store_dword v90, off, s[0:3], 0 offset:232
	buffer_store_dword v91, off, s[0:3], 0 offset:236
	buffer_store_dword v110, off, s[0:3], 0 offset:240
	buffer_store_dword v111, off, s[0:3], 0 offset:244
	s_waitcnt vmcnt(27)
	buffer_store_dword v93, off, s[0:3], 0 offset:252
	buffer_store_dword v92, off, s[0:3], 0 offset:248
	;; [unrolled: 5-line block ×7, first 2 shown]
	buffer_store_dword v120, off, s[0:3], 0 offset:336
	v_mov_b32_e32 v87, 0
	v_mov_b32_e32 v88, 0xbff00000
	buffer_store_dword v121, off, s[0:3], 0 offset:340
	s_cbranch_scc1 .LBB42_3
; %bb.2:
	v_mov_b32_e32 v87, 0
	v_lshl_add_u32 v98, v0, 3, v87
	buffer_load_dword v87, v98, s[0:3], 0 offen
	buffer_load_dword v88, v98, s[0:3], 0 offen offset:4
	s_waitcnt vmcnt(0)
	v_div_scale_f64 v[90:91], s[4:5], v[87:88], v[87:88], 1.0
	v_rcp_f64_e32 v[92:93], v[90:91]
	v_fma_f64 v[94:95], -v[90:91], v[92:93], 1.0
	v_fma_f64 v[92:93], v[92:93], v[94:95], v[92:93]
	v_div_scale_f64 v[94:95], vcc, 1.0, v[87:88], 1.0
	v_fma_f64 v[96:97], -v[90:91], v[92:93], 1.0
	v_fma_f64 v[92:93], v[92:93], v[96:97], v[92:93]
	v_mul_f64 v[96:97], v[94:95], v[92:93]
	v_fma_f64 v[90:91], -v[90:91], v[96:97], v[94:95]
	v_div_fmas_f64 v[90:91], v[90:91], v[92:93], v[96:97]
	v_div_fixup_f64 v[87:88], v[90:91], v[87:88], 1.0
	buffer_store_dword v87, v98, s[0:3], 0 offen
	buffer_store_dword v88, v98, s[0:3], 0 offen offset:4
	v_xor_b32_e32 v88, 0x80000000, v88
.LBB42_3:
	s_cmpk_eq_i32 s8, 0x79
	v_add_u32_e32 v90, 0x160, v89
	v_mov_b32_e32 v91, v89
	s_mov_b64 s[4:5], -1
	ds_write_b64 v89, v[87:88]
	s_cbranch_scc1 .LBB42_417
; %bb.4:
	buffer_load_dword v87, off, s[0:3], 0 offset:328
	buffer_load_dword v88, off, s[0:3], 0 offset:332
	s_movk_i32 s12, 0x48
	s_movk_i32 s13, 0x50
	;; [unrolled: 1-line block ×32, first 2 shown]
	v_cmp_eq_u32_e64 s[4:5], 42, v0
	s_waitcnt vmcnt(0)
	ds_write_b64 v90, v[87:88]
	s_waitcnt lgkmcnt(0)
	; wave barrier
	s_and_saveexec_b64 s[6:7], s[4:5]
	s_cbranch_execz .LBB42_10
; %bb.5:
	s_and_b64 vcc, exec, s[10:11]
	s_cbranch_vccz .LBB42_7
; %bb.6:
	buffer_load_dword v87, v91, s[0:3], 0 offen
	buffer_load_dword v88, v91, s[0:3], 0 offen offset:4
	ds_read_b64 v[92:93], v90
	s_waitcnt vmcnt(0) lgkmcnt(0)
	v_mul_f64 v[87:88], v[87:88], v[92:93]
	s_cbranch_execz .LBB42_8
	s_branch .LBB42_9
.LBB42_7:
                                        ; implicit-def: $vgpr87_vgpr88
.LBB42_8:
	ds_read_b64 v[87:88], v90
.LBB42_9:
	v_mov_b32_e32 v92, 0
	ds_read_b64 v[92:93], v92 offset:328
	s_waitcnt lgkmcnt(0)
	v_mul_f64 v[87:88], v[87:88], v[92:93]
	buffer_store_dword v88, off, s[0:3], 0 offset:332
	buffer_store_dword v87, off, s[0:3], 0 offset:328
.LBB42_10:
	s_or_b64 exec, exec, s[6:7]
	buffer_load_dword v87, off, s[0:3], 0 offset:320
	buffer_load_dword v88, off, s[0:3], 0 offset:324
	s_or_b32 s14, 0, 8
	s_mov_b32 s15, 16
	s_mov_b32 s16, 24
	s_mov_b32 s17, 32
	s_mov_b32 s18, 40
	s_mov_b32 s19, 48
	s_mov_b32 s20, 56
	s_mov_b32 s21, 64
	s_mov_b32 s22, s12
	s_mov_b32 s23, s13
	v_cmp_lt_u32_e64 s[6:7], 40, v0
	s_waitcnt vmcnt(0)
	ds_write_b64 v90, v[87:88]
	s_waitcnt lgkmcnt(0)
	; wave barrier
	s_and_saveexec_b64 s[8:9], s[6:7]
	s_cbranch_execz .LBB42_16
; %bb.11:
	s_andn2_b64 vcc, exec, s[10:11]
	s_cbranch_vccnz .LBB42_13
; %bb.12:
	buffer_load_dword v87, v91, s[0:3], 0 offen
	buffer_load_dword v88, v91, s[0:3], 0 offen offset:4
	ds_read_b64 v[92:93], v90
	s_waitcnt vmcnt(0) lgkmcnt(0)
	v_mul_f64 v[87:88], v[87:88], v[92:93]
	s_cbranch_execz .LBB42_14
	s_branch .LBB42_15
.LBB42_13:
                                        ; implicit-def: $vgpr87_vgpr88
.LBB42_14:
	ds_read_b64 v[87:88], v90
.LBB42_15:
	buffer_load_dword v96, off, s[0:3], 0 offset:328
	buffer_load_dword v97, off, s[0:3], 0 offset:332
	v_mov_b32_e32 v92, 0
	ds_read2_b64 v[92:95], v92 offset0:40 offset1:85
	s_waitcnt vmcnt(0) lgkmcnt(0)
	v_fma_f64 v[94:95], v[96:97], v[94:95], v[87:88]
	v_cndmask_b32_e64 v88, v88, v95, s[4:5]
	v_cndmask_b32_e64 v87, v87, v94, s[4:5]
	v_mul_f64 v[87:88], v[87:88], v[92:93]
	buffer_store_dword v88, off, s[0:3], 0 offset:324
	buffer_store_dword v87, off, s[0:3], 0 offset:320
.LBB42_16:
	s_or_b64 exec, exec, s[8:9]
	buffer_load_dword v87, off, s[0:3], 0 offset:312
	buffer_load_dword v88, off, s[0:3], 0 offset:316
	v_cmp_lt_u32_e64 s[4:5], 39, v0
	s_waitcnt vmcnt(0)
	ds_write_b64 v90, v[87:88]
	s_waitcnt lgkmcnt(0)
	; wave barrier
	s_and_saveexec_b64 s[8:9], s[4:5]
	s_cbranch_execz .LBB42_26
; %bb.17:
	s_andn2_b64 vcc, exec, s[10:11]
	s_cbranch_vccnz .LBB42_19
; %bb.18:
	buffer_load_dword v87, v91, s[0:3], 0 offen
	buffer_load_dword v88, v91, s[0:3], 0 offen offset:4
	ds_read_b64 v[92:93], v90
	s_waitcnt vmcnt(0) lgkmcnt(0)
	v_mul_f64 v[87:88], v[87:88], v[92:93]
	s_cbranch_execz .LBB42_20
	s_branch .LBB42_21
.LBB42_19:
                                        ; implicit-def: $vgpr87_vgpr88
.LBB42_20:
	ds_read_b64 v[87:88], v90
.LBB42_21:
	s_and_saveexec_b64 s[12:13], s[6:7]
	s_cbranch_execz .LBB42_25
; %bb.22:
	v_subrev_u32_e32 v92, 40, v0
	s_movk_i32 s55, 0x2a0
	s_mov_b64 s[6:7], 0
.LBB42_23:                              ; =>This Inner Loop Header: Depth=1
	v_mov_b32_e32 v94, s54
	buffer_load_dword v93, v94, s[0:3], 0 offen
	s_nop 0
	buffer_load_dword v94, v94, s[0:3], 0 offen offset:4
	v_mov_b32_e32 v95, s55
	ds_read_b64 v[95:96], v95
	v_add_u32_e32 v92, -1, v92
	s_add_i32 s55, s55, 8
	s_add_i32 s54, s54, 8
	v_cmp_eq_u32_e32 vcc, 0, v92
	s_or_b64 s[6:7], vcc, s[6:7]
	s_waitcnt vmcnt(0) lgkmcnt(0)
	v_fma_f64 v[87:88], v[93:94], v[95:96], v[87:88]
	s_andn2_b64 exec, exec, s[6:7]
	s_cbranch_execnz .LBB42_23
; %bb.24:
	s_or_b64 exec, exec, s[6:7]
.LBB42_25:
	s_or_b64 exec, exec, s[12:13]
	v_mov_b32_e32 v92, 0
	ds_read_b64 v[92:93], v92 offset:312
	s_waitcnt lgkmcnt(0)
	v_mul_f64 v[87:88], v[87:88], v[92:93]
	buffer_store_dword v88, off, s[0:3], 0 offset:316
	buffer_store_dword v87, off, s[0:3], 0 offset:312
.LBB42_26:
	s_or_b64 exec, exec, s[8:9]
	buffer_load_dword v87, off, s[0:3], 0 offset:304
	buffer_load_dword v88, off, s[0:3], 0 offset:308
	v_cmp_lt_u32_e64 s[6:7], 38, v0
	s_waitcnt vmcnt(0)
	ds_write_b64 v90, v[87:88]
	s_waitcnt lgkmcnt(0)
	; wave barrier
	s_and_saveexec_b64 s[8:9], s[6:7]
	s_cbranch_execz .LBB42_36
; %bb.27:
	s_andn2_b64 vcc, exec, s[10:11]
	s_cbranch_vccnz .LBB42_29
; %bb.28:
	buffer_load_dword v87, v91, s[0:3], 0 offen
	buffer_load_dword v88, v91, s[0:3], 0 offen offset:4
	ds_read_b64 v[92:93], v90
	s_waitcnt vmcnt(0) lgkmcnt(0)
	v_mul_f64 v[87:88], v[87:88], v[92:93]
	s_cbranch_execz .LBB42_30
	s_branch .LBB42_31
.LBB42_29:
                                        ; implicit-def: $vgpr87_vgpr88
.LBB42_30:
	ds_read_b64 v[87:88], v90
.LBB42_31:
	s_and_saveexec_b64 s[12:13], s[4:5]
	s_cbranch_execz .LBB42_35
; %bb.32:
	v_subrev_u32_e32 v92, 39, v0
	s_movk_i32 s54, 0x298
	s_mov_b64 s[4:5], 0
.LBB42_33:                              ; =>This Inner Loop Header: Depth=1
	v_mov_b32_e32 v94, s53
	buffer_load_dword v93, v94, s[0:3], 0 offen
	s_nop 0
	buffer_load_dword v94, v94, s[0:3], 0 offen offset:4
	v_mov_b32_e32 v95, s54
	ds_read_b64 v[95:96], v95
	v_add_u32_e32 v92, -1, v92
	s_add_i32 s54, s54, 8
	s_add_i32 s53, s53, 8
	v_cmp_eq_u32_e32 vcc, 0, v92
	s_or_b64 s[4:5], vcc, s[4:5]
	s_waitcnt vmcnt(0) lgkmcnt(0)
	v_fma_f64 v[87:88], v[93:94], v[95:96], v[87:88]
	s_andn2_b64 exec, exec, s[4:5]
	s_cbranch_execnz .LBB42_33
; %bb.34:
	s_or_b64 exec, exec, s[4:5]
.LBB42_35:
	s_or_b64 exec, exec, s[12:13]
	v_mov_b32_e32 v92, 0
	ds_read_b64 v[92:93], v92 offset:304
	s_waitcnt lgkmcnt(0)
	v_mul_f64 v[87:88], v[87:88], v[92:93]
	buffer_store_dword v88, off, s[0:3], 0 offset:308
	buffer_store_dword v87, off, s[0:3], 0 offset:304
.LBB42_36:
	;; [unrolled: 59-line block ×4, first 2 shown]
	s_or_b64 exec, exec, s[8:9]
	buffer_load_dword v87, off, s[0:3], 0 offset:280
	buffer_load_dword v88, off, s[0:3], 0 offset:284
	v_cmp_lt_u32_e64 s[4:5], 35, v0
	s_waitcnt vmcnt(0)
	ds_write_b64 v90, v[87:88]
	s_waitcnt lgkmcnt(0)
	; wave barrier
	s_and_saveexec_b64 s[8:9], s[4:5]
	s_cbranch_execz .LBB42_66
; %bb.57:
	s_andn2_b64 vcc, exec, s[10:11]
	s_cbranch_vccnz .LBB42_59
; %bb.58:
	buffer_load_dword v87, v91, s[0:3], 0 offen
	buffer_load_dword v88, v91, s[0:3], 0 offen offset:4
	ds_read_b64 v[92:93], v90
	s_waitcnt vmcnt(0) lgkmcnt(0)
	v_mul_f64 v[87:88], v[87:88], v[92:93]
	s_cbranch_execz .LBB42_60
	s_branch .LBB42_61
.LBB42_59:
                                        ; implicit-def: $vgpr87_vgpr88
.LBB42_60:
	ds_read_b64 v[87:88], v90
.LBB42_61:
	s_and_saveexec_b64 s[12:13], s[6:7]
	s_cbranch_execz .LBB42_65
; %bb.62:
	v_subrev_u32_e32 v92, 36, v0
	s_movk_i32 s51, 0x280
	s_mov_b64 s[6:7], 0
.LBB42_63:                              ; =>This Inner Loop Header: Depth=1
	v_mov_b32_e32 v95, s50
	buffer_load_dword v93, v95, s[0:3], 0 offen
	buffer_load_dword v94, v95, s[0:3], 0 offen offset:4
	v_mov_b32_e32 v95, s51
	ds_read_b64 v[95:96], v95
	v_add_u32_e32 v92, -1, v92
	s_add_i32 s51, s51, 8
	s_add_i32 s50, s50, 8
	v_cmp_eq_u32_e32 vcc, 0, v92
	s_or_b64 s[6:7], vcc, s[6:7]
	s_waitcnt vmcnt(0) lgkmcnt(0)
	v_fma_f64 v[87:88], v[93:94], v[95:96], v[87:88]
	s_andn2_b64 exec, exec, s[6:7]
	s_cbranch_execnz .LBB42_63
; %bb.64:
	s_or_b64 exec, exec, s[6:7]
.LBB42_65:
	s_or_b64 exec, exec, s[12:13]
	v_mov_b32_e32 v92, 0
	ds_read_b64 v[92:93], v92 offset:280
	s_waitcnt lgkmcnt(0)
	v_mul_f64 v[87:88], v[87:88], v[92:93]
	buffer_store_dword v88, off, s[0:3], 0 offset:284
	buffer_store_dword v87, off, s[0:3], 0 offset:280
.LBB42_66:
	s_or_b64 exec, exec, s[8:9]
	buffer_load_dword v87, off, s[0:3], 0 offset:272
	buffer_load_dword v88, off, s[0:3], 0 offset:276
	v_cmp_lt_u32_e64 s[6:7], 34, v0
	s_waitcnt vmcnt(0)
	ds_write_b64 v90, v[87:88]
	s_waitcnt lgkmcnt(0)
	; wave barrier
	s_and_saveexec_b64 s[8:9], s[6:7]
	s_cbranch_execz .LBB42_76
; %bb.67:
	s_andn2_b64 vcc, exec, s[10:11]
	s_cbranch_vccnz .LBB42_69
; %bb.68:
	buffer_load_dword v87, v91, s[0:3], 0 offen
	buffer_load_dword v88, v91, s[0:3], 0 offen offset:4
	ds_read_b64 v[92:93], v90
	s_waitcnt vmcnt(0) lgkmcnt(0)
	v_mul_f64 v[87:88], v[87:88], v[92:93]
	s_cbranch_execz .LBB42_70
	s_branch .LBB42_71
.LBB42_69:
                                        ; implicit-def: $vgpr87_vgpr88
.LBB42_70:
	ds_read_b64 v[87:88], v90
.LBB42_71:
	s_and_saveexec_b64 s[12:13], s[4:5]
	s_cbranch_execz .LBB42_75
; %bb.72:
	v_subrev_u32_e32 v92, 35, v0
	s_movk_i32 s50, 0x278
	s_mov_b64 s[4:5], 0
.LBB42_73:                              ; =>This Inner Loop Header: Depth=1
	v_mov_b32_e32 v95, s49
	buffer_load_dword v93, v95, s[0:3], 0 offen
	buffer_load_dword v94, v95, s[0:3], 0 offen offset:4
	v_mov_b32_e32 v95, s50
	ds_read_b64 v[95:96], v95
	v_add_u32_e32 v92, -1, v92
	s_add_i32 s50, s50, 8
	s_add_i32 s49, s49, 8
	v_cmp_eq_u32_e32 vcc, 0, v92
	s_or_b64 s[4:5], vcc, s[4:5]
	s_waitcnt vmcnt(0) lgkmcnt(0)
	v_fma_f64 v[87:88], v[93:94], v[95:96], v[87:88]
	s_andn2_b64 exec, exec, s[4:5]
	s_cbranch_execnz .LBB42_73
; %bb.74:
	s_or_b64 exec, exec, s[4:5]
.LBB42_75:
	s_or_b64 exec, exec, s[12:13]
	v_mov_b32_e32 v92, 0
	ds_read_b64 v[92:93], v92 offset:272
	s_waitcnt lgkmcnt(0)
	v_mul_f64 v[87:88], v[87:88], v[92:93]
	buffer_store_dword v88, off, s[0:3], 0 offset:276
	buffer_store_dword v87, off, s[0:3], 0 offset:272
.LBB42_76:
	;; [unrolled: 58-line block ×4, first 2 shown]
	s_or_b64 exec, exec, s[8:9]
	buffer_load_dword v87, off, s[0:3], 0 offset:248
	buffer_load_dword v88, off, s[0:3], 0 offset:252
	v_cmp_lt_u32_e64 s[4:5], 31, v0
	s_waitcnt vmcnt(0)
	ds_write_b64 v90, v[87:88]
	s_waitcnt lgkmcnt(0)
	; wave barrier
	s_and_saveexec_b64 s[8:9], s[4:5]
	s_cbranch_execz .LBB42_106
; %bb.97:
	s_andn2_b64 vcc, exec, s[10:11]
	s_cbranch_vccnz .LBB42_99
; %bb.98:
	buffer_load_dword v87, v91, s[0:3], 0 offen
	buffer_load_dword v88, v91, s[0:3], 0 offen offset:4
	ds_read_b64 v[92:93], v90
	s_waitcnt vmcnt(0) lgkmcnt(0)
	v_mul_f64 v[87:88], v[87:88], v[92:93]
	s_cbranch_execz .LBB42_100
	s_branch .LBB42_101
.LBB42_99:
                                        ; implicit-def: $vgpr87_vgpr88
.LBB42_100:
	ds_read_b64 v[87:88], v90
.LBB42_101:
	s_and_saveexec_b64 s[12:13], s[6:7]
	s_cbranch_execz .LBB42_105
; %bb.102:
	v_subrev_u32_e32 v92, 32, v0
	s_movk_i32 s47, 0x260
	s_mov_b64 s[6:7], 0
.LBB42_103:                             ; =>This Inner Loop Header: Depth=1
	v_mov_b32_e32 v95, s46
	buffer_load_dword v93, v95, s[0:3], 0 offen
	buffer_load_dword v94, v95, s[0:3], 0 offen offset:4
	v_mov_b32_e32 v95, s47
	ds_read_b64 v[95:96], v95
	v_add_u32_e32 v92, -1, v92
	s_add_i32 s47, s47, 8
	s_add_i32 s46, s46, 8
	v_cmp_eq_u32_e32 vcc, 0, v92
	s_or_b64 s[6:7], vcc, s[6:7]
	s_waitcnt vmcnt(0) lgkmcnt(0)
	v_fma_f64 v[87:88], v[93:94], v[95:96], v[87:88]
	s_andn2_b64 exec, exec, s[6:7]
	s_cbranch_execnz .LBB42_103
; %bb.104:
	s_or_b64 exec, exec, s[6:7]
.LBB42_105:
	s_or_b64 exec, exec, s[12:13]
	v_mov_b32_e32 v92, 0
	ds_read_b64 v[92:93], v92 offset:248
	s_waitcnt lgkmcnt(0)
	v_mul_f64 v[87:88], v[87:88], v[92:93]
	buffer_store_dword v88, off, s[0:3], 0 offset:252
	buffer_store_dword v87, off, s[0:3], 0 offset:248
.LBB42_106:
	s_or_b64 exec, exec, s[8:9]
	buffer_load_dword v87, off, s[0:3], 0 offset:240
	buffer_load_dword v88, off, s[0:3], 0 offset:244
	v_cmp_lt_u32_e64 s[6:7], 30, v0
	s_waitcnt vmcnt(0)
	ds_write_b64 v90, v[87:88]
	s_waitcnt lgkmcnt(0)
	; wave barrier
	s_and_saveexec_b64 s[8:9], s[6:7]
	s_cbranch_execz .LBB42_116
; %bb.107:
	s_andn2_b64 vcc, exec, s[10:11]
	s_cbranch_vccnz .LBB42_109
; %bb.108:
	buffer_load_dword v87, v91, s[0:3], 0 offen
	buffer_load_dword v88, v91, s[0:3], 0 offen offset:4
	ds_read_b64 v[92:93], v90
	s_waitcnt vmcnt(0) lgkmcnt(0)
	v_mul_f64 v[87:88], v[87:88], v[92:93]
	s_cbranch_execz .LBB42_110
	s_branch .LBB42_111
.LBB42_109:
                                        ; implicit-def: $vgpr87_vgpr88
.LBB42_110:
	ds_read_b64 v[87:88], v90
.LBB42_111:
	s_and_saveexec_b64 s[12:13], s[4:5]
	s_cbranch_execz .LBB42_115
; %bb.112:
	v_subrev_u32_e32 v92, 31, v0
	s_movk_i32 s46, 0x258
	s_mov_b64 s[4:5], 0
.LBB42_113:                             ; =>This Inner Loop Header: Depth=1
	v_mov_b32_e32 v95, s45
	buffer_load_dword v93, v95, s[0:3], 0 offen
	buffer_load_dword v94, v95, s[0:3], 0 offen offset:4
	v_mov_b32_e32 v95, s46
	ds_read_b64 v[95:96], v95
	v_add_u32_e32 v92, -1, v92
	s_add_i32 s46, s46, 8
	s_add_i32 s45, s45, 8
	v_cmp_eq_u32_e32 vcc, 0, v92
	s_or_b64 s[4:5], vcc, s[4:5]
	s_waitcnt vmcnt(0) lgkmcnt(0)
	v_fma_f64 v[87:88], v[93:94], v[95:96], v[87:88]
	s_andn2_b64 exec, exec, s[4:5]
	s_cbranch_execnz .LBB42_113
; %bb.114:
	s_or_b64 exec, exec, s[4:5]
.LBB42_115:
	s_or_b64 exec, exec, s[12:13]
	v_mov_b32_e32 v92, 0
	ds_read_b64 v[92:93], v92 offset:240
	s_waitcnt lgkmcnt(0)
	v_mul_f64 v[87:88], v[87:88], v[92:93]
	buffer_store_dword v88, off, s[0:3], 0 offset:244
	buffer_store_dword v87, off, s[0:3], 0 offset:240
.LBB42_116:
	;; [unrolled: 58-line block ×16, first 2 shown]
	s_or_b64 exec, exec, s[8:9]
	buffer_load_dword v87, off, s[0:3], 0 offset:120
	buffer_load_dword v88, off, s[0:3], 0 offset:124
	v_cmp_lt_u32_e64 s[4:5], 15, v0
	s_waitcnt vmcnt(0)
	ds_write_b64 v90, v[87:88]
	s_waitcnt lgkmcnt(0)
	; wave barrier
	s_and_saveexec_b64 s[8:9], s[4:5]
	s_cbranch_execz .LBB42_266
; %bb.257:
	s_andn2_b64 vcc, exec, s[10:11]
	s_cbranch_vccnz .LBB42_259
; %bb.258:
	buffer_load_dword v87, v91, s[0:3], 0 offen
	buffer_load_dword v88, v91, s[0:3], 0 offen offset:4
	ds_read_b64 v[92:93], v90
	s_waitcnt vmcnt(0) lgkmcnt(0)
	v_mul_f64 v[87:88], v[87:88], v[92:93]
	s_cbranch_execz .LBB42_260
	s_branch .LBB42_261
.LBB42_259:
                                        ; implicit-def: $vgpr87_vgpr88
.LBB42_260:
	ds_read_b64 v[87:88], v90
.LBB42_261:
	s_and_saveexec_b64 s[12:13], s[6:7]
	s_cbranch_execz .LBB42_265
; %bb.262:
	v_add_u32_e32 v92, -16, v0
	s_movk_i32 s30, 0x1e0
	s_mov_b64 s[6:7], 0
.LBB42_263:                             ; =>This Inner Loop Header: Depth=1
	v_mov_b32_e32 v95, s29
	buffer_load_dword v93, v95, s[0:3], 0 offen
	buffer_load_dword v94, v95, s[0:3], 0 offen offset:4
	v_mov_b32_e32 v95, s30
	ds_read_b64 v[95:96], v95
	v_add_u32_e32 v92, -1, v92
	s_add_i32 s30, s30, 8
	s_add_i32 s29, s29, 8
	v_cmp_eq_u32_e32 vcc, 0, v92
	s_or_b64 s[6:7], vcc, s[6:7]
	s_waitcnt vmcnt(0) lgkmcnt(0)
	v_fma_f64 v[87:88], v[93:94], v[95:96], v[87:88]
	s_andn2_b64 exec, exec, s[6:7]
	s_cbranch_execnz .LBB42_263
; %bb.264:
	s_or_b64 exec, exec, s[6:7]
.LBB42_265:
	s_or_b64 exec, exec, s[12:13]
	v_mov_b32_e32 v92, 0
	ds_read_b64 v[92:93], v92 offset:120
	s_waitcnt lgkmcnt(0)
	v_mul_f64 v[87:88], v[87:88], v[92:93]
	buffer_store_dword v88, off, s[0:3], 0 offset:124
	buffer_store_dword v87, off, s[0:3], 0 offset:120
.LBB42_266:
	s_or_b64 exec, exec, s[8:9]
	buffer_load_dword v87, off, s[0:3], 0 offset:112
	buffer_load_dword v88, off, s[0:3], 0 offset:116
	v_cmp_lt_u32_e64 s[6:7], 14, v0
	s_waitcnt vmcnt(0)
	ds_write_b64 v90, v[87:88]
	s_waitcnt lgkmcnt(0)
	; wave barrier
	s_and_saveexec_b64 s[8:9], s[6:7]
	s_cbranch_execz .LBB42_276
; %bb.267:
	s_andn2_b64 vcc, exec, s[10:11]
	s_cbranch_vccnz .LBB42_269
; %bb.268:
	buffer_load_dword v87, v91, s[0:3], 0 offen
	buffer_load_dword v88, v91, s[0:3], 0 offen offset:4
	ds_read_b64 v[92:93], v90
	s_waitcnt vmcnt(0) lgkmcnt(0)
	v_mul_f64 v[87:88], v[87:88], v[92:93]
	s_cbranch_execz .LBB42_270
	s_branch .LBB42_271
.LBB42_269:
                                        ; implicit-def: $vgpr87_vgpr88
.LBB42_270:
	ds_read_b64 v[87:88], v90
.LBB42_271:
	s_and_saveexec_b64 s[12:13], s[4:5]
	s_cbranch_execz .LBB42_275
; %bb.272:
	v_add_u32_e32 v92, -15, v0
	s_movk_i32 s29, 0x1d8
	s_mov_b64 s[4:5], 0
.LBB42_273:                             ; =>This Inner Loop Header: Depth=1
	v_mov_b32_e32 v95, s28
	buffer_load_dword v93, v95, s[0:3], 0 offen
	buffer_load_dword v94, v95, s[0:3], 0 offen offset:4
	v_mov_b32_e32 v95, s29
	ds_read_b64 v[95:96], v95
	v_add_u32_e32 v92, -1, v92
	s_add_i32 s29, s29, 8
	s_add_i32 s28, s28, 8
	v_cmp_eq_u32_e32 vcc, 0, v92
	s_or_b64 s[4:5], vcc, s[4:5]
	s_waitcnt vmcnt(0) lgkmcnt(0)
	v_fma_f64 v[87:88], v[93:94], v[95:96], v[87:88]
	s_andn2_b64 exec, exec, s[4:5]
	s_cbranch_execnz .LBB42_273
; %bb.274:
	s_or_b64 exec, exec, s[4:5]
.LBB42_275:
	s_or_b64 exec, exec, s[12:13]
	v_mov_b32_e32 v92, 0
	ds_read_b64 v[92:93], v92 offset:112
	s_waitcnt lgkmcnt(0)
	v_mul_f64 v[87:88], v[87:88], v[92:93]
	buffer_store_dword v88, off, s[0:3], 0 offset:116
	buffer_store_dword v87, off, s[0:3], 0 offset:112
.LBB42_276:
	;; [unrolled: 58-line block ×15, first 2 shown]
	s_or_b64 exec, exec, s[8:9]
	buffer_load_dword v87, off, s[0:3], 0
	buffer_load_dword v88, off, s[0:3], 0 offset:4
	v_cmp_ne_u32_e32 vcc, 0, v0
	s_waitcnt vmcnt(0)
	ds_write_b64 v90, v[87:88]
	s_waitcnt lgkmcnt(0)
	; wave barrier
	s_and_saveexec_b64 s[6:7], vcc
	s_cbranch_execz .LBB42_416
; %bb.407:
	s_andn2_b64 vcc, exec, s[10:11]
	s_cbranch_vccnz .LBB42_409
; %bb.408:
	buffer_load_dword v87, v91, s[0:3], 0 offen
	buffer_load_dword v88, v91, s[0:3], 0 offen offset:4
	ds_read_b64 v[92:93], v90
	s_waitcnt vmcnt(0) lgkmcnt(0)
	v_mul_f64 v[87:88], v[87:88], v[92:93]
	s_cbranch_execz .LBB42_410
	s_branch .LBB42_411
.LBB42_409:
                                        ; implicit-def: $vgpr87_vgpr88
.LBB42_410:
	ds_read_b64 v[87:88], v90
.LBB42_411:
	s_and_saveexec_b64 s[8:9], s[4:5]
	s_cbranch_execz .LBB42_415
; %bb.412:
	v_add_u32_e32 v92, -1, v0
	s_movk_i32 s12, 0x168
	s_mov_b64 s[4:5], 0
.LBB42_413:                             ; =>This Inner Loop Header: Depth=1
	v_mov_b32_e32 v95, s14
	buffer_load_dword v93, v95, s[0:3], 0 offen
	buffer_load_dword v94, v95, s[0:3], 0 offen offset:4
	v_mov_b32_e32 v95, s12
	ds_read_b64 v[95:96], v95
	v_add_u32_e32 v92, -1, v92
	s_add_i32 s12, s12, 8
	s_add_i32 s14, s14, 8
	v_cmp_eq_u32_e32 vcc, 0, v92
	s_or_b64 s[4:5], vcc, s[4:5]
	s_waitcnt vmcnt(0) lgkmcnt(0)
	v_fma_f64 v[87:88], v[93:94], v[95:96], v[87:88]
	s_andn2_b64 exec, exec, s[4:5]
	s_cbranch_execnz .LBB42_413
; %bb.414:
	s_or_b64 exec, exec, s[4:5]
.LBB42_415:
	s_or_b64 exec, exec, s[8:9]
	v_mov_b32_e32 v92, 0
	ds_read_b64 v[92:93], v92
	s_waitcnt lgkmcnt(0)
	v_mul_f64 v[87:88], v[87:88], v[92:93]
	buffer_store_dword v88, off, s[0:3], 0 offset:4
	buffer_store_dword v87, off, s[0:3], 0
.LBB42_416:
	s_or_b64 exec, exec, s[6:7]
	s_mov_b64 s[4:5], 0
.LBB42_417:
	s_and_b64 vcc, exec, s[4:5]
	s_cbranch_vccz .LBB42_829
; %bb.418:
	buffer_load_dword v87, off, s[0:3], 0 offset:8
	buffer_load_dword v88, off, s[0:3], 0 offset:12
	v_cmp_eq_u32_e64 s[6:7], 0, v0
	s_waitcnt vmcnt(0)
	ds_write_b64 v90, v[87:88]
	s_waitcnt lgkmcnt(0)
	; wave barrier
	s_and_saveexec_b64 s[4:5], s[6:7]
	s_cbranch_execz .LBB42_424
; %bb.419:
	s_and_b64 vcc, exec, s[10:11]
	s_cbranch_vccz .LBB42_421
; %bb.420:
	buffer_load_dword v87, v91, s[0:3], 0 offen
	buffer_load_dword v88, v91, s[0:3], 0 offen offset:4
	ds_read_b64 v[92:93], v90
	s_waitcnt vmcnt(0) lgkmcnt(0)
	v_mul_f64 v[87:88], v[87:88], v[92:93]
	s_cbranch_execz .LBB42_422
	s_branch .LBB42_423
.LBB42_421:
                                        ; implicit-def: $vgpr87_vgpr88
.LBB42_422:
	ds_read_b64 v[87:88], v90
.LBB42_423:
	v_mov_b32_e32 v92, 0
	ds_read_b64 v[92:93], v92 offset:8
	s_waitcnt lgkmcnt(0)
	v_mul_f64 v[87:88], v[87:88], v[92:93]
	buffer_store_dword v88, off, s[0:3], 0 offset:12
	buffer_store_dword v87, off, s[0:3], 0 offset:8
.LBB42_424:
	s_or_b64 exec, exec, s[4:5]
	buffer_load_dword v87, off, s[0:3], 0 offset:16
	buffer_load_dword v88, off, s[0:3], 0 offset:20
	v_cndmask_b32_e64 v92, 0, 1, s[10:11]
	v_cmp_gt_u32_e32 vcc, 2, v0
	v_cmp_ne_u32_e64 s[4:5], 1, v92
	s_waitcnt vmcnt(0)
	ds_write_b64 v90, v[87:88]
	s_waitcnt lgkmcnt(0)
	; wave barrier
	s_and_saveexec_b64 s[8:9], vcc
	s_cbranch_execz .LBB42_430
; %bb.425:
	s_and_b64 vcc, exec, s[4:5]
	s_cbranch_vccnz .LBB42_427
; %bb.426:
	buffer_load_dword v87, v91, s[0:3], 0 offen
	buffer_load_dword v88, v91, s[0:3], 0 offen offset:4
	ds_read_b64 v[92:93], v90
	s_waitcnt vmcnt(0) lgkmcnt(0)
	v_mul_f64 v[87:88], v[87:88], v[92:93]
	s_cbranch_execz .LBB42_428
	s_branch .LBB42_429
.LBB42_427:
                                        ; implicit-def: $vgpr87_vgpr88
.LBB42_428:
	ds_read_b64 v[87:88], v90
.LBB42_429:
	buffer_load_dword v96, off, s[0:3], 0 offset:8
	buffer_load_dword v97, off, s[0:3], 0 offset:12
	v_mov_b32_e32 v92, 0
	ds_read2_b64 v[92:95], v92 offset0:2 offset1:45
	s_waitcnt vmcnt(0) lgkmcnt(0)
	v_fma_f64 v[94:95], v[96:97], v[94:95], v[87:88]
	v_cndmask_b32_e64 v88, v88, v95, s[6:7]
	v_cndmask_b32_e64 v87, v87, v94, s[6:7]
	v_mul_f64 v[87:88], v[87:88], v[92:93]
	buffer_store_dword v88, off, s[0:3], 0 offset:20
	buffer_store_dword v87, off, s[0:3], 0 offset:16
.LBB42_430:
	s_or_b64 exec, exec, s[8:9]
	buffer_load_dword v87, off, s[0:3], 0 offset:24
	buffer_load_dword v88, off, s[0:3], 0 offset:28
	v_cmp_gt_u32_e32 vcc, 3, v0
	s_waitcnt vmcnt(0)
	ds_write_b64 v90, v[87:88]
	s_waitcnt lgkmcnt(0)
	; wave barrier
	s_and_saveexec_b64 s[8:9], vcc
	s_cbranch_execz .LBB42_438
; %bb.431:
	s_and_b64 vcc, exec, s[4:5]
	s_cbranch_vccnz .LBB42_433
; %bb.432:
	buffer_load_dword v87, v91, s[0:3], 0 offen
	buffer_load_dword v88, v91, s[0:3], 0 offen offset:4
	ds_read_b64 v[92:93], v90
	s_waitcnt vmcnt(0) lgkmcnt(0)
	v_mul_f64 v[87:88], v[87:88], v[92:93]
	s_cbranch_execz .LBB42_434
	s_branch .LBB42_435
.LBB42_433:
                                        ; implicit-def: $vgpr87_vgpr88
.LBB42_434:
	ds_read_b64 v[87:88], v90
.LBB42_435:
	v_cmp_ne_u32_e32 vcc, 2, v0
	s_and_saveexec_b64 s[10:11], vcc
	s_cbranch_execz .LBB42_437
; %bb.436:
	buffer_load_dword v92, v91, s[0:3], 0 offen offset:8
	buffer_load_dword v93, v91, s[0:3], 0 offen offset:12
	buffer_load_dword v94, off, s[0:3], 0 offset:16
	buffer_load_dword v95, off, s[0:3], 0 offset:20
	ds_read_b64 v[96:97], v90 offset:8
	v_mov_b32_e32 v98, 0
	ds_read_b64 v[98:99], v98 offset:368
	s_waitcnt vmcnt(2) lgkmcnt(1)
	v_fma_f64 v[87:88], v[92:93], v[96:97], v[87:88]
	s_waitcnt vmcnt(0) lgkmcnt(0)
	v_fma_f64 v[92:93], v[94:95], v[98:99], v[87:88]
	v_cndmask_b32_e64 v88, v88, v93, s[6:7]
	v_cndmask_b32_e64 v87, v87, v92, s[6:7]
.LBB42_437:
	s_or_b64 exec, exec, s[10:11]
	v_mov_b32_e32 v92, 0
	ds_read_b64 v[92:93], v92 offset:24
	s_waitcnt lgkmcnt(0)
	v_mul_f64 v[87:88], v[87:88], v[92:93]
	buffer_store_dword v88, off, s[0:3], 0 offset:28
	buffer_store_dword v87, off, s[0:3], 0 offset:24
.LBB42_438:
	s_or_b64 exec, exec, s[8:9]
	buffer_load_dword v87, off, s[0:3], 0 offset:32
	buffer_load_dword v88, off, s[0:3], 0 offset:36
	v_cmp_gt_u32_e32 vcc, 4, v0
	s_waitcnt vmcnt(0)
	ds_write_b64 v90, v[87:88]
	s_waitcnt lgkmcnt(0)
	; wave barrier
	s_and_saveexec_b64 s[6:7], vcc
	s_cbranch_execz .LBB42_448
; %bb.439:
	s_and_b64 vcc, exec, s[4:5]
	s_cbranch_vccnz .LBB42_441
; %bb.440:
	buffer_load_dword v87, v91, s[0:3], 0 offen
	buffer_load_dword v88, v91, s[0:3], 0 offen offset:4
	ds_read_b64 v[92:93], v90
	s_waitcnt vmcnt(0) lgkmcnt(0)
	v_mul_f64 v[87:88], v[87:88], v[92:93]
	s_cbranch_execz .LBB42_442
	s_branch .LBB42_443
.LBB42_441:
                                        ; implicit-def: $vgpr87_vgpr88
.LBB42_442:
	ds_read_b64 v[87:88], v90
.LBB42_443:
	v_cmp_ne_u32_e32 vcc, 3, v0
	s_and_saveexec_b64 s[8:9], vcc
	s_cbranch_execz .LBB42_447
; %bb.444:
	s_mov_b32 s10, 0
	v_add_u32_e32 v92, 0x168, v89
	v_add3_u32 v93, v89, s10, 8
	s_mov_b64 s[10:11], 0
	v_mov_b32_e32 v94, v0
.LBB42_445:                             ; =>This Inner Loop Header: Depth=1
	buffer_load_dword v95, v93, s[0:3], 0 offen
	buffer_load_dword v96, v93, s[0:3], 0 offen offset:4
	ds_read_b64 v[97:98], v92
	v_add_u32_e32 v94, 1, v94
	v_cmp_lt_u32_e32 vcc, 2, v94
	v_add_u32_e32 v92, 8, v92
	s_or_b64 s[10:11], vcc, s[10:11]
	v_add_u32_e32 v93, 8, v93
	s_waitcnt vmcnt(0) lgkmcnt(0)
	v_fma_f64 v[87:88], v[95:96], v[97:98], v[87:88]
	s_andn2_b64 exec, exec, s[10:11]
	s_cbranch_execnz .LBB42_445
; %bb.446:
	s_or_b64 exec, exec, s[10:11]
.LBB42_447:
	s_or_b64 exec, exec, s[8:9]
	v_mov_b32_e32 v92, 0
	ds_read_b64 v[92:93], v92 offset:32
	s_waitcnt lgkmcnt(0)
	v_mul_f64 v[87:88], v[87:88], v[92:93]
	buffer_store_dword v88, off, s[0:3], 0 offset:36
	buffer_store_dword v87, off, s[0:3], 0 offset:32
.LBB42_448:
	s_or_b64 exec, exec, s[6:7]
	buffer_load_dword v87, off, s[0:3], 0 offset:40
	buffer_load_dword v88, off, s[0:3], 0 offset:44
	v_cmp_gt_u32_e32 vcc, 5, v0
	s_waitcnt vmcnt(0)
	ds_write_b64 v90, v[87:88]
	s_waitcnt lgkmcnt(0)
	; wave barrier
	s_and_saveexec_b64 s[6:7], vcc
	s_cbranch_execz .LBB42_458
; %bb.449:
	s_and_b64 vcc, exec, s[4:5]
	s_cbranch_vccnz .LBB42_451
; %bb.450:
	buffer_load_dword v87, v91, s[0:3], 0 offen
	buffer_load_dword v88, v91, s[0:3], 0 offen offset:4
	ds_read_b64 v[92:93], v90
	s_waitcnt vmcnt(0) lgkmcnt(0)
	v_mul_f64 v[87:88], v[87:88], v[92:93]
	s_cbranch_execz .LBB42_452
	s_branch .LBB42_453
.LBB42_451:
                                        ; implicit-def: $vgpr87_vgpr88
.LBB42_452:
	ds_read_b64 v[87:88], v90
.LBB42_453:
	v_cmp_ne_u32_e32 vcc, 4, v0
	s_and_saveexec_b64 s[8:9], vcc
	s_cbranch_execz .LBB42_457
; %bb.454:
	s_mov_b32 s10, 0
	v_add_u32_e32 v92, 0x168, v89
	v_add3_u32 v93, v89, s10, 8
	s_mov_b64 s[10:11], 0
	v_mov_b32_e32 v94, v0
.LBB42_455:                             ; =>This Inner Loop Header: Depth=1
	buffer_load_dword v95, v93, s[0:3], 0 offen
	buffer_load_dword v96, v93, s[0:3], 0 offen offset:4
	ds_read_b64 v[97:98], v92
	v_add_u32_e32 v94, 1, v94
	v_cmp_lt_u32_e32 vcc, 3, v94
	v_add_u32_e32 v92, 8, v92
	s_or_b64 s[10:11], vcc, s[10:11]
	v_add_u32_e32 v93, 8, v93
	s_waitcnt vmcnt(0) lgkmcnt(0)
	v_fma_f64 v[87:88], v[95:96], v[97:98], v[87:88]
	s_andn2_b64 exec, exec, s[10:11]
	s_cbranch_execnz .LBB42_455
; %bb.456:
	s_or_b64 exec, exec, s[10:11]
.LBB42_457:
	s_or_b64 exec, exec, s[8:9]
	v_mov_b32_e32 v92, 0
	ds_read_b64 v[92:93], v92 offset:40
	s_waitcnt lgkmcnt(0)
	v_mul_f64 v[87:88], v[87:88], v[92:93]
	buffer_store_dword v88, off, s[0:3], 0 offset:44
	buffer_store_dword v87, off, s[0:3], 0 offset:40
.LBB42_458:
	;; [unrolled: 59-line block ×37, first 2 shown]
	s_or_b64 exec, exec, s[6:7]
	buffer_load_dword v87, off, s[0:3], 0 offset:328
	buffer_load_dword v88, off, s[0:3], 0 offset:332
	v_cmp_gt_u32_e64 s[6:7], 41, v0
	s_waitcnt vmcnt(0)
	ds_write_b64 v90, v[87:88]
	s_waitcnt lgkmcnt(0)
	; wave barrier
	s_and_saveexec_b64 s[8:9], s[6:7]
	s_cbranch_execz .LBB42_818
; %bb.809:
	s_and_b64 vcc, exec, s[4:5]
	s_cbranch_vccnz .LBB42_811
; %bb.810:
	buffer_load_dword v87, v91, s[0:3], 0 offen
	buffer_load_dword v88, v91, s[0:3], 0 offen offset:4
	ds_read_b64 v[92:93], v90
	s_waitcnt vmcnt(0) lgkmcnt(0)
	v_mul_f64 v[87:88], v[87:88], v[92:93]
	s_cbranch_execz .LBB42_812
	s_branch .LBB42_813
.LBB42_811:
                                        ; implicit-def: $vgpr87_vgpr88
.LBB42_812:
	ds_read_b64 v[87:88], v90
.LBB42_813:
	v_cmp_ne_u32_e32 vcc, 40, v0
	s_and_saveexec_b64 s[10:11], vcc
	s_cbranch_execz .LBB42_817
; %bb.814:
	s_mov_b32 s12, 0
	v_add_u32_e32 v92, 0x168, v89
	v_add3_u32 v93, v89, s12, 8
	s_mov_b64 s[12:13], 0
	v_mov_b32_e32 v94, v0
.LBB42_815:                             ; =>This Inner Loop Header: Depth=1
	buffer_load_dword v95, v93, s[0:3], 0 offen
	buffer_load_dword v96, v93, s[0:3], 0 offen offset:4
	ds_read_b64 v[97:98], v92
	v_add_u32_e32 v94, 1, v94
	v_cmp_lt_u32_e32 vcc, 39, v94
	v_add_u32_e32 v92, 8, v92
	s_or_b64 s[12:13], vcc, s[12:13]
	v_add_u32_e32 v93, 8, v93
	s_waitcnt vmcnt(0) lgkmcnt(0)
	v_fma_f64 v[87:88], v[95:96], v[97:98], v[87:88]
	s_andn2_b64 exec, exec, s[12:13]
	s_cbranch_execnz .LBB42_815
; %bb.816:
	s_or_b64 exec, exec, s[12:13]
.LBB42_817:
	s_or_b64 exec, exec, s[10:11]
	v_mov_b32_e32 v92, 0
	ds_read_b64 v[92:93], v92 offset:328
	s_waitcnt lgkmcnt(0)
	v_mul_f64 v[87:88], v[87:88], v[92:93]
	buffer_store_dword v88, off, s[0:3], 0 offset:332
	buffer_store_dword v87, off, s[0:3], 0 offset:328
.LBB42_818:
	s_or_b64 exec, exec, s[8:9]
	buffer_load_dword v87, off, s[0:3], 0 offset:336
	buffer_load_dword v88, off, s[0:3], 0 offset:340
	v_cmp_ne_u32_e32 vcc, 42, v0
	s_waitcnt vmcnt(0)
	ds_write_b64 v90, v[87:88]
	s_waitcnt lgkmcnt(0)
	; wave barrier
	s_and_saveexec_b64 s[8:9], vcc
	s_cbranch_execz .LBB42_828
; %bb.819:
	s_and_b64 vcc, exec, s[4:5]
	s_cbranch_vccnz .LBB42_821
; %bb.820:
	buffer_load_dword v87, v91, s[0:3], 0 offen
	buffer_load_dword v88, v91, s[0:3], 0 offen offset:4
	ds_read_b64 v[91:92], v90
	s_waitcnt vmcnt(0) lgkmcnt(0)
	v_mul_f64 v[87:88], v[87:88], v[91:92]
	s_cbranch_execz .LBB42_822
	s_branch .LBB42_823
.LBB42_821:
                                        ; implicit-def: $vgpr87_vgpr88
.LBB42_822:
	ds_read_b64 v[87:88], v90
.LBB42_823:
	s_and_saveexec_b64 s[4:5], s[6:7]
	s_cbranch_execz .LBB42_827
; %bb.824:
	s_mov_b32 s6, 0
	v_add_u32_e32 v90, 0x168, v89
	v_add3_u32 v89, v89, s6, 8
	s_mov_b64 s[6:7], 0
.LBB42_825:                             ; =>This Inner Loop Header: Depth=1
	buffer_load_dword v91, v89, s[0:3], 0 offen
	buffer_load_dword v92, v89, s[0:3], 0 offen offset:4
	ds_read_b64 v[93:94], v90
	v_add_u32_e32 v0, 1, v0
	v_cmp_lt_u32_e32 vcc, 40, v0
	v_add_u32_e32 v90, 8, v90
	s_or_b64 s[6:7], vcc, s[6:7]
	v_add_u32_e32 v89, 8, v89
	s_waitcnt vmcnt(0) lgkmcnt(0)
	v_fma_f64 v[87:88], v[91:92], v[93:94], v[87:88]
	s_andn2_b64 exec, exec, s[6:7]
	s_cbranch_execnz .LBB42_825
; %bb.826:
	s_or_b64 exec, exec, s[6:7]
.LBB42_827:
	s_or_b64 exec, exec, s[4:5]
	v_mov_b32_e32 v0, 0
	ds_read_b64 v[89:90], v0 offset:336
	s_waitcnt lgkmcnt(0)
	v_mul_f64 v[87:88], v[87:88], v[89:90]
	buffer_store_dword v88, off, s[0:3], 0 offset:340
	buffer_store_dword v87, off, s[0:3], 0 offset:336
.LBB42_828:
	s_or_b64 exec, exec, s[8:9]
.LBB42_829:
	buffer_load_dword v87, off, s[0:3], 0
	buffer_load_dword v88, off, s[0:3], 0 offset:4
	buffer_load_dword v89, off, s[0:3], 0 offset:8
	;; [unrolled: 1-line block ×31, first 2 shown]
	s_waitcnt vmcnt(30)
	global_store_dwordx2 v[85:86], v[87:88], off
	buffer_load_dword v85, off, s[0:3], 0 offset:128
	s_nop 0
	buffer_load_dword v86, off, s[0:3], 0 offset:132
	buffer_load_dword v87, off, s[0:3], 0 offset:136
	;; [unrolled: 1-line block ×7, first 2 shown]
	s_waitcnt vmcnt(37)
	global_store_dwordx2 v[83:84], v[89:90], off
	s_waitcnt vmcnt(36)
	global_store_dwordx2 v[5:6], v[91:92], off
	buffer_load_dword v5, off, s[0:3], 0 offset:160
	s_nop 0
	buffer_load_dword v6, off, s[0:3], 0 offset:164
	buffer_load_dword v83, off, s[0:3], 0 offset:168
	;; [unrolled: 1-line block ×7, first 2 shown]
	s_waitcnt vmcnt(43)
	global_store_dwordx2 v[1:2], v[93:94], off
	s_waitcnt vmcnt(42)
	global_store_dwordx2 v[9:10], v[95:96], off
	buffer_load_dword v0, off, s[0:3], 0 offset:192
	buffer_load_dword v1, off, s[0:3], 0 offset:196
	s_nop 0
	buffer_load_dword v9, off, s[0:3], 0 offset:200
	buffer_load_dword v10, off, s[0:3], 0 offset:204
	;; [unrolled: 1-line block ×6, first 2 shown]
	s_waitcnt vmcnt(49)
	global_store_dwordx2 v[3:4], v[97:98], off
	s_waitcnt vmcnt(48)
	global_store_dwordx2 v[11:12], v[99:100], off
	buffer_load_dword v2, off, s[0:3], 0 offset:224
	buffer_load_dword v3, off, s[0:3], 0 offset:228
	s_nop 0
	buffer_load_dword v11, off, s[0:3], 0 offset:232
	buffer_load_dword v12, off, s[0:3], 0 offset:236
	;; [unrolled: 1-line block ×6, first 2 shown]
	s_waitcnt vmcnt(55)
	global_store_dwordx2 v[7:8], v[101:102], off
	s_waitcnt vmcnt(48)
	global_store_dwordx2 v[13:14], v[103:104], off
	global_store_dwordx2 v[17:18], v[105:106], off
	;; [unrolled: 1-line block ×4, first 2 shown]
	buffer_load_dword v7, off, s[0:3], 0 offset:256
	buffer_load_dword v8, off, s[0:3], 0 offset:260
	;; [unrolled: 1-line block ×22, first 2 shown]
	s_waitcnt vmcnt(62)
	global_store_dwordx2 v[15:16], v[111:112], off
	global_store_dwordx2 v[19:20], v[113:114], off
	;; [unrolled: 1-line block ×5, first 2 shown]
	s_waitcnt vmcnt(62)
	global_store_dwordx2 v[31:32], v[87:88], off
	global_store_dwordx2 v[33:34], v[119:120], off
	;; [unrolled: 1-line block ×3, first 2 shown]
	s_waitcnt vmcnt(61)
	global_store_dwordx2 v[37:38], v[5:6], off
	s_waitcnt vmcnt(60)
	global_store_dwordx2 v[39:40], v[83:84], off
	;; [unrolled: 2-line block ×23, first 2 shown]
.LBB42_830:
	s_endpgm
	.section	.rodata,"a",@progbits
	.p2align	6, 0x0
	.amdhsa_kernel _ZN9rocsolver6v33100L18trti2_kernel_smallILi43EdPdEEv13rocblas_fill_17rocblas_diagonal_T1_iil
		.amdhsa_group_segment_fixed_size 696
		.amdhsa_private_segment_fixed_size 352
		.amdhsa_kernarg_size 32
		.amdhsa_user_sgpr_count 6
		.amdhsa_user_sgpr_private_segment_buffer 1
		.amdhsa_user_sgpr_dispatch_ptr 0
		.amdhsa_user_sgpr_queue_ptr 0
		.amdhsa_user_sgpr_kernarg_segment_ptr 1
		.amdhsa_user_sgpr_dispatch_id 0
		.amdhsa_user_sgpr_flat_scratch_init 0
		.amdhsa_user_sgpr_private_segment_size 0
		.amdhsa_uses_dynamic_stack 0
		.amdhsa_system_sgpr_private_segment_wavefront_offset 1
		.amdhsa_system_sgpr_workgroup_id_x 1
		.amdhsa_system_sgpr_workgroup_id_y 0
		.amdhsa_system_sgpr_workgroup_id_z 0
		.amdhsa_system_sgpr_workgroup_info 0
		.amdhsa_system_vgpr_workitem_id 0
		.amdhsa_next_free_vgpr 125
		.amdhsa_next_free_sgpr 56
		.amdhsa_reserve_vcc 1
		.amdhsa_reserve_flat_scratch 0
		.amdhsa_float_round_mode_32 0
		.amdhsa_float_round_mode_16_64 0
		.amdhsa_float_denorm_mode_32 3
		.amdhsa_float_denorm_mode_16_64 3
		.amdhsa_dx10_clamp 1
		.amdhsa_ieee_mode 1
		.amdhsa_fp16_overflow 0
		.amdhsa_exception_fp_ieee_invalid_op 0
		.amdhsa_exception_fp_denorm_src 0
		.amdhsa_exception_fp_ieee_div_zero 0
		.amdhsa_exception_fp_ieee_overflow 0
		.amdhsa_exception_fp_ieee_underflow 0
		.amdhsa_exception_fp_ieee_inexact 0
		.amdhsa_exception_int_div_zero 0
	.end_amdhsa_kernel
	.section	.text._ZN9rocsolver6v33100L18trti2_kernel_smallILi43EdPdEEv13rocblas_fill_17rocblas_diagonal_T1_iil,"axG",@progbits,_ZN9rocsolver6v33100L18trti2_kernel_smallILi43EdPdEEv13rocblas_fill_17rocblas_diagonal_T1_iil,comdat
.Lfunc_end42:
	.size	_ZN9rocsolver6v33100L18trti2_kernel_smallILi43EdPdEEv13rocblas_fill_17rocblas_diagonal_T1_iil, .Lfunc_end42-_ZN9rocsolver6v33100L18trti2_kernel_smallILi43EdPdEEv13rocblas_fill_17rocblas_diagonal_T1_iil
                                        ; -- End function
	.set _ZN9rocsolver6v33100L18trti2_kernel_smallILi43EdPdEEv13rocblas_fill_17rocblas_diagonal_T1_iil.num_vgpr, 125
	.set _ZN9rocsolver6v33100L18trti2_kernel_smallILi43EdPdEEv13rocblas_fill_17rocblas_diagonal_T1_iil.num_agpr, 0
	.set _ZN9rocsolver6v33100L18trti2_kernel_smallILi43EdPdEEv13rocblas_fill_17rocblas_diagonal_T1_iil.numbered_sgpr, 56
	.set _ZN9rocsolver6v33100L18trti2_kernel_smallILi43EdPdEEv13rocblas_fill_17rocblas_diagonal_T1_iil.num_named_barrier, 0
	.set _ZN9rocsolver6v33100L18trti2_kernel_smallILi43EdPdEEv13rocblas_fill_17rocblas_diagonal_T1_iil.private_seg_size, 352
	.set _ZN9rocsolver6v33100L18trti2_kernel_smallILi43EdPdEEv13rocblas_fill_17rocblas_diagonal_T1_iil.uses_vcc, 1
	.set _ZN9rocsolver6v33100L18trti2_kernel_smallILi43EdPdEEv13rocblas_fill_17rocblas_diagonal_T1_iil.uses_flat_scratch, 0
	.set _ZN9rocsolver6v33100L18trti2_kernel_smallILi43EdPdEEv13rocblas_fill_17rocblas_diagonal_T1_iil.has_dyn_sized_stack, 0
	.set _ZN9rocsolver6v33100L18trti2_kernel_smallILi43EdPdEEv13rocblas_fill_17rocblas_diagonal_T1_iil.has_recursion, 0
	.set _ZN9rocsolver6v33100L18trti2_kernel_smallILi43EdPdEEv13rocblas_fill_17rocblas_diagonal_T1_iil.has_indirect_call, 0
	.section	.AMDGPU.csdata,"",@progbits
; Kernel info:
; codeLenInByte = 25204
; TotalNumSgprs: 60
; NumVgprs: 125
; ScratchSize: 352
; MemoryBound: 0
; FloatMode: 240
; IeeeMode: 1
; LDSByteSize: 696 bytes/workgroup (compile time only)
; SGPRBlocks: 7
; VGPRBlocks: 31
; NumSGPRsForWavesPerEU: 60
; NumVGPRsForWavesPerEU: 125
; Occupancy: 2
; WaveLimiterHint : 0
; COMPUTE_PGM_RSRC2:SCRATCH_EN: 1
; COMPUTE_PGM_RSRC2:USER_SGPR: 6
; COMPUTE_PGM_RSRC2:TRAP_HANDLER: 0
; COMPUTE_PGM_RSRC2:TGID_X_EN: 1
; COMPUTE_PGM_RSRC2:TGID_Y_EN: 0
; COMPUTE_PGM_RSRC2:TGID_Z_EN: 0
; COMPUTE_PGM_RSRC2:TIDIG_COMP_CNT: 0
	.section	.text._ZN9rocsolver6v33100L18trti2_kernel_smallILi44EdPdEEv13rocblas_fill_17rocblas_diagonal_T1_iil,"axG",@progbits,_ZN9rocsolver6v33100L18trti2_kernel_smallILi44EdPdEEv13rocblas_fill_17rocblas_diagonal_T1_iil,comdat
	.globl	_ZN9rocsolver6v33100L18trti2_kernel_smallILi44EdPdEEv13rocblas_fill_17rocblas_diagonal_T1_iil ; -- Begin function _ZN9rocsolver6v33100L18trti2_kernel_smallILi44EdPdEEv13rocblas_fill_17rocblas_diagonal_T1_iil
	.p2align	8
	.type	_ZN9rocsolver6v33100L18trti2_kernel_smallILi44EdPdEEv13rocblas_fill_17rocblas_diagonal_T1_iil,@function
_ZN9rocsolver6v33100L18trti2_kernel_smallILi44EdPdEEv13rocblas_fill_17rocblas_diagonal_T1_iil: ; @_ZN9rocsolver6v33100L18trti2_kernel_smallILi44EdPdEEv13rocblas_fill_17rocblas_diagonal_T1_iil
; %bb.0:
	s_add_u32 s0, s0, s7
	s_addc_u32 s1, s1, 0
	v_cmp_gt_u32_e32 vcc, 44, v0
	s_and_saveexec_b64 s[8:9], vcc
	s_cbranch_execz .LBB43_850
; %bb.1:
	s_load_dwordx8 s[8:15], s[4:5], 0x0
	s_ashr_i32 s7, s6, 31
	v_lshlrev_b32_e32 v91, 3, v0
	s_waitcnt lgkmcnt(0)
	s_ashr_i32 s5, s12, 31
	s_mov_b32 s4, s12
	s_mul_hi_u32 s12, s14, s6
	s_mul_i32 s7, s14, s7
	s_add_i32 s7, s12, s7
	s_mul_i32 s12, s15, s6
	s_add_i32 s7, s7, s12
	s_mul_i32 s6, s14, s6
	s_lshl_b64 s[6:7], s[6:7], 3
	s_add_u32 s6, s10, s6
	s_addc_u32 s7, s11, s7
	s_lshl_b64 s[4:5], s[4:5], 3
	s_add_u32 s4, s6, s4
	s_addc_u32 s5, s7, s5
	s_add_i32 s6, s13, s13
	v_add_u32_e32 v1, s6, v0
	v_ashrrev_i32_e32 v2, 31, v1
	v_lshlrev_b64 v[2:3], 3, v[1:2]
	v_mov_b32_e32 v4, s5
	v_add_co_u32_e32 v5, vcc, s4, v2
	v_addc_co_u32_e32 v6, vcc, v4, v3, vcc
	v_add_u32_e32 v3, s13, v1
	v_ashrrev_i32_e32 v4, 31, v3
	v_lshlrev_b64 v[1:2], 3, v[3:4]
	v_mov_b32_e32 v4, s5
	v_add_co_u32_e32 v1, vcc, s4, v1
	v_add_u32_e32 v3, s13, v3
	v_addc_co_u32_e32 v2, vcc, v4, v2, vcc
	v_ashrrev_i32_e32 v4, 31, v3
	v_lshlrev_b64 v[7:8], 3, v[3:4]
	v_mov_b32_e32 v4, s5
	v_add_co_u32_e32 v9, vcc, s4, v7
	v_add_u32_e32 v7, s13, v3
	v_addc_co_u32_e32 v10, vcc, v4, v8, vcc
	;; [unrolled: 6-line block ×3, first 2 shown]
	v_ashrrev_i32_e32 v8, 31, v7
	v_lshlrev_b64 v[11:12], 3, v[7:8]
	v_add_u32_e32 v13, s13, v7
	v_mov_b32_e32 v8, s5
	v_add_co_u32_e32 v11, vcc, s4, v11
	v_ashrrev_i32_e32 v14, 31, v13
	v_addc_co_u32_e32 v12, vcc, v8, v12, vcc
	v_lshlrev_b64 v[7:8], 3, v[13:14]
	v_add_u32_e32 v15, s13, v13
	v_mov_b32_e32 v14, s5
	v_add_co_u32_e32 v7, vcc, s4, v7
	v_ashrrev_i32_e32 v16, 31, v15
	v_addc_co_u32_e32 v8, vcc, v14, v8, vcc
	v_lshlrev_b64 v[13:14], 3, v[15:16]
	v_mov_b32_e32 v16, s5
	v_add_co_u32_e32 v13, vcc, s4, v13
	v_add_u32_e32 v15, s13, v15
	v_addc_co_u32_e32 v14, vcc, v16, v14, vcc
	v_ashrrev_i32_e32 v16, 31, v15
	v_lshlrev_b64 v[17:18], 3, v[15:16]
	v_mov_b32_e32 v16, s5
	v_add_co_u32_e32 v17, vcc, s4, v17
	v_add_u32_e32 v15, s13, v15
	v_addc_co_u32_e32 v18, vcc, v16, v18, vcc
	v_ashrrev_i32_e32 v16, 31, v15
	v_lshlrev_b64 v[19:20], 3, v[15:16]
	v_add_u32_e32 v15, s13, v15
	v_mov_b32_e32 v22, s5
	v_add_co_u32_e32 v21, vcc, s4, v19
	v_ashrrev_i32_e32 v16, 31, v15
	v_addc_co_u32_e32 v22, vcc, v22, v20, vcc
	v_lshlrev_b64 v[19:20], 3, v[15:16]
	v_add_u32_e32 v15, s13, v15
	v_mov_b32_e32 v23, s5
	v_add_co_u32_e32 v25, vcc, s4, v19
	v_ashrrev_i32_e32 v16, 31, v15
	v_addc_co_u32_e32 v26, vcc, v23, v20, vcc
	v_lshlrev_b64 v[19:20], 3, v[15:16]
	v_mov_b32_e32 v27, s5
	v_add_co_u32_e32 v29, vcc, s4, v19
	v_add_u32_e32 v19, s13, v15
	v_addc_co_u32_e32 v30, vcc, v23, v20, vcc
	v_ashrrev_i32_e32 v20, 31, v19
	v_lshlrev_b64 v[15:16], 3, v[19:20]
	v_mov_b32_e32 v31, s5
	v_add_co_u32_e32 v15, vcc, s4, v15
	v_addc_co_u32_e32 v16, vcc, v23, v16, vcc
	v_add_u32_e32 v23, s13, v19
	v_ashrrev_i32_e32 v24, 31, v23
	v_lshlrev_b64 v[19:20], 3, v[23:24]
	v_mov_b32_e32 v33, s5
	v_add_co_u32_e32 v19, vcc, s4, v19
	v_addc_co_u32_e32 v20, vcc, v27, v20, vcc
	v_add_u32_e32 v27, s13, v23
	;; [unrolled: 6-line block ×21, first 2 shown]
	v_ashrrev_i32_e32 v68, 31, v67
	v_lshlrev_b64 v[65:66], 3, v[67:68]
	global_load_dwordx2 v[89:90], v91, s[4:5]
	global_load_dwordx2 v[94:95], v[5:6], off
	global_load_dwordx2 v[96:97], v[1:2], off
	;; [unrolled: 1-line block ×3, first 2 shown]
	v_add_co_u32_e32 v65, vcc, s4, v65
	v_addc_co_u32_e32 v66, vcc, v69, v66, vcc
	v_add_u32_e32 v69, s13, v67
	v_ashrrev_i32_e32 v70, 31, v69
	v_lshlrev_b64 v[67:68], 3, v[69:70]
	v_mov_b32_e32 v70, s5
	v_add_co_u32_e32 v67, vcc, s4, v67
	v_addc_co_u32_e32 v68, vcc, v71, v68, vcc
	v_add_co_u32_e32 v87, vcc, s4, v91
	s_ashr_i32 s7, s13, 31
	s_mov_b32 s6, s13
	v_addc_co_u32_e32 v88, vcc, 0, v70, vcc
	s_lshl_b64 s[6:7], s[6:7], 3
	v_mov_b32_e32 v70, s7
	v_add_co_u32_e32 v85, vcc, s6, v87
	v_addc_co_u32_e32 v86, vcc, v88, v70, vcc
	global_load_dwordx2 v[92:93], v[85:86], off
	global_load_dwordx2 v[108:109], v[17:18], off
	;; [unrolled: 1-line block ×7, first 2 shown]
	v_add_u32_e32 v71, s13, v69
	v_ashrrev_i32_e32 v72, 31, v71
	v_lshlrev_b64 v[69:70], 3, v[71:72]
	v_mov_b32_e32 v73, s5
	v_add_co_u32_e32 v69, vcc, s4, v69
	v_addc_co_u32_e32 v70, vcc, v73, v70, vcc
	v_add_u32_e32 v73, s13, v71
	v_ashrrev_i32_e32 v74, 31, v73
	v_lshlrev_b64 v[71:72], 3, v[73:74]
	v_mov_b32_e32 v75, s5
	v_add_co_u32_e32 v71, vcc, s4, v71
	v_addc_co_u32_e32 v72, vcc, v75, v72, vcc
	;; [unrolled: 6-line block ×6, first 2 shown]
	v_add_u32_e32 v83, s13, v81
	v_ashrrev_i32_e32 v84, 31, v83
	v_lshlrev_b64 v[81:82], 3, v[83:84]
	v_add_u32_e32 v83, s13, v83
	v_ashrrev_i32_e32 v84, 31, v83
	v_mov_b32_e32 v112, s5
	v_add_co_u32_e32 v81, vcc, s4, v81
	v_lshlrev_b64 v[83:84], 3, v[83:84]
	v_addc_co_u32_e32 v82, vcc, v112, v82, vcc
	v_add_co_u32_e32 v83, vcc, s4, v83
	v_addc_co_u32_e32 v84, vcc, v112, v84, vcc
	global_load_dwordx2 v[112:113], v[83:84], off
	global_load_dwordx2 v[114:115], v[25:26], off
	;; [unrolled: 1-line block ×6, first 2 shown]
	s_cmpk_lg_i32 s9, 0x84
	s_waitcnt vmcnt(16)
	buffer_store_dword v90, off, s[0:3], 0 offset:4
	buffer_store_dword v89, off, s[0:3], 0
	global_load_dwordx2 v[89:90], v[15:16], off
	s_cselect_b64 s[10:11], -1, 0
	s_waitcnt vmcnt(18)
	buffer_store_dword v95, off, s[0:3], 0 offset:20
	buffer_store_dword v94, off, s[0:3], 0 offset:16
	global_load_dwordx2 v[94:95], v[31:32], off
	s_cmpk_eq_i32 s9, 0x84
	s_waitcnt vmcnt(20)
	buffer_store_dword v97, off, s[0:3], 0 offset:28
	buffer_store_dword v96, off, s[0:3], 0 offset:24
	global_load_dwordx2 v[96:97], v[35:36], off
	s_waitcnt vmcnt(21)
	buffer_store_dword v93, off, s[0:3], 0 offset:12
	buffer_store_dword v92, off, s[0:3], 0 offset:8
	global_load_dwordx2 v[92:93], v[23:24], off
	;; [unrolled: 4-line block ×3, first 2 shown]
	s_nop 0
	buffer_store_dword v101, off, s[0:3], 0 offset:44
	buffer_store_dword v100, off, s[0:3], 0 offset:40
	global_load_dwordx2 v[100:101], v[39:40], off
	s_waitcnt vmcnt(26)
	buffer_store_dword v103, off, s[0:3], 0 offset:52
	buffer_store_dword v102, off, s[0:3], 0 offset:48
	global_load_dwordx2 v[102:103], v[41:42], off
	s_waitcnt vmcnt(27)
	buffer_store_dword v105, off, s[0:3], 0 offset:60
	buffer_store_dword v104, off, s[0:3], 0 offset:56
	global_load_dwordx2 v[104:105], v[43:44], off
	s_nop 0
	buffer_store_dword v107, off, s[0:3], 0 offset:68
	buffer_store_dword v106, off, s[0:3], 0 offset:64
	global_load_dwordx2 v[106:107], v[45:46], off
	s_nop 0
	;; [unrolled: 4-line block ×3, first 2 shown]
	buffer_store_dword v110, off, s[0:3], 0 offset:80
	buffer_store_dword v111, off, s[0:3], 0 offset:84
	global_load_dwordx2 v[110:111], v[49:50], off
	s_waitcnt vmcnt(37)
	buffer_store_dword v114, off, s[0:3], 0 offset:88
	buffer_store_dword v115, off, s[0:3], 0 offset:92
	s_waitcnt vmcnt(38)
	buffer_store_dword v116, off, s[0:3], 0 offset:96
	buffer_store_dword v117, off, s[0:3], 0 offset:100
	;; [unrolled: 3-line block ×3, first 2 shown]
	buffer_store_dword v119, off, s[0:3], 0 offset:116
	buffer_store_dword v118, off, s[0:3], 0 offset:112
	s_waitcnt vmcnt(29)
	buffer_store_dword v92, off, s[0:3], 0 offset:120
	buffer_store_dword v93, off, s[0:3], 0 offset:124
	;; [unrolled: 1-line block ×9, first 2 shown]
	global_load_dwordx2 v[89:90], v[51:52], off
	global_load_dwordx2 v[92:93], v[53:54], off
	;; [unrolled: 1-line block ×8, first 2 shown]
	s_nop 0
	buffer_store_dword v96, off, s[0:3], 0 offset:152
	global_load_dwordx2 v[96:97], v[57:58], off
	s_waitcnt vmcnt(45)
	buffer_store_dword v99, off, s[0:3], 0 offset:164
	buffer_store_dword v98, off, s[0:3], 0 offset:160
	global_load_dwordx2 v[98:99], v[59:60], off
	s_waitcnt vmcnt(45)
	buffer_store_dword v100, off, s[0:3], 0 offset:168
	;; [unrolled: 4-line block ×8, first 2 shown]
	buffer_store_dword v90, off, s[0:3], 0 offset:220
	s_waitcnt vmcnt(31)
	buffer_store_dword v92, off, s[0:3], 0 offset:224
	buffer_store_dword v93, off, s[0:3], 0 offset:228
	s_waitcnt vmcnt(32)
	buffer_store_dword v94, off, s[0:3], 0 offset:232
	;; [unrolled: 3-line block ×5, first 2 shown]
	buffer_store_dword v100, off, s[0:3], 0 offset:256
	buffer_store_dword v114, off, s[0:3], 0 offset:264
	buffer_store_dword v115, off, s[0:3], 0 offset:268
	s_waitcnt vmcnt(26)
	buffer_store_dword v102, off, s[0:3], 0 offset:272
	buffer_store_dword v103, off, s[0:3], 0 offset:276
	buffer_store_dword v116, off, s[0:3], 0 offset:280
	buffer_store_dword v117, off, s[0:3], 0 offset:284
	s_waitcnt vmcnt(27)
	buffer_store_dword v104, off, s[0:3], 0 offset:288
	;; [unrolled: 5-line block ×5, first 2 shown]
	buffer_store_dword v111, off, s[0:3], 0 offset:340
	buffer_store_dword v113, off, s[0:3], 0 offset:348
	v_mov_b32_e32 v89, 0
	v_mov_b32_e32 v90, 0xbff00000
	buffer_store_dword v112, off, s[0:3], 0 offset:344
	s_cbranch_scc1 .LBB43_3
; %bb.2:
	v_mov_b32_e32 v89, 0
	v_lshl_add_u32 v100, v0, 3, v89
	buffer_load_dword v89, v100, s[0:3], 0 offen
	buffer_load_dword v90, v100, s[0:3], 0 offen offset:4
	s_waitcnt vmcnt(0)
	v_div_scale_f64 v[92:93], s[4:5], v[89:90], v[89:90], 1.0
	v_rcp_f64_e32 v[94:95], v[92:93]
	v_fma_f64 v[96:97], -v[92:93], v[94:95], 1.0
	v_fma_f64 v[94:95], v[94:95], v[96:97], v[94:95]
	v_div_scale_f64 v[96:97], vcc, 1.0, v[89:90], 1.0
	v_fma_f64 v[98:99], -v[92:93], v[94:95], 1.0
	v_fma_f64 v[94:95], v[94:95], v[98:99], v[94:95]
	v_mul_f64 v[98:99], v[96:97], v[94:95]
	v_fma_f64 v[92:93], -v[92:93], v[98:99], v[96:97]
	v_div_fmas_f64 v[92:93], v[92:93], v[94:95], v[98:99]
	v_div_fixup_f64 v[89:90], v[92:93], v[89:90], 1.0
	buffer_store_dword v89, v100, s[0:3], 0 offen
	buffer_store_dword v90, v100, s[0:3], 0 offen offset:4
	v_xor_b32_e32 v90, 0x80000000, v90
.LBB43_3:
	s_cmpk_eq_i32 s8, 0x79
	v_add_u32_e32 v92, 0x160, v91
	v_mov_b32_e32 v93, v91
	s_mov_b64 s[4:5], -1
	ds_write_b64 v91, v[89:90]
	s_cbranch_scc1 .LBB43_427
; %bb.4:
	buffer_load_dword v89, off, s[0:3], 0 offset:336
	buffer_load_dword v90, off, s[0:3], 0 offset:340
	s_movk_i32 s12, 0x48
	s_movk_i32 s13, 0x50
	;; [unrolled: 1-line block ×33, first 2 shown]
	v_cmp_eq_u32_e64 s[4:5], 43, v0
	s_waitcnt vmcnt(0)
	ds_write_b64 v92, v[89:90]
	s_waitcnt lgkmcnt(0)
	; wave barrier
	s_and_saveexec_b64 s[6:7], s[4:5]
	s_cbranch_execz .LBB43_10
; %bb.5:
	s_and_b64 vcc, exec, s[10:11]
	s_cbranch_vccz .LBB43_7
; %bb.6:
	buffer_load_dword v89, v93, s[0:3], 0 offen
	buffer_load_dword v90, v93, s[0:3], 0 offen offset:4
	ds_read_b64 v[94:95], v92
	s_waitcnt vmcnt(0) lgkmcnt(0)
	v_mul_f64 v[89:90], v[89:90], v[94:95]
	s_cbranch_execz .LBB43_8
	s_branch .LBB43_9
.LBB43_7:
                                        ; implicit-def: $vgpr89_vgpr90
.LBB43_8:
	ds_read_b64 v[89:90], v92
.LBB43_9:
	v_mov_b32_e32 v94, 0
	ds_read_b64 v[94:95], v94 offset:336
	s_waitcnt lgkmcnt(0)
	v_mul_f64 v[89:90], v[89:90], v[94:95]
	buffer_store_dword v90, off, s[0:3], 0 offset:340
	buffer_store_dword v89, off, s[0:3], 0 offset:336
.LBB43_10:
	s_or_b64 exec, exec, s[6:7]
	buffer_load_dword v89, off, s[0:3], 0 offset:328
	buffer_load_dword v90, off, s[0:3], 0 offset:332
	s_or_b32 s14, 0, 8
	s_mov_b32 s15, 16
	s_mov_b32 s16, 24
	;; [unrolled: 1-line block ×9, first 2 shown]
	v_cmp_lt_u32_e64 s[6:7], 41, v0
	s_waitcnt vmcnt(0)
	ds_write_b64 v92, v[89:90]
	s_waitcnt lgkmcnt(0)
	; wave barrier
	s_and_saveexec_b64 s[8:9], s[6:7]
	s_cbranch_execz .LBB43_16
; %bb.11:
	s_andn2_b64 vcc, exec, s[10:11]
	s_cbranch_vccnz .LBB43_13
; %bb.12:
	buffer_load_dword v89, v93, s[0:3], 0 offen
	buffer_load_dword v90, v93, s[0:3], 0 offen offset:4
	ds_read_b64 v[94:95], v92
	s_waitcnt vmcnt(0) lgkmcnt(0)
	v_mul_f64 v[89:90], v[89:90], v[94:95]
	s_cbranch_execz .LBB43_14
	s_branch .LBB43_15
.LBB43_13:
                                        ; implicit-def: $vgpr89_vgpr90
.LBB43_14:
	ds_read_b64 v[89:90], v92
.LBB43_15:
	buffer_load_dword v98, off, s[0:3], 0 offset:336
	buffer_load_dword v99, off, s[0:3], 0 offset:340
	v_mov_b32_e32 v94, 0
	ds_read2_b64 v[94:97], v94 offset0:41 offset1:86
	s_waitcnt vmcnt(0) lgkmcnt(0)
	v_fma_f64 v[96:97], v[98:99], v[96:97], v[89:90]
	v_cndmask_b32_e64 v90, v90, v97, s[4:5]
	v_cndmask_b32_e64 v89, v89, v96, s[4:5]
	v_mul_f64 v[89:90], v[89:90], v[94:95]
	buffer_store_dword v90, off, s[0:3], 0 offset:332
	buffer_store_dword v89, off, s[0:3], 0 offset:328
.LBB43_16:
	s_or_b64 exec, exec, s[8:9]
	buffer_load_dword v89, off, s[0:3], 0 offset:320
	buffer_load_dword v90, off, s[0:3], 0 offset:324
	v_cmp_lt_u32_e64 s[4:5], 40, v0
	s_waitcnt vmcnt(0)
	ds_write_b64 v92, v[89:90]
	s_waitcnt lgkmcnt(0)
	; wave barrier
	s_and_saveexec_b64 s[8:9], s[4:5]
	s_cbranch_execz .LBB43_26
; %bb.17:
	s_andn2_b64 vcc, exec, s[10:11]
	s_cbranch_vccnz .LBB43_19
; %bb.18:
	buffer_load_dword v89, v93, s[0:3], 0 offen
	buffer_load_dword v90, v93, s[0:3], 0 offen offset:4
	ds_read_b64 v[94:95], v92
	s_waitcnt vmcnt(0) lgkmcnt(0)
	v_mul_f64 v[89:90], v[89:90], v[94:95]
	s_cbranch_execz .LBB43_20
	s_branch .LBB43_21
.LBB43_19:
                                        ; implicit-def: $vgpr89_vgpr90
.LBB43_20:
	ds_read_b64 v[89:90], v92
.LBB43_21:
	s_and_saveexec_b64 s[12:13], s[6:7]
	s_cbranch_execz .LBB43_25
; %bb.22:
	v_subrev_u32_e32 v94, 41, v0
	s_movk_i32 s56, 0x2a8
	s_mov_b64 s[6:7], 0
.LBB43_23:                              ; =>This Inner Loop Header: Depth=1
	v_mov_b32_e32 v96, s55
	buffer_load_dword v95, v96, s[0:3], 0 offen
	s_nop 0
	buffer_load_dword v96, v96, s[0:3], 0 offen offset:4
	v_mov_b32_e32 v97, s56
	ds_read_b64 v[97:98], v97
	v_add_u32_e32 v94, -1, v94
	s_add_i32 s56, s56, 8
	s_add_i32 s55, s55, 8
	v_cmp_eq_u32_e32 vcc, 0, v94
	s_or_b64 s[6:7], vcc, s[6:7]
	s_waitcnt vmcnt(0) lgkmcnt(0)
	v_fma_f64 v[89:90], v[95:96], v[97:98], v[89:90]
	s_andn2_b64 exec, exec, s[6:7]
	s_cbranch_execnz .LBB43_23
; %bb.24:
	s_or_b64 exec, exec, s[6:7]
.LBB43_25:
	s_or_b64 exec, exec, s[12:13]
	v_mov_b32_e32 v94, 0
	ds_read_b64 v[94:95], v94 offset:320
	s_waitcnt lgkmcnt(0)
	v_mul_f64 v[89:90], v[89:90], v[94:95]
	buffer_store_dword v90, off, s[0:3], 0 offset:324
	buffer_store_dword v89, off, s[0:3], 0 offset:320
.LBB43_26:
	s_or_b64 exec, exec, s[8:9]
	buffer_load_dword v89, off, s[0:3], 0 offset:312
	buffer_load_dword v90, off, s[0:3], 0 offset:316
	v_cmp_lt_u32_e64 s[6:7], 39, v0
	s_waitcnt vmcnt(0)
	ds_write_b64 v92, v[89:90]
	s_waitcnt lgkmcnt(0)
	; wave barrier
	s_and_saveexec_b64 s[8:9], s[6:7]
	s_cbranch_execz .LBB43_36
; %bb.27:
	s_andn2_b64 vcc, exec, s[10:11]
	s_cbranch_vccnz .LBB43_29
; %bb.28:
	buffer_load_dword v89, v93, s[0:3], 0 offen
	buffer_load_dword v90, v93, s[0:3], 0 offen offset:4
	ds_read_b64 v[94:95], v92
	s_waitcnt vmcnt(0) lgkmcnt(0)
	v_mul_f64 v[89:90], v[89:90], v[94:95]
	s_cbranch_execz .LBB43_30
	s_branch .LBB43_31
.LBB43_29:
                                        ; implicit-def: $vgpr89_vgpr90
.LBB43_30:
	ds_read_b64 v[89:90], v92
.LBB43_31:
	s_and_saveexec_b64 s[12:13], s[4:5]
	s_cbranch_execz .LBB43_35
; %bb.32:
	v_subrev_u32_e32 v94, 40, v0
	s_movk_i32 s55, 0x2a0
	s_mov_b64 s[4:5], 0
.LBB43_33:                              ; =>This Inner Loop Header: Depth=1
	v_mov_b32_e32 v96, s54
	buffer_load_dword v95, v96, s[0:3], 0 offen
	s_nop 0
	buffer_load_dword v96, v96, s[0:3], 0 offen offset:4
	v_mov_b32_e32 v97, s55
	ds_read_b64 v[97:98], v97
	v_add_u32_e32 v94, -1, v94
	s_add_i32 s55, s55, 8
	s_add_i32 s54, s54, 8
	v_cmp_eq_u32_e32 vcc, 0, v94
	s_or_b64 s[4:5], vcc, s[4:5]
	s_waitcnt vmcnt(0) lgkmcnt(0)
	v_fma_f64 v[89:90], v[95:96], v[97:98], v[89:90]
	s_andn2_b64 exec, exec, s[4:5]
	s_cbranch_execnz .LBB43_33
; %bb.34:
	s_or_b64 exec, exec, s[4:5]
.LBB43_35:
	s_or_b64 exec, exec, s[12:13]
	v_mov_b32_e32 v94, 0
	ds_read_b64 v[94:95], v94 offset:312
	s_waitcnt lgkmcnt(0)
	v_mul_f64 v[89:90], v[89:90], v[94:95]
	buffer_store_dword v90, off, s[0:3], 0 offset:316
	buffer_store_dword v89, off, s[0:3], 0 offset:312
.LBB43_36:
	;; [unrolled: 59-line block ×5, first 2 shown]
	s_or_b64 exec, exec, s[4:5]
	buffer_load_dword v89, off, s[0:3], 0 offset:280
	buffer_load_dword v90, off, s[0:3], 0 offset:284
	v_cmp_lt_u32_e64 s[4:5], 35, v0
	s_waitcnt vmcnt(0)
	ds_write_b64 v92, v[89:90]
	s_waitcnt lgkmcnt(0)
	; wave barrier
	s_and_saveexec_b64 s[6:7], s[4:5]
	s_cbranch_execz .LBB43_76
; %bb.67:
	s_andn2_b64 vcc, exec, s[10:11]
	s_cbranch_vccnz .LBB43_69
; %bb.68:
	buffer_load_dword v89, v93, s[0:3], 0 offen
	buffer_load_dword v90, v93, s[0:3], 0 offen offset:4
	ds_read_b64 v[94:95], v92
	s_waitcnt vmcnt(0) lgkmcnt(0)
	v_mul_f64 v[89:90], v[89:90], v[94:95]
	s_cbranch_execz .LBB43_70
	s_branch .LBB43_71
.LBB43_69:
                                        ; implicit-def: $vgpr89_vgpr90
.LBB43_70:
	ds_read_b64 v[89:90], v92
.LBB43_71:
	s_and_saveexec_b64 s[12:13], s[8:9]
	s_cbranch_execz .LBB43_75
; %bb.72:
	v_subrev_u32_e32 v94, 36, v0
	s_movk_i32 s51, 0x280
	s_mov_b64 s[8:9], 0
.LBB43_73:                              ; =>This Inner Loop Header: Depth=1
	v_mov_b32_e32 v97, s50
	buffer_load_dword v95, v97, s[0:3], 0 offen
	buffer_load_dword v96, v97, s[0:3], 0 offen offset:4
	v_mov_b32_e32 v97, s51
	ds_read_b64 v[97:98], v97
	v_add_u32_e32 v94, -1, v94
	s_add_i32 s51, s51, 8
	s_add_i32 s50, s50, 8
	v_cmp_eq_u32_e32 vcc, 0, v94
	s_or_b64 s[8:9], vcc, s[8:9]
	s_waitcnt vmcnt(0) lgkmcnt(0)
	v_fma_f64 v[89:90], v[95:96], v[97:98], v[89:90]
	s_andn2_b64 exec, exec, s[8:9]
	s_cbranch_execnz .LBB43_73
; %bb.74:
	s_or_b64 exec, exec, s[8:9]
.LBB43_75:
	s_or_b64 exec, exec, s[12:13]
	v_mov_b32_e32 v94, 0
	ds_read_b64 v[94:95], v94 offset:280
	s_waitcnt lgkmcnt(0)
	v_mul_f64 v[89:90], v[89:90], v[94:95]
	buffer_store_dword v90, off, s[0:3], 0 offset:284
	buffer_store_dword v89, off, s[0:3], 0 offset:280
.LBB43_76:
	s_or_b64 exec, exec, s[6:7]
	buffer_load_dword v89, off, s[0:3], 0 offset:272
	buffer_load_dword v90, off, s[0:3], 0 offset:276
	v_cmp_lt_u32_e64 s[6:7], 34, v0
	s_waitcnt vmcnt(0)
	ds_write_b64 v92, v[89:90]
	s_waitcnt lgkmcnt(0)
	; wave barrier
	s_and_saveexec_b64 s[8:9], s[6:7]
	s_cbranch_execz .LBB43_86
; %bb.77:
	s_andn2_b64 vcc, exec, s[10:11]
	s_cbranch_vccnz .LBB43_79
; %bb.78:
	buffer_load_dword v89, v93, s[0:3], 0 offen
	buffer_load_dword v90, v93, s[0:3], 0 offen offset:4
	ds_read_b64 v[94:95], v92
	s_waitcnt vmcnt(0) lgkmcnt(0)
	v_mul_f64 v[89:90], v[89:90], v[94:95]
	s_cbranch_execz .LBB43_80
	s_branch .LBB43_81
.LBB43_79:
                                        ; implicit-def: $vgpr89_vgpr90
.LBB43_80:
	ds_read_b64 v[89:90], v92
.LBB43_81:
	s_and_saveexec_b64 s[12:13], s[4:5]
	s_cbranch_execz .LBB43_85
; %bb.82:
	v_subrev_u32_e32 v94, 35, v0
	s_movk_i32 s50, 0x278
	s_mov_b64 s[4:5], 0
.LBB43_83:                              ; =>This Inner Loop Header: Depth=1
	v_mov_b32_e32 v97, s49
	buffer_load_dword v95, v97, s[0:3], 0 offen
	buffer_load_dword v96, v97, s[0:3], 0 offen offset:4
	v_mov_b32_e32 v97, s50
	ds_read_b64 v[97:98], v97
	v_add_u32_e32 v94, -1, v94
	s_add_i32 s50, s50, 8
	s_add_i32 s49, s49, 8
	v_cmp_eq_u32_e32 vcc, 0, v94
	s_or_b64 s[4:5], vcc, s[4:5]
	s_waitcnt vmcnt(0) lgkmcnt(0)
	v_fma_f64 v[89:90], v[95:96], v[97:98], v[89:90]
	s_andn2_b64 exec, exec, s[4:5]
	s_cbranch_execnz .LBB43_83
; %bb.84:
	s_or_b64 exec, exec, s[4:5]
.LBB43_85:
	s_or_b64 exec, exec, s[12:13]
	v_mov_b32_e32 v94, 0
	ds_read_b64 v[94:95], v94 offset:272
	s_waitcnt lgkmcnt(0)
	v_mul_f64 v[89:90], v[89:90], v[94:95]
	buffer_store_dword v90, off, s[0:3], 0 offset:276
	buffer_store_dword v89, off, s[0:3], 0 offset:272
.LBB43_86:
	;; [unrolled: 58-line block ×3, first 2 shown]
	s_or_b64 exec, exec, s[8:9]
	buffer_load_dword v89, off, s[0:3], 0 offset:256
	buffer_load_dword v90, off, s[0:3], 0 offset:260
	v_cmp_lt_u32_e64 s[6:7], 32, v0
	s_waitcnt vmcnt(0)
	ds_write_b64 v92, v[89:90]
	s_waitcnt lgkmcnt(0)
	; wave barrier
	s_and_saveexec_b64 s[8:9], s[6:7]
	s_cbranch_execz .LBB43_106
; %bb.97:
	s_andn2_b64 vcc, exec, s[10:11]
	s_cbranch_vccnz .LBB43_99
; %bb.98:
	buffer_load_dword v89, v93, s[0:3], 0 offen
	buffer_load_dword v90, v93, s[0:3], 0 offen offset:4
	ds_read_b64 v[94:95], v92
	s_waitcnt vmcnt(0) lgkmcnt(0)
	v_mul_f64 v[89:90], v[89:90], v[94:95]
	s_cbranch_execz .LBB43_100
	s_branch .LBB43_101
.LBB43_99:
                                        ; implicit-def: $vgpr89_vgpr90
.LBB43_100:
	ds_read_b64 v[89:90], v92
.LBB43_101:
	s_and_saveexec_b64 s[12:13], s[4:5]
	s_cbranch_execz .LBB43_105
; %bb.102:
	v_subrev_u32_e32 v94, 33, v0
	s_movk_i32 s48, 0x268
	s_mov_b64 s[4:5], 0
.LBB43_103:                             ; =>This Inner Loop Header: Depth=1
	v_mov_b32_e32 v97, s47
	buffer_load_dword v95, v97, s[0:3], 0 offen
	buffer_load_dword v96, v97, s[0:3], 0 offen offset:4
	v_mov_b32_e32 v97, s48
	ds_read_b64 v[97:98], v97
	v_add_u32_e32 v94, -1, v94
	s_add_i32 s48, s48, 8
	s_add_i32 s47, s47, 8
	v_cmp_eq_u32_e32 vcc, 0, v94
	s_or_b64 s[4:5], vcc, s[4:5]
	s_waitcnt vmcnt(0) lgkmcnt(0)
	v_fma_f64 v[89:90], v[95:96], v[97:98], v[89:90]
	s_andn2_b64 exec, exec, s[4:5]
	s_cbranch_execnz .LBB43_103
; %bb.104:
	s_or_b64 exec, exec, s[4:5]
.LBB43_105:
	s_or_b64 exec, exec, s[12:13]
	v_mov_b32_e32 v94, 0
	ds_read_b64 v[94:95], v94 offset:256
	s_waitcnt lgkmcnt(0)
	v_mul_f64 v[89:90], v[89:90], v[94:95]
	buffer_store_dword v90, off, s[0:3], 0 offset:260
	buffer_store_dword v89, off, s[0:3], 0 offset:256
.LBB43_106:
	s_or_b64 exec, exec, s[8:9]
	buffer_load_dword v89, off, s[0:3], 0 offset:248
	buffer_load_dword v90, off, s[0:3], 0 offset:252
	v_cmp_lt_u32_e64 s[4:5], 31, v0
	s_waitcnt vmcnt(0)
	ds_write_b64 v92, v[89:90]
	s_waitcnt lgkmcnt(0)
	; wave barrier
	s_and_saveexec_b64 s[8:9], s[4:5]
	s_cbranch_execz .LBB43_116
; %bb.107:
	s_andn2_b64 vcc, exec, s[10:11]
	s_cbranch_vccnz .LBB43_109
; %bb.108:
	buffer_load_dword v89, v93, s[0:3], 0 offen
	buffer_load_dword v90, v93, s[0:3], 0 offen offset:4
	ds_read_b64 v[94:95], v92
	s_waitcnt vmcnt(0) lgkmcnt(0)
	v_mul_f64 v[89:90], v[89:90], v[94:95]
	s_cbranch_execz .LBB43_110
	s_branch .LBB43_111
.LBB43_109:
                                        ; implicit-def: $vgpr89_vgpr90
.LBB43_110:
	ds_read_b64 v[89:90], v92
.LBB43_111:
	s_and_saveexec_b64 s[12:13], s[6:7]
	s_cbranch_execz .LBB43_115
; %bb.112:
	v_subrev_u32_e32 v94, 32, v0
	s_movk_i32 s47, 0x260
	s_mov_b64 s[6:7], 0
.LBB43_113:                             ; =>This Inner Loop Header: Depth=1
	v_mov_b32_e32 v97, s46
	buffer_load_dword v95, v97, s[0:3], 0 offen
	buffer_load_dword v96, v97, s[0:3], 0 offen offset:4
	v_mov_b32_e32 v97, s47
	ds_read_b64 v[97:98], v97
	v_add_u32_e32 v94, -1, v94
	s_add_i32 s47, s47, 8
	s_add_i32 s46, s46, 8
	v_cmp_eq_u32_e32 vcc, 0, v94
	s_or_b64 s[6:7], vcc, s[6:7]
	s_waitcnt vmcnt(0) lgkmcnt(0)
	v_fma_f64 v[89:90], v[95:96], v[97:98], v[89:90]
	s_andn2_b64 exec, exec, s[6:7]
	s_cbranch_execnz .LBB43_113
; %bb.114:
	s_or_b64 exec, exec, s[6:7]
.LBB43_115:
	s_or_b64 exec, exec, s[12:13]
	v_mov_b32_e32 v94, 0
	ds_read_b64 v[94:95], v94 offset:248
	s_waitcnt lgkmcnt(0)
	v_mul_f64 v[89:90], v[89:90], v[94:95]
	buffer_store_dword v90, off, s[0:3], 0 offset:252
	buffer_store_dword v89, off, s[0:3], 0 offset:248
.LBB43_116:
	;; [unrolled: 58-line block ×17, first 2 shown]
	s_or_b64 exec, exec, s[8:9]
	buffer_load_dword v89, off, s[0:3], 0 offset:120
	buffer_load_dword v90, off, s[0:3], 0 offset:124
	v_cmp_lt_u32_e64 s[4:5], 15, v0
	s_waitcnt vmcnt(0)
	ds_write_b64 v92, v[89:90]
	s_waitcnt lgkmcnt(0)
	; wave barrier
	s_and_saveexec_b64 s[8:9], s[4:5]
	s_cbranch_execz .LBB43_276
; %bb.267:
	s_andn2_b64 vcc, exec, s[10:11]
	s_cbranch_vccnz .LBB43_269
; %bb.268:
	buffer_load_dword v89, v93, s[0:3], 0 offen
	buffer_load_dword v90, v93, s[0:3], 0 offen offset:4
	ds_read_b64 v[94:95], v92
	s_waitcnt vmcnt(0) lgkmcnt(0)
	v_mul_f64 v[89:90], v[89:90], v[94:95]
	s_cbranch_execz .LBB43_270
	s_branch .LBB43_271
.LBB43_269:
                                        ; implicit-def: $vgpr89_vgpr90
.LBB43_270:
	ds_read_b64 v[89:90], v92
.LBB43_271:
	s_and_saveexec_b64 s[12:13], s[6:7]
	s_cbranch_execz .LBB43_275
; %bb.272:
	v_add_u32_e32 v94, -16, v0
	s_movk_i32 s30, 0x1e0
	s_mov_b64 s[6:7], 0
.LBB43_273:                             ; =>This Inner Loop Header: Depth=1
	v_mov_b32_e32 v97, s29
	buffer_load_dword v95, v97, s[0:3], 0 offen
	buffer_load_dword v96, v97, s[0:3], 0 offen offset:4
	v_mov_b32_e32 v97, s30
	ds_read_b64 v[97:98], v97
	v_add_u32_e32 v94, -1, v94
	s_add_i32 s30, s30, 8
	s_add_i32 s29, s29, 8
	v_cmp_eq_u32_e32 vcc, 0, v94
	s_or_b64 s[6:7], vcc, s[6:7]
	s_waitcnt vmcnt(0) lgkmcnt(0)
	v_fma_f64 v[89:90], v[95:96], v[97:98], v[89:90]
	s_andn2_b64 exec, exec, s[6:7]
	s_cbranch_execnz .LBB43_273
; %bb.274:
	s_or_b64 exec, exec, s[6:7]
.LBB43_275:
	s_or_b64 exec, exec, s[12:13]
	v_mov_b32_e32 v94, 0
	ds_read_b64 v[94:95], v94 offset:120
	s_waitcnt lgkmcnt(0)
	v_mul_f64 v[89:90], v[89:90], v[94:95]
	buffer_store_dword v90, off, s[0:3], 0 offset:124
	buffer_store_dword v89, off, s[0:3], 0 offset:120
.LBB43_276:
	s_or_b64 exec, exec, s[8:9]
	buffer_load_dword v89, off, s[0:3], 0 offset:112
	buffer_load_dword v90, off, s[0:3], 0 offset:116
	v_cmp_lt_u32_e64 s[6:7], 14, v0
	s_waitcnt vmcnt(0)
	ds_write_b64 v92, v[89:90]
	s_waitcnt lgkmcnt(0)
	; wave barrier
	s_and_saveexec_b64 s[8:9], s[6:7]
	s_cbranch_execz .LBB43_286
; %bb.277:
	s_andn2_b64 vcc, exec, s[10:11]
	s_cbranch_vccnz .LBB43_279
; %bb.278:
	buffer_load_dword v89, v93, s[0:3], 0 offen
	buffer_load_dword v90, v93, s[0:3], 0 offen offset:4
	ds_read_b64 v[94:95], v92
	s_waitcnt vmcnt(0) lgkmcnt(0)
	v_mul_f64 v[89:90], v[89:90], v[94:95]
	s_cbranch_execz .LBB43_280
	s_branch .LBB43_281
.LBB43_279:
                                        ; implicit-def: $vgpr89_vgpr90
.LBB43_280:
	ds_read_b64 v[89:90], v92
.LBB43_281:
	s_and_saveexec_b64 s[12:13], s[4:5]
	s_cbranch_execz .LBB43_285
; %bb.282:
	v_add_u32_e32 v94, -15, v0
	s_movk_i32 s29, 0x1d8
	s_mov_b64 s[4:5], 0
.LBB43_283:                             ; =>This Inner Loop Header: Depth=1
	v_mov_b32_e32 v97, s28
	buffer_load_dword v95, v97, s[0:3], 0 offen
	buffer_load_dword v96, v97, s[0:3], 0 offen offset:4
	v_mov_b32_e32 v97, s29
	ds_read_b64 v[97:98], v97
	v_add_u32_e32 v94, -1, v94
	s_add_i32 s29, s29, 8
	s_add_i32 s28, s28, 8
	v_cmp_eq_u32_e32 vcc, 0, v94
	s_or_b64 s[4:5], vcc, s[4:5]
	s_waitcnt vmcnt(0) lgkmcnt(0)
	v_fma_f64 v[89:90], v[95:96], v[97:98], v[89:90]
	s_andn2_b64 exec, exec, s[4:5]
	s_cbranch_execnz .LBB43_283
; %bb.284:
	s_or_b64 exec, exec, s[4:5]
.LBB43_285:
	s_or_b64 exec, exec, s[12:13]
	v_mov_b32_e32 v94, 0
	ds_read_b64 v[94:95], v94 offset:112
	s_waitcnt lgkmcnt(0)
	v_mul_f64 v[89:90], v[89:90], v[94:95]
	buffer_store_dword v90, off, s[0:3], 0 offset:116
	buffer_store_dword v89, off, s[0:3], 0 offset:112
.LBB43_286:
	;; [unrolled: 58-line block ×15, first 2 shown]
	s_or_b64 exec, exec, s[8:9]
	buffer_load_dword v89, off, s[0:3], 0
	buffer_load_dword v90, off, s[0:3], 0 offset:4
	v_cmp_ne_u32_e32 vcc, 0, v0
	s_waitcnt vmcnt(0)
	ds_write_b64 v92, v[89:90]
	s_waitcnt lgkmcnt(0)
	; wave barrier
	s_and_saveexec_b64 s[6:7], vcc
	s_cbranch_execz .LBB43_426
; %bb.417:
	s_andn2_b64 vcc, exec, s[10:11]
	s_cbranch_vccnz .LBB43_419
; %bb.418:
	buffer_load_dword v89, v93, s[0:3], 0 offen
	buffer_load_dword v90, v93, s[0:3], 0 offen offset:4
	ds_read_b64 v[94:95], v92
	s_waitcnt vmcnt(0) lgkmcnt(0)
	v_mul_f64 v[89:90], v[89:90], v[94:95]
	s_cbranch_execz .LBB43_420
	s_branch .LBB43_421
.LBB43_419:
                                        ; implicit-def: $vgpr89_vgpr90
.LBB43_420:
	ds_read_b64 v[89:90], v92
.LBB43_421:
	s_and_saveexec_b64 s[8:9], s[4:5]
	s_cbranch_execz .LBB43_425
; %bb.422:
	v_add_u32_e32 v94, -1, v0
	s_movk_i32 s12, 0x168
	s_mov_b64 s[4:5], 0
.LBB43_423:                             ; =>This Inner Loop Header: Depth=1
	v_mov_b32_e32 v97, s14
	buffer_load_dword v95, v97, s[0:3], 0 offen
	buffer_load_dword v96, v97, s[0:3], 0 offen offset:4
	v_mov_b32_e32 v97, s12
	ds_read_b64 v[97:98], v97
	v_add_u32_e32 v94, -1, v94
	s_add_i32 s12, s12, 8
	s_add_i32 s14, s14, 8
	v_cmp_eq_u32_e32 vcc, 0, v94
	s_or_b64 s[4:5], vcc, s[4:5]
	s_waitcnt vmcnt(0) lgkmcnt(0)
	v_fma_f64 v[89:90], v[95:96], v[97:98], v[89:90]
	s_andn2_b64 exec, exec, s[4:5]
	s_cbranch_execnz .LBB43_423
; %bb.424:
	s_or_b64 exec, exec, s[4:5]
.LBB43_425:
	s_or_b64 exec, exec, s[8:9]
	v_mov_b32_e32 v94, 0
	ds_read_b64 v[94:95], v94
	s_waitcnt lgkmcnt(0)
	v_mul_f64 v[89:90], v[89:90], v[94:95]
	buffer_store_dword v90, off, s[0:3], 0 offset:4
	buffer_store_dword v89, off, s[0:3], 0
.LBB43_426:
	s_or_b64 exec, exec, s[6:7]
	s_mov_b64 s[4:5], 0
.LBB43_427:
	s_and_b64 vcc, exec, s[4:5]
	s_cbranch_vccz .LBB43_849
; %bb.428:
	buffer_load_dword v89, off, s[0:3], 0 offset:8
	buffer_load_dword v90, off, s[0:3], 0 offset:12
	v_cmp_eq_u32_e64 s[6:7], 0, v0
	s_waitcnt vmcnt(0)
	ds_write_b64 v92, v[89:90]
	s_waitcnt lgkmcnt(0)
	; wave barrier
	s_and_saveexec_b64 s[4:5], s[6:7]
	s_cbranch_execz .LBB43_434
; %bb.429:
	s_and_b64 vcc, exec, s[10:11]
	s_cbranch_vccz .LBB43_431
; %bb.430:
	buffer_load_dword v89, v93, s[0:3], 0 offen
	buffer_load_dword v90, v93, s[0:3], 0 offen offset:4
	ds_read_b64 v[94:95], v92
	s_waitcnt vmcnt(0) lgkmcnt(0)
	v_mul_f64 v[89:90], v[89:90], v[94:95]
	s_cbranch_execz .LBB43_432
	s_branch .LBB43_433
.LBB43_431:
                                        ; implicit-def: $vgpr89_vgpr90
.LBB43_432:
	ds_read_b64 v[89:90], v92
.LBB43_433:
	v_mov_b32_e32 v94, 0
	ds_read_b64 v[94:95], v94 offset:8
	s_waitcnt lgkmcnt(0)
	v_mul_f64 v[89:90], v[89:90], v[94:95]
	buffer_store_dword v90, off, s[0:3], 0 offset:12
	buffer_store_dword v89, off, s[0:3], 0 offset:8
.LBB43_434:
	s_or_b64 exec, exec, s[4:5]
	buffer_load_dword v89, off, s[0:3], 0 offset:16
	buffer_load_dword v90, off, s[0:3], 0 offset:20
	v_cndmask_b32_e64 v94, 0, 1, s[10:11]
	v_cmp_gt_u32_e32 vcc, 2, v0
	v_cmp_ne_u32_e64 s[4:5], 1, v94
	s_waitcnt vmcnt(0)
	ds_write_b64 v92, v[89:90]
	s_waitcnt lgkmcnt(0)
	; wave barrier
	s_and_saveexec_b64 s[8:9], vcc
	s_cbranch_execz .LBB43_440
; %bb.435:
	s_and_b64 vcc, exec, s[4:5]
	s_cbranch_vccnz .LBB43_437
; %bb.436:
	buffer_load_dword v89, v93, s[0:3], 0 offen
	buffer_load_dword v90, v93, s[0:3], 0 offen offset:4
	ds_read_b64 v[94:95], v92
	s_waitcnt vmcnt(0) lgkmcnt(0)
	v_mul_f64 v[89:90], v[89:90], v[94:95]
	s_cbranch_execz .LBB43_438
	s_branch .LBB43_439
.LBB43_437:
                                        ; implicit-def: $vgpr89_vgpr90
.LBB43_438:
	ds_read_b64 v[89:90], v92
.LBB43_439:
	buffer_load_dword v98, off, s[0:3], 0 offset:8
	buffer_load_dword v99, off, s[0:3], 0 offset:12
	v_mov_b32_e32 v94, 0
	ds_read2_b64 v[94:97], v94 offset0:2 offset1:45
	s_waitcnt vmcnt(0) lgkmcnt(0)
	v_fma_f64 v[96:97], v[98:99], v[96:97], v[89:90]
	v_cndmask_b32_e64 v90, v90, v97, s[6:7]
	v_cndmask_b32_e64 v89, v89, v96, s[6:7]
	v_mul_f64 v[89:90], v[89:90], v[94:95]
	buffer_store_dword v90, off, s[0:3], 0 offset:20
	buffer_store_dword v89, off, s[0:3], 0 offset:16
.LBB43_440:
	s_or_b64 exec, exec, s[8:9]
	buffer_load_dword v89, off, s[0:3], 0 offset:24
	buffer_load_dword v90, off, s[0:3], 0 offset:28
	v_cmp_gt_u32_e32 vcc, 3, v0
	s_waitcnt vmcnt(0)
	ds_write_b64 v92, v[89:90]
	s_waitcnt lgkmcnt(0)
	; wave barrier
	s_and_saveexec_b64 s[8:9], vcc
	s_cbranch_execz .LBB43_448
; %bb.441:
	s_and_b64 vcc, exec, s[4:5]
	s_cbranch_vccnz .LBB43_443
; %bb.442:
	buffer_load_dword v89, v93, s[0:3], 0 offen
	buffer_load_dword v90, v93, s[0:3], 0 offen offset:4
	ds_read_b64 v[94:95], v92
	s_waitcnt vmcnt(0) lgkmcnt(0)
	v_mul_f64 v[89:90], v[89:90], v[94:95]
	s_cbranch_execz .LBB43_444
	s_branch .LBB43_445
.LBB43_443:
                                        ; implicit-def: $vgpr89_vgpr90
.LBB43_444:
	ds_read_b64 v[89:90], v92
.LBB43_445:
	v_cmp_ne_u32_e32 vcc, 2, v0
	s_and_saveexec_b64 s[10:11], vcc
	s_cbranch_execz .LBB43_447
; %bb.446:
	buffer_load_dword v94, v93, s[0:3], 0 offen offset:8
	buffer_load_dword v95, v93, s[0:3], 0 offen offset:12
	buffer_load_dword v96, off, s[0:3], 0 offset:16
	buffer_load_dword v97, off, s[0:3], 0 offset:20
	ds_read_b64 v[98:99], v92 offset:8
	v_mov_b32_e32 v100, 0
	ds_read_b64 v[100:101], v100 offset:368
	s_waitcnt vmcnt(2) lgkmcnt(1)
	v_fma_f64 v[89:90], v[94:95], v[98:99], v[89:90]
	s_waitcnt vmcnt(0) lgkmcnt(0)
	v_fma_f64 v[94:95], v[96:97], v[100:101], v[89:90]
	v_cndmask_b32_e64 v90, v90, v95, s[6:7]
	v_cndmask_b32_e64 v89, v89, v94, s[6:7]
.LBB43_447:
	s_or_b64 exec, exec, s[10:11]
	v_mov_b32_e32 v94, 0
	ds_read_b64 v[94:95], v94 offset:24
	s_waitcnt lgkmcnt(0)
	v_mul_f64 v[89:90], v[89:90], v[94:95]
	buffer_store_dword v90, off, s[0:3], 0 offset:28
	buffer_store_dword v89, off, s[0:3], 0 offset:24
.LBB43_448:
	s_or_b64 exec, exec, s[8:9]
	buffer_load_dword v89, off, s[0:3], 0 offset:32
	buffer_load_dword v90, off, s[0:3], 0 offset:36
	v_cmp_gt_u32_e32 vcc, 4, v0
	s_waitcnt vmcnt(0)
	ds_write_b64 v92, v[89:90]
	s_waitcnt lgkmcnt(0)
	; wave barrier
	s_and_saveexec_b64 s[6:7], vcc
	s_cbranch_execz .LBB43_458
; %bb.449:
	s_and_b64 vcc, exec, s[4:5]
	s_cbranch_vccnz .LBB43_451
; %bb.450:
	buffer_load_dword v89, v93, s[0:3], 0 offen
	buffer_load_dword v90, v93, s[0:3], 0 offen offset:4
	ds_read_b64 v[94:95], v92
	s_waitcnt vmcnt(0) lgkmcnt(0)
	v_mul_f64 v[89:90], v[89:90], v[94:95]
	s_cbranch_execz .LBB43_452
	s_branch .LBB43_453
.LBB43_451:
                                        ; implicit-def: $vgpr89_vgpr90
.LBB43_452:
	ds_read_b64 v[89:90], v92
.LBB43_453:
	v_cmp_ne_u32_e32 vcc, 3, v0
	s_and_saveexec_b64 s[8:9], vcc
	s_cbranch_execz .LBB43_457
; %bb.454:
	s_mov_b32 s10, 0
	v_add_u32_e32 v94, 0x168, v91
	v_add3_u32 v95, v91, s10, 8
	s_mov_b64 s[10:11], 0
	v_mov_b32_e32 v96, v0
.LBB43_455:                             ; =>This Inner Loop Header: Depth=1
	buffer_load_dword v97, v95, s[0:3], 0 offen
	buffer_load_dword v98, v95, s[0:3], 0 offen offset:4
	ds_read_b64 v[99:100], v94
	v_add_u32_e32 v96, 1, v96
	v_cmp_lt_u32_e32 vcc, 2, v96
	v_add_u32_e32 v94, 8, v94
	s_or_b64 s[10:11], vcc, s[10:11]
	v_add_u32_e32 v95, 8, v95
	s_waitcnt vmcnt(0) lgkmcnt(0)
	v_fma_f64 v[89:90], v[97:98], v[99:100], v[89:90]
	s_andn2_b64 exec, exec, s[10:11]
	s_cbranch_execnz .LBB43_455
; %bb.456:
	s_or_b64 exec, exec, s[10:11]
.LBB43_457:
	s_or_b64 exec, exec, s[8:9]
	v_mov_b32_e32 v94, 0
	ds_read_b64 v[94:95], v94 offset:32
	s_waitcnt lgkmcnt(0)
	v_mul_f64 v[89:90], v[89:90], v[94:95]
	buffer_store_dword v90, off, s[0:3], 0 offset:36
	buffer_store_dword v89, off, s[0:3], 0 offset:32
.LBB43_458:
	s_or_b64 exec, exec, s[6:7]
	buffer_load_dword v89, off, s[0:3], 0 offset:40
	buffer_load_dword v90, off, s[0:3], 0 offset:44
	v_cmp_gt_u32_e32 vcc, 5, v0
	s_waitcnt vmcnt(0)
	ds_write_b64 v92, v[89:90]
	s_waitcnt lgkmcnt(0)
	; wave barrier
	s_and_saveexec_b64 s[6:7], vcc
	s_cbranch_execz .LBB43_468
; %bb.459:
	s_and_b64 vcc, exec, s[4:5]
	s_cbranch_vccnz .LBB43_461
; %bb.460:
	buffer_load_dword v89, v93, s[0:3], 0 offen
	buffer_load_dword v90, v93, s[0:3], 0 offen offset:4
	ds_read_b64 v[94:95], v92
	s_waitcnt vmcnt(0) lgkmcnt(0)
	v_mul_f64 v[89:90], v[89:90], v[94:95]
	s_cbranch_execz .LBB43_462
	s_branch .LBB43_463
.LBB43_461:
                                        ; implicit-def: $vgpr89_vgpr90
.LBB43_462:
	ds_read_b64 v[89:90], v92
.LBB43_463:
	v_cmp_ne_u32_e32 vcc, 4, v0
	s_and_saveexec_b64 s[8:9], vcc
	s_cbranch_execz .LBB43_467
; %bb.464:
	s_mov_b32 s10, 0
	v_add_u32_e32 v94, 0x168, v91
	v_add3_u32 v95, v91, s10, 8
	s_mov_b64 s[10:11], 0
	v_mov_b32_e32 v96, v0
.LBB43_465:                             ; =>This Inner Loop Header: Depth=1
	buffer_load_dword v97, v95, s[0:3], 0 offen
	buffer_load_dword v98, v95, s[0:3], 0 offen offset:4
	ds_read_b64 v[99:100], v94
	v_add_u32_e32 v96, 1, v96
	v_cmp_lt_u32_e32 vcc, 3, v96
	v_add_u32_e32 v94, 8, v94
	s_or_b64 s[10:11], vcc, s[10:11]
	v_add_u32_e32 v95, 8, v95
	s_waitcnt vmcnt(0) lgkmcnt(0)
	v_fma_f64 v[89:90], v[97:98], v[99:100], v[89:90]
	s_andn2_b64 exec, exec, s[10:11]
	s_cbranch_execnz .LBB43_465
; %bb.466:
	s_or_b64 exec, exec, s[10:11]
.LBB43_467:
	s_or_b64 exec, exec, s[8:9]
	v_mov_b32_e32 v94, 0
	ds_read_b64 v[94:95], v94 offset:40
	s_waitcnt lgkmcnt(0)
	v_mul_f64 v[89:90], v[89:90], v[94:95]
	buffer_store_dword v90, off, s[0:3], 0 offset:44
	buffer_store_dword v89, off, s[0:3], 0 offset:40
.LBB43_468:
	;; [unrolled: 59-line block ×38, first 2 shown]
	s_or_b64 exec, exec, s[6:7]
	buffer_load_dword v89, off, s[0:3], 0 offset:336
	buffer_load_dword v90, off, s[0:3], 0 offset:340
	v_cmp_gt_u32_e64 s[6:7], 42, v0
	s_waitcnt vmcnt(0)
	ds_write_b64 v92, v[89:90]
	s_waitcnt lgkmcnt(0)
	; wave barrier
	s_and_saveexec_b64 s[8:9], s[6:7]
	s_cbranch_execz .LBB43_838
; %bb.829:
	s_and_b64 vcc, exec, s[4:5]
	s_cbranch_vccnz .LBB43_831
; %bb.830:
	buffer_load_dword v89, v93, s[0:3], 0 offen
	buffer_load_dword v90, v93, s[0:3], 0 offen offset:4
	ds_read_b64 v[94:95], v92
	s_waitcnt vmcnt(0) lgkmcnt(0)
	v_mul_f64 v[89:90], v[89:90], v[94:95]
	s_cbranch_execz .LBB43_832
	s_branch .LBB43_833
.LBB43_831:
                                        ; implicit-def: $vgpr89_vgpr90
.LBB43_832:
	ds_read_b64 v[89:90], v92
.LBB43_833:
	v_cmp_ne_u32_e32 vcc, 41, v0
	s_and_saveexec_b64 s[10:11], vcc
	s_cbranch_execz .LBB43_837
; %bb.834:
	s_mov_b32 s12, 0
	v_add_u32_e32 v94, 0x168, v91
	v_add3_u32 v95, v91, s12, 8
	s_mov_b64 s[12:13], 0
	v_mov_b32_e32 v96, v0
.LBB43_835:                             ; =>This Inner Loop Header: Depth=1
	buffer_load_dword v97, v95, s[0:3], 0 offen
	buffer_load_dword v98, v95, s[0:3], 0 offen offset:4
	ds_read_b64 v[99:100], v94
	v_add_u32_e32 v96, 1, v96
	v_cmp_lt_u32_e32 vcc, 40, v96
	v_add_u32_e32 v94, 8, v94
	s_or_b64 s[12:13], vcc, s[12:13]
	v_add_u32_e32 v95, 8, v95
	s_waitcnt vmcnt(0) lgkmcnt(0)
	v_fma_f64 v[89:90], v[97:98], v[99:100], v[89:90]
	s_andn2_b64 exec, exec, s[12:13]
	s_cbranch_execnz .LBB43_835
; %bb.836:
	s_or_b64 exec, exec, s[12:13]
.LBB43_837:
	s_or_b64 exec, exec, s[10:11]
	v_mov_b32_e32 v94, 0
	ds_read_b64 v[94:95], v94 offset:336
	s_waitcnt lgkmcnt(0)
	v_mul_f64 v[89:90], v[89:90], v[94:95]
	buffer_store_dword v90, off, s[0:3], 0 offset:340
	buffer_store_dword v89, off, s[0:3], 0 offset:336
.LBB43_838:
	s_or_b64 exec, exec, s[8:9]
	buffer_load_dword v89, off, s[0:3], 0 offset:344
	buffer_load_dword v90, off, s[0:3], 0 offset:348
	v_cmp_ne_u32_e32 vcc, 43, v0
	s_waitcnt vmcnt(0)
	ds_write_b64 v92, v[89:90]
	s_waitcnt lgkmcnt(0)
	; wave barrier
	s_and_saveexec_b64 s[8:9], vcc
	s_cbranch_execz .LBB43_848
; %bb.839:
	s_and_b64 vcc, exec, s[4:5]
	s_cbranch_vccnz .LBB43_841
; %bb.840:
	buffer_load_dword v89, v93, s[0:3], 0 offen
	buffer_load_dword v90, v93, s[0:3], 0 offen offset:4
	ds_read_b64 v[93:94], v92
	s_waitcnt vmcnt(0) lgkmcnt(0)
	v_mul_f64 v[89:90], v[89:90], v[93:94]
	s_cbranch_execz .LBB43_842
	s_branch .LBB43_843
.LBB43_841:
                                        ; implicit-def: $vgpr89_vgpr90
.LBB43_842:
	ds_read_b64 v[89:90], v92
.LBB43_843:
	s_and_saveexec_b64 s[4:5], s[6:7]
	s_cbranch_execz .LBB43_847
; %bb.844:
	s_mov_b32 s6, 0
	v_add_u32_e32 v92, 0x168, v91
	v_add3_u32 v91, v91, s6, 8
	s_mov_b64 s[6:7], 0
.LBB43_845:                             ; =>This Inner Loop Header: Depth=1
	buffer_load_dword v93, v91, s[0:3], 0 offen
	buffer_load_dword v94, v91, s[0:3], 0 offen offset:4
	ds_read_b64 v[95:96], v92
	v_add_u32_e32 v0, 1, v0
	v_cmp_lt_u32_e32 vcc, 41, v0
	v_add_u32_e32 v92, 8, v92
	s_or_b64 s[6:7], vcc, s[6:7]
	v_add_u32_e32 v91, 8, v91
	s_waitcnt vmcnt(0) lgkmcnt(0)
	v_fma_f64 v[89:90], v[93:94], v[95:96], v[89:90]
	s_andn2_b64 exec, exec, s[6:7]
	s_cbranch_execnz .LBB43_845
; %bb.846:
	s_or_b64 exec, exec, s[6:7]
.LBB43_847:
	s_or_b64 exec, exec, s[4:5]
	v_mov_b32_e32 v0, 0
	ds_read_b64 v[91:92], v0 offset:344
	s_waitcnt lgkmcnt(0)
	v_mul_f64 v[89:90], v[89:90], v[91:92]
	buffer_store_dword v90, off, s[0:3], 0 offset:348
	buffer_store_dword v89, off, s[0:3], 0 offset:344
.LBB43_848:
	s_or_b64 exec, exec, s[8:9]
.LBB43_849:
	buffer_load_dword v89, off, s[0:3], 0
	buffer_load_dword v90, off, s[0:3], 0 offset:4
	buffer_load_dword v91, off, s[0:3], 0 offset:8
	;; [unrolled: 1-line block ×31, first 2 shown]
	s_waitcnt vmcnt(30)
	global_store_dwordx2 v[87:88], v[89:90], off
	buffer_load_dword v87, off, s[0:3], 0 offset:128
	s_nop 0
	buffer_load_dword v88, off, s[0:3], 0 offset:132
	buffer_load_dword v89, off, s[0:3], 0 offset:136
	;; [unrolled: 1-line block ×7, first 2 shown]
	s_waitcnt vmcnt(37)
	global_store_dwordx2 v[85:86], v[91:92], off
	s_waitcnt vmcnt(36)
	global_store_dwordx2 v[5:6], v[93:94], off
	buffer_load_dword v5, off, s[0:3], 0 offset:160
	s_nop 0
	buffer_load_dword v6, off, s[0:3], 0 offset:164
	buffer_load_dword v85, off, s[0:3], 0 offset:168
	;; [unrolled: 1-line block ×7, first 2 shown]
	s_waitcnt vmcnt(43)
	global_store_dwordx2 v[1:2], v[95:96], off
	s_waitcnt vmcnt(42)
	global_store_dwordx2 v[9:10], v[97:98], off
	buffer_load_dword v0, off, s[0:3], 0 offset:192
	buffer_load_dword v1, off, s[0:3], 0 offset:196
	s_nop 0
	buffer_load_dword v9, off, s[0:3], 0 offset:200
	buffer_load_dword v10, off, s[0:3], 0 offset:204
	;; [unrolled: 1-line block ×6, first 2 shown]
	s_waitcnt vmcnt(49)
	global_store_dwordx2 v[3:4], v[99:100], off
	s_waitcnt vmcnt(48)
	global_store_dwordx2 v[11:12], v[101:102], off
	buffer_load_dword v2, off, s[0:3], 0 offset:224
	buffer_load_dword v3, off, s[0:3], 0 offset:228
	s_nop 0
	buffer_load_dword v11, off, s[0:3], 0 offset:232
	buffer_load_dword v12, off, s[0:3], 0 offset:236
	;; [unrolled: 1-line block ×6, first 2 shown]
	s_waitcnt vmcnt(55)
	global_store_dwordx2 v[7:8], v[103:104], off
	s_waitcnt vmcnt(48)
	global_store_dwordx2 v[13:14], v[105:106], off
	global_store_dwordx2 v[17:18], v[107:108], off
	;; [unrolled: 1-line block ×4, first 2 shown]
	s_waitcnt vmcnt(50)
	global_store_dwordx2 v[29:30], v[113:114], off
	buffer_load_dword v7, off, s[0:3], 0 offset:256
	buffer_load_dword v8, off, s[0:3], 0 offset:260
	;; [unrolled: 1-line block ×24, first 2 shown]
	s_waitcnt vmcnt(62)
	global_store_dwordx2 v[15:16], v[115:116], off
	global_store_dwordx2 v[19:20], v[117:118], off
	;; [unrolled: 1-line block ×6, first 2 shown]
	s_waitcnt vmcnt(62)
	global_store_dwordx2 v[35:36], v[123:124], off
	global_store_dwordx2 v[37:38], v[5:6], off
	s_waitcnt vmcnt(62)
	global_store_dwordx2 v[39:40], v[85:86], off
	s_waitcnt vmcnt(61)
	;; [unrolled: 2-line block ×23, first 2 shown]
	global_store_dwordx2 v[83:84], v[113:114], off
.LBB43_850:
	s_endpgm
	.section	.rodata,"a",@progbits
	.p2align	6, 0x0
	.amdhsa_kernel _ZN9rocsolver6v33100L18trti2_kernel_smallILi44EdPdEEv13rocblas_fill_17rocblas_diagonal_T1_iil
		.amdhsa_group_segment_fixed_size 704
		.amdhsa_private_segment_fixed_size 368
		.amdhsa_kernarg_size 32
		.amdhsa_user_sgpr_count 6
		.amdhsa_user_sgpr_private_segment_buffer 1
		.amdhsa_user_sgpr_dispatch_ptr 0
		.amdhsa_user_sgpr_queue_ptr 0
		.amdhsa_user_sgpr_kernarg_segment_ptr 1
		.amdhsa_user_sgpr_dispatch_id 0
		.amdhsa_user_sgpr_flat_scratch_init 0
		.amdhsa_user_sgpr_private_segment_size 0
		.amdhsa_uses_dynamic_stack 0
		.amdhsa_system_sgpr_private_segment_wavefront_offset 1
		.amdhsa_system_sgpr_workgroup_id_x 1
		.amdhsa_system_sgpr_workgroup_id_y 0
		.amdhsa_system_sgpr_workgroup_id_z 0
		.amdhsa_system_sgpr_workgroup_info 0
		.amdhsa_system_vgpr_workitem_id 0
		.amdhsa_next_free_vgpr 125
		.amdhsa_next_free_sgpr 57
		.amdhsa_reserve_vcc 1
		.amdhsa_reserve_flat_scratch 0
		.amdhsa_float_round_mode_32 0
		.amdhsa_float_round_mode_16_64 0
		.amdhsa_float_denorm_mode_32 3
		.amdhsa_float_denorm_mode_16_64 3
		.amdhsa_dx10_clamp 1
		.amdhsa_ieee_mode 1
		.amdhsa_fp16_overflow 0
		.amdhsa_exception_fp_ieee_invalid_op 0
		.amdhsa_exception_fp_denorm_src 0
		.amdhsa_exception_fp_ieee_div_zero 0
		.amdhsa_exception_fp_ieee_overflow 0
		.amdhsa_exception_fp_ieee_underflow 0
		.amdhsa_exception_fp_ieee_inexact 0
		.amdhsa_exception_int_div_zero 0
	.end_amdhsa_kernel
	.section	.text._ZN9rocsolver6v33100L18trti2_kernel_smallILi44EdPdEEv13rocblas_fill_17rocblas_diagonal_T1_iil,"axG",@progbits,_ZN9rocsolver6v33100L18trti2_kernel_smallILi44EdPdEEv13rocblas_fill_17rocblas_diagonal_T1_iil,comdat
.Lfunc_end43:
	.size	_ZN9rocsolver6v33100L18trti2_kernel_smallILi44EdPdEEv13rocblas_fill_17rocblas_diagonal_T1_iil, .Lfunc_end43-_ZN9rocsolver6v33100L18trti2_kernel_smallILi44EdPdEEv13rocblas_fill_17rocblas_diagonal_T1_iil
                                        ; -- End function
	.set _ZN9rocsolver6v33100L18trti2_kernel_smallILi44EdPdEEv13rocblas_fill_17rocblas_diagonal_T1_iil.num_vgpr, 125
	.set _ZN9rocsolver6v33100L18trti2_kernel_smallILi44EdPdEEv13rocblas_fill_17rocblas_diagonal_T1_iil.num_agpr, 0
	.set _ZN9rocsolver6v33100L18trti2_kernel_smallILi44EdPdEEv13rocblas_fill_17rocblas_diagonal_T1_iil.numbered_sgpr, 57
	.set _ZN9rocsolver6v33100L18trti2_kernel_smallILi44EdPdEEv13rocblas_fill_17rocblas_diagonal_T1_iil.num_named_barrier, 0
	.set _ZN9rocsolver6v33100L18trti2_kernel_smallILi44EdPdEEv13rocblas_fill_17rocblas_diagonal_T1_iil.private_seg_size, 368
	.set _ZN9rocsolver6v33100L18trti2_kernel_smallILi44EdPdEEv13rocblas_fill_17rocblas_diagonal_T1_iil.uses_vcc, 1
	.set _ZN9rocsolver6v33100L18trti2_kernel_smallILi44EdPdEEv13rocblas_fill_17rocblas_diagonal_T1_iil.uses_flat_scratch, 0
	.set _ZN9rocsolver6v33100L18trti2_kernel_smallILi44EdPdEEv13rocblas_fill_17rocblas_diagonal_T1_iil.has_dyn_sized_stack, 0
	.set _ZN9rocsolver6v33100L18trti2_kernel_smallILi44EdPdEEv13rocblas_fill_17rocblas_diagonal_T1_iil.has_recursion, 0
	.set _ZN9rocsolver6v33100L18trti2_kernel_smallILi44EdPdEEv13rocblas_fill_17rocblas_diagonal_T1_iil.has_indirect_call, 0
	.section	.AMDGPU.csdata,"",@progbits
; Kernel info:
; codeLenInByte = 25792
; TotalNumSgprs: 61
; NumVgprs: 125
; ScratchSize: 368
; MemoryBound: 0
; FloatMode: 240
; IeeeMode: 1
; LDSByteSize: 704 bytes/workgroup (compile time only)
; SGPRBlocks: 7
; VGPRBlocks: 31
; NumSGPRsForWavesPerEU: 61
; NumVGPRsForWavesPerEU: 125
; Occupancy: 2
; WaveLimiterHint : 0
; COMPUTE_PGM_RSRC2:SCRATCH_EN: 1
; COMPUTE_PGM_RSRC2:USER_SGPR: 6
; COMPUTE_PGM_RSRC2:TRAP_HANDLER: 0
; COMPUTE_PGM_RSRC2:TGID_X_EN: 1
; COMPUTE_PGM_RSRC2:TGID_Y_EN: 0
; COMPUTE_PGM_RSRC2:TGID_Z_EN: 0
; COMPUTE_PGM_RSRC2:TIDIG_COMP_CNT: 0
	.section	.text._ZN9rocsolver6v33100L18trti2_kernel_smallILi45EdPdEEv13rocblas_fill_17rocblas_diagonal_T1_iil,"axG",@progbits,_ZN9rocsolver6v33100L18trti2_kernel_smallILi45EdPdEEv13rocblas_fill_17rocblas_diagonal_T1_iil,comdat
	.globl	_ZN9rocsolver6v33100L18trti2_kernel_smallILi45EdPdEEv13rocblas_fill_17rocblas_diagonal_T1_iil ; -- Begin function _ZN9rocsolver6v33100L18trti2_kernel_smallILi45EdPdEEv13rocblas_fill_17rocblas_diagonal_T1_iil
	.p2align	8
	.type	_ZN9rocsolver6v33100L18trti2_kernel_smallILi45EdPdEEv13rocblas_fill_17rocblas_diagonal_T1_iil,@function
_ZN9rocsolver6v33100L18trti2_kernel_smallILi45EdPdEEv13rocblas_fill_17rocblas_diagonal_T1_iil: ; @_ZN9rocsolver6v33100L18trti2_kernel_smallILi45EdPdEEv13rocblas_fill_17rocblas_diagonal_T1_iil
; %bb.0:
	s_add_u32 s0, s0, s7
	s_addc_u32 s1, s1, 0
	v_cmp_gt_u32_e32 vcc, 45, v0
	s_and_saveexec_b64 s[8:9], vcc
	s_cbranch_execz .LBB44_870
; %bb.1:
	s_load_dwordx8 s[8:15], s[4:5], 0x0
	s_ashr_i32 s7, s6, 31
	v_lshlrev_b32_e32 v93, 3, v0
	s_waitcnt lgkmcnt(0)
	s_ashr_i32 s5, s12, 31
	s_mov_b32 s4, s12
	s_mul_hi_u32 s12, s14, s6
	s_mul_i32 s7, s14, s7
	s_add_i32 s7, s12, s7
	s_mul_i32 s12, s15, s6
	s_add_i32 s7, s7, s12
	s_mul_i32 s6, s14, s6
	s_lshl_b64 s[6:7], s[6:7], 3
	s_add_u32 s6, s10, s6
	s_addc_u32 s7, s11, s7
	s_lshl_b64 s[4:5], s[4:5], 3
	s_add_u32 s4, s6, s4
	s_addc_u32 s5, s7, s5
	s_add_i32 s6, s13, s13
	v_add_u32_e32 v3, s6, v0
	v_ashrrev_i32_e32 v4, 31, v3
	v_lshlrev_b64 v[1:2], 3, v[3:4]
	v_mov_b32_e32 v4, s5
	v_add_co_u32_e32 v1, vcc, s4, v1
	v_add_u32_e32 v3, s13, v3
	v_addc_co_u32_e32 v2, vcc, v4, v2, vcc
	v_ashrrev_i32_e32 v4, 31, v3
	v_lshlrev_b64 v[4:5], 3, v[3:4]
	v_mov_b32_e32 v6, s5
	v_add_co_u32_e32 v7, vcc, s4, v4
	v_addc_co_u32_e32 v8, vcc, v6, v5, vcc
	v_add_u32_e32 v5, s13, v3
	v_ashrrev_i32_e32 v6, 31, v5
	v_lshlrev_b64 v[3:4], 3, v[5:6]
	v_mov_b32_e32 v6, s5
	v_add_co_u32_e32 v3, vcc, s4, v3
	v_add_u32_e32 v5, s13, v5
	v_addc_co_u32_e32 v4, vcc, v6, v4, vcc
	v_ashrrev_i32_e32 v6, 31, v5
	v_lshlrev_b64 v[9:10], 3, v[5:6]
	v_mov_b32_e32 v6, s5
	v_add_co_u32_e32 v11, vcc, s4, v9
	v_add_u32_e32 v9, s13, v5
	v_addc_co_u32_e32 v12, vcc, v6, v10, vcc
	;; [unrolled: 6-line block ×3, first 2 shown]
	v_ashrrev_i32_e32 v10, 31, v9
	v_lshlrev_b64 v[13:14], 3, v[9:10]
	v_add_u32_e32 v15, s13, v9
	v_mov_b32_e32 v10, s5
	v_add_co_u32_e32 v13, vcc, s4, v13
	v_ashrrev_i32_e32 v16, 31, v15
	v_addc_co_u32_e32 v14, vcc, v10, v14, vcc
	v_lshlrev_b64 v[9:10], 3, v[15:16]
	v_add_u32_e32 v17, s13, v15
	v_mov_b32_e32 v16, s5
	v_add_co_u32_e32 v9, vcc, s4, v9
	v_ashrrev_i32_e32 v18, 31, v17
	v_addc_co_u32_e32 v10, vcc, v16, v10, vcc
	v_lshlrev_b64 v[15:16], 3, v[17:18]
	v_mov_b32_e32 v18, s5
	v_add_co_u32_e32 v15, vcc, s4, v15
	v_add_u32_e32 v17, s13, v17
	v_addc_co_u32_e32 v16, vcc, v18, v16, vcc
	v_ashrrev_i32_e32 v18, 31, v17
	v_lshlrev_b64 v[19:20], 3, v[17:18]
	v_add_u32_e32 v17, s13, v17
	v_mov_b32_e32 v21, s5
	v_add_co_u32_e32 v19, vcc, s4, v19
	v_ashrrev_i32_e32 v18, 31, v17
	v_addc_co_u32_e32 v20, vcc, v21, v20, vcc
	v_lshlrev_b64 v[21:22], 3, v[17:18]
	v_add_u32_e32 v17, s13, v17
	v_mov_b32_e32 v24, s5
	v_add_co_u32_e32 v23, vcc, s4, v21
	v_ashrrev_i32_e32 v18, 31, v17
	v_addc_co_u32_e32 v24, vcc, v24, v22, vcc
	;; [unrolled: 6-line block ×3, first 2 shown]
	v_lshlrev_b64 v[21:22], 3, v[17:18]
	v_mov_b32_e32 v29, s5
	v_add_co_u32_e32 v31, vcc, s4, v21
	v_add_u32_e32 v21, s13, v17
	v_addc_co_u32_e32 v32, vcc, v25, v22, vcc
	v_ashrrev_i32_e32 v22, 31, v21
	v_lshlrev_b64 v[17:18], 3, v[21:22]
	v_mov_b32_e32 v33, s5
	v_add_co_u32_e32 v17, vcc, s4, v17
	v_addc_co_u32_e32 v18, vcc, v25, v18, vcc
	v_add_u32_e32 v25, s13, v21
	v_ashrrev_i32_e32 v26, 31, v25
	v_lshlrev_b64 v[21:22], 3, v[25:26]
	v_mov_b32_e32 v35, s5
	v_add_co_u32_e32 v21, vcc, s4, v21
	v_addc_co_u32_e32 v22, vcc, v29, v22, vcc
	v_add_u32_e32 v29, s13, v25
	;; [unrolled: 6-line block ×20, first 2 shown]
	v_ashrrev_i32_e32 v68, 31, v67
	v_lshlrev_b64 v[65:66], 3, v[67:68]
	s_ashr_i32 s7, s13, 31
	v_add_co_u32_e32 v65, vcc, s4, v65
	v_addc_co_u32_e32 v66, vcc, v69, v66, vcc
	v_add_u32_e32 v69, s13, v67
	v_ashrrev_i32_e32 v70, 31, v69
	v_lshlrev_b64 v[67:68], 3, v[69:70]
	s_mov_b32 s6, s13
	v_add_co_u32_e32 v67, vcc, s4, v67
	v_addc_co_u32_e32 v68, vcc, v71, v68, vcc
	v_add_u32_e32 v71, s13, v69
	v_ashrrev_i32_e32 v72, 31, v71
	v_lshlrev_b64 v[69:70], 3, v[71:72]
	v_mov_b32_e32 v72, s5
	v_add_co_u32_e32 v87, vcc, s4, v93
	v_addc_co_u32_e32 v88, vcc, 0, v72, vcc
	s_lshl_b64 s[6:7], s[6:7], 3
	global_load_dwordx2 v[91:92], v93, s[4:5]
	global_load_dwordx2 v[96:97], v[1:2], off
	global_load_dwordx2 v[100:101], v[3:4], off
	;; [unrolled: 1-line block ×3, first 2 shown]
	v_mov_b32_e32 v72, s7
	v_add_co_u32_e32 v89, vcc, s6, v87
	v_addc_co_u32_e32 v90, vcc, v88, v72, vcc
	global_load_dwordx2 v[98:99], v[7:8], off
	global_load_dwordx2 v[102:103], v[11:12], off
	;; [unrolled: 1-line block ×9, first 2 shown]
	v_mov_b32_e32 v73, s5
	v_add_co_u32_e32 v69, vcc, s4, v69
	v_addc_co_u32_e32 v70, vcc, v73, v70, vcc
	v_add_u32_e32 v73, s13, v71
	v_ashrrev_i32_e32 v74, 31, v73
	v_lshlrev_b64 v[71:72], 3, v[73:74]
	v_mov_b32_e32 v75, s5
	v_add_co_u32_e32 v71, vcc, s4, v71
	v_addc_co_u32_e32 v72, vcc, v75, v72, vcc
	v_add_u32_e32 v75, s13, v73
	v_ashrrev_i32_e32 v76, 31, v75
	v_lshlrev_b64 v[73:74], 3, v[75:76]
	;; [unrolled: 6-line block ×7, first 2 shown]
	v_add_u32_e32 v85, s13, v85
	v_ashrrev_i32_e32 v86, 31, v85
	v_mov_b32_e32 v118, s5
	v_add_co_u32_e32 v83, vcc, s4, v83
	v_lshlrev_b64 v[85:86], 3, v[85:86]
	v_addc_co_u32_e32 v84, vcc, v118, v84, vcc
	v_add_co_u32_e32 v85, vcc, s4, v85
	s_waitcnt vmcnt(12)
	buffer_store_dword v92, off, s[0:3], 0 offset:4
	buffer_store_dword v91, off, s[0:3], 0
	s_waitcnt vmcnt(6)
	buffer_store_dword v95, off, s[0:3], 0 offset:12
	buffer_store_dword v94, off, s[0:3], 0 offset:8
	v_addc_co_u32_e32 v86, vcc, v118, v86, vcc
	global_load_dwordx2 v[91:92], v[31:32], off
	global_load_dwordx2 v[120:121], v[33:34], off
	;; [unrolled: 1-line block ×5, first 2 shown]
	s_cmpk_lg_i32 s9, 0x84
	buffer_store_dword v97, off, s[0:3], 0 offset:20
	buffer_store_dword v96, off, s[0:3], 0 offset:16
	global_load_dwordx2 v[96:97], v[21:22], off
	s_cselect_b64 s[10:11], -1, 0
	buffer_store_dword v99, off, s[0:3], 0 offset:28
	buffer_store_dword v98, off, s[0:3], 0 offset:24
	global_load_dwordx2 v[98:99], v[29:30], off
	s_cmpk_eq_i32 s9, 0x84
	buffer_store_dword v101, off, s[0:3], 0 offset:36
	buffer_store_dword v100, off, s[0:3], 0 offset:32
	global_load_dwordx2 v[100:101], v[35:36], off
	s_nop 0
	buffer_store_dword v103, off, s[0:3], 0 offset:44
	buffer_store_dword v102, off, s[0:3], 0 offset:40
	global_load_dwordx2 v[102:103], v[39:40], off
	s_nop 0
	;; [unrolled: 4-line block ×4, first 2 shown]
	buffer_store_dword v109, off, s[0:3], 0 offset:68
	buffer_store_dword v108, off, s[0:3], 0 offset:64
	global_load_dwordx2 v[108:109], v[45:46], off
	s_waitcnt vmcnt(33)
	buffer_store_dword v110, off, s[0:3], 0 offset:72
	buffer_store_dword v111, off, s[0:3], 0 offset:76
	global_load_dwordx2 v[110:111], v[47:48], off
	s_waitcnt vmcnt(35)
	;; [unrolled: 4-line block ×5, first 2 shown]
	buffer_store_dword v91, off, s[0:3], 0 offset:104
	buffer_store_dword v92, off, s[0:3], 0 offset:108
	s_waitcnt vmcnt(36)
	buffer_store_dword v95, off, s[0:3], 0 offset:116
	buffer_store_dword v94, off, s[0:3], 0 offset:112
	s_waitcnt vmcnt(34)
	buffer_store_dword v96, off, s[0:3], 0 offset:120
	buffer_store_dword v97, off, s[0:3], 0 offset:124
	buffer_store_dword v118, off, s[0:3], 0 offset:128
	buffer_store_dword v119, off, s[0:3], 0 offset:132
	s_waitcnt vmcnt(35)
	buffer_store_dword v98, off, s[0:3], 0 offset:136
	buffer_store_dword v99, off, s[0:3], 0 offset:140
	;; [unrolled: 5-line block ×3, first 2 shown]
	buffer_store_dword v123, off, s[0:3], 0 offset:164
	buffer_store_dword v122, off, s[0:3], 0 offset:160
	s_waitcnt vmcnt(37)
	buffer_store_dword v102, off, s[0:3], 0 offset:168
	global_load_dwordx2 v[91:92], v[55:56], off
	global_load_dwordx2 v[94:95], v[57:58], off
	;; [unrolled: 1-line block ×8, first 2 shown]
	s_nop 0
	buffer_store_dword v103, off, s[0:3], 0 offset:172
	global_load_dwordx2 v[102:103], v[65:66], off
	s_waitcnt vmcnt(45)
	buffer_store_dword v104, off, s[0:3], 0 offset:176
	buffer_store_dword v105, off, s[0:3], 0 offset:180
	global_load_dwordx2 v[104:105], v[67:68], off
	s_waitcnt vmcnt(45)
	buffer_store_dword v106, off, s[0:3], 0 offset:184
	;; [unrolled: 4-line block ×3, first 2 shown]
	s_waitcnt vmcnt(37)
	buffer_store_dword v114, off, s[0:3], 0 offset:216
	buffer_store_dword v115, off, s[0:3], 0 offset:220
	global_load_dwordx2 v[114:115], v[81:82], off
	s_waitcnt vmcnt(37)
	buffer_store_dword v116, off, s[0:3], 0 offset:224
	buffer_store_dword v117, off, s[0:3], 0 offset:228
	global_load_dwordx2 v[116:117], v[85:86], off
	s_nop 0
	buffer_store_dword v109, off, s[0:3], 0 offset:196
	global_load_dwordx2 v[108:109], v[71:72], off
	s_nop 0
	buffer_store_dword v111, off, s[0:3], 0 offset:204
	buffer_store_dword v110, off, s[0:3], 0 offset:200
	global_load_dwordx2 v[110:111], v[73:74], off
	s_nop 0
	buffer_store_dword v113, off, s[0:3], 0 offset:212
	buffer_store_dword v112, off, s[0:3], 0 offset:208
	global_load_dwordx2 v[112:113], v[77:78], off
	s_waitcnt vmcnt(30)
	buffer_store_dword v91, off, s[0:3], 0 offset:232
	buffer_store_dword v92, off, s[0:3], 0 offset:236
	s_waitcnt vmcnt(31)
	buffer_store_dword v94, off, s[0:3], 0 offset:240
	buffer_store_dword v95, off, s[0:3], 0 offset:244
	s_waitcnt vmcnt(32)
	buffer_store_dword v97, off, s[0:3], 0 offset:252
	buffer_store_dword v96, off, s[0:3], 0 offset:248
	s_waitcnt vmcnt(33)
	buffer_store_dword v99, off, s[0:3], 0 offset:260
	buffer_store_dword v98, off, s[0:3], 0 offset:256
	s_waitcnt vmcnt(32)
	buffer_store_dword v100, off, s[0:3], 0 offset:264
	buffer_store_dword v101, off, s[0:3], 0 offset:268
	s_waitcnt vmcnt(31)
	buffer_store_dword v102, off, s[0:3], 0 offset:272
	buffer_store_dword v103, off, s[0:3], 0 offset:276
	s_waitcnt vmcnt(30)
	buffer_store_dword v104, off, s[0:3], 0 offset:280
	buffer_store_dword v105, off, s[0:3], 0 offset:284
	s_waitcnt vmcnt(29)
	buffer_store_dword v106, off, s[0:3], 0 offset:288
	buffer_store_dword v107, off, s[0:3], 0 offset:292
	s_waitcnt vmcnt(22)
	buffer_store_dword v109, off, s[0:3], 0 offset:300
	buffer_store_dword v108, off, s[0:3], 0 offset:296
	s_waitcnt vmcnt(21)
	buffer_store_dword v111, off, s[0:3], 0 offset:308
	buffer_store_dword v110, off, s[0:3], 0 offset:304
	buffer_store_dword v118, off, s[0:3], 0 offset:312
	buffer_store_dword v119, off, s[0:3], 0 offset:316
	s_waitcnt vmcnt(22)
	buffer_store_dword v112, off, s[0:3], 0 offset:320
	buffer_store_dword v113, off, s[0:3], 0 offset:324
	;; [unrolled: 1-line block ×9, first 2 shown]
	v_mov_b32_e32 v91, 0
	v_mov_b32_e32 v92, 0xbff00000
	buffer_store_dword v116, off, s[0:3], 0 offset:352
	s_cbranch_scc1 .LBB44_3
; %bb.2:
	v_mov_b32_e32 v91, 0
	v_lshl_add_u32 v102, v0, 3, v91
	buffer_load_dword v91, v102, s[0:3], 0 offen
	buffer_load_dword v92, v102, s[0:3], 0 offen offset:4
	s_waitcnt vmcnt(0)
	v_div_scale_f64 v[94:95], s[4:5], v[91:92], v[91:92], 1.0
	v_rcp_f64_e32 v[96:97], v[94:95]
	v_fma_f64 v[98:99], -v[94:95], v[96:97], 1.0
	v_fma_f64 v[96:97], v[96:97], v[98:99], v[96:97]
	v_div_scale_f64 v[98:99], vcc, 1.0, v[91:92], 1.0
	v_fma_f64 v[100:101], -v[94:95], v[96:97], 1.0
	v_fma_f64 v[96:97], v[96:97], v[100:101], v[96:97]
	v_mul_f64 v[100:101], v[98:99], v[96:97]
	v_fma_f64 v[94:95], -v[94:95], v[100:101], v[98:99]
	v_div_fmas_f64 v[94:95], v[94:95], v[96:97], v[100:101]
	v_div_fixup_f64 v[91:92], v[94:95], v[91:92], 1.0
	buffer_store_dword v91, v102, s[0:3], 0 offen
	buffer_store_dword v92, v102, s[0:3], 0 offen offset:4
	v_xor_b32_e32 v92, 0x80000000, v92
.LBB44_3:
	s_cmpk_eq_i32 s8, 0x79
	v_add_u32_e32 v94, 0x170, v93
	v_mov_b32_e32 v95, v93
	s_mov_b64 s[4:5], -1
	ds_write_b64 v93, v[91:92]
	s_cbranch_scc1 .LBB44_437
; %bb.4:
	buffer_load_dword v91, off, s[0:3], 0 offset:344
	buffer_load_dword v92, off, s[0:3], 0 offset:348
	s_movk_i32 s12, 0x48
	s_movk_i32 s13, 0x50
	;; [unrolled: 1-line block ×34, first 2 shown]
	v_cmp_eq_u32_e64 s[4:5], 44, v0
	s_waitcnt vmcnt(0)
	ds_write_b64 v94, v[91:92]
	s_waitcnt lgkmcnt(0)
	; wave barrier
	s_and_saveexec_b64 s[6:7], s[4:5]
	s_cbranch_execz .LBB44_10
; %bb.5:
	s_and_b64 vcc, exec, s[10:11]
	s_cbranch_vccz .LBB44_7
; %bb.6:
	buffer_load_dword v91, v95, s[0:3], 0 offen
	buffer_load_dword v92, v95, s[0:3], 0 offen offset:4
	ds_read_b64 v[96:97], v94
	s_waitcnt vmcnt(0) lgkmcnt(0)
	v_mul_f64 v[91:92], v[91:92], v[96:97]
	s_cbranch_execz .LBB44_8
	s_branch .LBB44_9
.LBB44_7:
                                        ; implicit-def: $vgpr91_vgpr92
.LBB44_8:
	ds_read_b64 v[91:92], v94
.LBB44_9:
	v_mov_b32_e32 v96, 0
	ds_read_b64 v[96:97], v96 offset:344
	s_waitcnt lgkmcnt(0)
	v_mul_f64 v[91:92], v[91:92], v[96:97]
	buffer_store_dword v92, off, s[0:3], 0 offset:348
	buffer_store_dword v91, off, s[0:3], 0 offset:344
.LBB44_10:
	s_or_b64 exec, exec, s[6:7]
	buffer_load_dword v91, off, s[0:3], 0 offset:336
	buffer_load_dword v92, off, s[0:3], 0 offset:340
	s_or_b32 s14, 0, 8
	s_mov_b32 s15, 16
	s_mov_b32 s16, 24
	;; [unrolled: 1-line block ×9, first 2 shown]
	v_cmp_lt_u32_e64 s[6:7], 42, v0
	s_waitcnt vmcnt(0)
	ds_write_b64 v94, v[91:92]
	s_waitcnt lgkmcnt(0)
	; wave barrier
	s_and_saveexec_b64 s[8:9], s[6:7]
	s_cbranch_execz .LBB44_16
; %bb.11:
	s_andn2_b64 vcc, exec, s[10:11]
	s_cbranch_vccnz .LBB44_13
; %bb.12:
	buffer_load_dword v91, v95, s[0:3], 0 offen
	buffer_load_dword v92, v95, s[0:3], 0 offen offset:4
	ds_read_b64 v[96:97], v94
	s_waitcnt vmcnt(0) lgkmcnt(0)
	v_mul_f64 v[91:92], v[91:92], v[96:97]
	s_cbranch_execz .LBB44_14
	s_branch .LBB44_15
.LBB44_13:
                                        ; implicit-def: $vgpr91_vgpr92
.LBB44_14:
	ds_read_b64 v[91:92], v94
.LBB44_15:
	buffer_load_dword v100, off, s[0:3], 0 offset:344
	buffer_load_dword v101, off, s[0:3], 0 offset:348
	v_mov_b32_e32 v96, 0
	ds_read2_b64 v[96:99], v96 offset0:42 offset1:89
	s_waitcnt vmcnt(0) lgkmcnt(0)
	v_fma_f64 v[98:99], v[100:101], v[98:99], v[91:92]
	v_cndmask_b32_e64 v92, v92, v99, s[4:5]
	v_cndmask_b32_e64 v91, v91, v98, s[4:5]
	v_mul_f64 v[91:92], v[91:92], v[96:97]
	buffer_store_dword v92, off, s[0:3], 0 offset:340
	buffer_store_dword v91, off, s[0:3], 0 offset:336
.LBB44_16:
	s_or_b64 exec, exec, s[8:9]
	buffer_load_dword v91, off, s[0:3], 0 offset:328
	buffer_load_dword v92, off, s[0:3], 0 offset:332
	v_cmp_lt_u32_e64 s[4:5], 41, v0
	s_waitcnt vmcnt(0)
	ds_write_b64 v94, v[91:92]
	s_waitcnt lgkmcnt(0)
	; wave barrier
	s_and_saveexec_b64 s[8:9], s[4:5]
	s_cbranch_execz .LBB44_26
; %bb.17:
	s_andn2_b64 vcc, exec, s[10:11]
	s_cbranch_vccnz .LBB44_19
; %bb.18:
	buffer_load_dword v91, v95, s[0:3], 0 offen
	buffer_load_dword v92, v95, s[0:3], 0 offen offset:4
	ds_read_b64 v[96:97], v94
	s_waitcnt vmcnt(0) lgkmcnt(0)
	v_mul_f64 v[91:92], v[91:92], v[96:97]
	s_cbranch_execz .LBB44_20
	s_branch .LBB44_21
.LBB44_19:
                                        ; implicit-def: $vgpr91_vgpr92
.LBB44_20:
	ds_read_b64 v[91:92], v94
.LBB44_21:
	s_and_saveexec_b64 s[12:13], s[6:7]
	s_cbranch_execz .LBB44_25
; %bb.22:
	v_subrev_u32_e32 v96, 42, v0
	s_movk_i32 s57, 0x2c0
	s_mov_b64 s[6:7], 0
.LBB44_23:                              ; =>This Inner Loop Header: Depth=1
	v_mov_b32_e32 v98, s56
	buffer_load_dword v97, v98, s[0:3], 0 offen
	s_nop 0
	buffer_load_dword v98, v98, s[0:3], 0 offen offset:4
	v_mov_b32_e32 v99, s57
	ds_read_b64 v[99:100], v99
	v_add_u32_e32 v96, -1, v96
	s_add_i32 s57, s57, 8
	s_add_i32 s56, s56, 8
	v_cmp_eq_u32_e32 vcc, 0, v96
	s_or_b64 s[6:7], vcc, s[6:7]
	s_waitcnt vmcnt(0) lgkmcnt(0)
	v_fma_f64 v[91:92], v[97:98], v[99:100], v[91:92]
	s_andn2_b64 exec, exec, s[6:7]
	s_cbranch_execnz .LBB44_23
; %bb.24:
	s_or_b64 exec, exec, s[6:7]
.LBB44_25:
	s_or_b64 exec, exec, s[12:13]
	v_mov_b32_e32 v96, 0
	ds_read_b64 v[96:97], v96 offset:328
	s_waitcnt lgkmcnt(0)
	v_mul_f64 v[91:92], v[91:92], v[96:97]
	buffer_store_dword v92, off, s[0:3], 0 offset:332
	buffer_store_dword v91, off, s[0:3], 0 offset:328
.LBB44_26:
	s_or_b64 exec, exec, s[8:9]
	buffer_load_dword v91, off, s[0:3], 0 offset:320
	buffer_load_dword v92, off, s[0:3], 0 offset:324
	v_cmp_lt_u32_e64 s[6:7], 40, v0
	s_waitcnt vmcnt(0)
	ds_write_b64 v94, v[91:92]
	s_waitcnt lgkmcnt(0)
	; wave barrier
	s_and_saveexec_b64 s[8:9], s[6:7]
	s_cbranch_execz .LBB44_36
; %bb.27:
	s_andn2_b64 vcc, exec, s[10:11]
	s_cbranch_vccnz .LBB44_29
; %bb.28:
	buffer_load_dword v91, v95, s[0:3], 0 offen
	buffer_load_dword v92, v95, s[0:3], 0 offen offset:4
	ds_read_b64 v[96:97], v94
	s_waitcnt vmcnt(0) lgkmcnt(0)
	v_mul_f64 v[91:92], v[91:92], v[96:97]
	s_cbranch_execz .LBB44_30
	s_branch .LBB44_31
.LBB44_29:
                                        ; implicit-def: $vgpr91_vgpr92
.LBB44_30:
	ds_read_b64 v[91:92], v94
.LBB44_31:
	s_and_saveexec_b64 s[12:13], s[4:5]
	s_cbranch_execz .LBB44_35
; %bb.32:
	v_subrev_u32_e32 v96, 41, v0
	s_movk_i32 s56, 0x2b8
	s_mov_b64 s[4:5], 0
.LBB44_33:                              ; =>This Inner Loop Header: Depth=1
	v_mov_b32_e32 v98, s55
	buffer_load_dword v97, v98, s[0:3], 0 offen
	s_nop 0
	buffer_load_dword v98, v98, s[0:3], 0 offen offset:4
	v_mov_b32_e32 v99, s56
	ds_read_b64 v[99:100], v99
	v_add_u32_e32 v96, -1, v96
	s_add_i32 s56, s56, 8
	s_add_i32 s55, s55, 8
	v_cmp_eq_u32_e32 vcc, 0, v96
	s_or_b64 s[4:5], vcc, s[4:5]
	s_waitcnt vmcnt(0) lgkmcnt(0)
	v_fma_f64 v[91:92], v[97:98], v[99:100], v[91:92]
	s_andn2_b64 exec, exec, s[4:5]
	s_cbranch_execnz .LBB44_33
; %bb.34:
	s_or_b64 exec, exec, s[4:5]
.LBB44_35:
	s_or_b64 exec, exec, s[12:13]
	v_mov_b32_e32 v96, 0
	ds_read_b64 v[96:97], v96 offset:320
	s_waitcnt lgkmcnt(0)
	v_mul_f64 v[91:92], v[91:92], v[96:97]
	buffer_store_dword v92, off, s[0:3], 0 offset:324
	buffer_store_dword v91, off, s[0:3], 0 offset:320
.LBB44_36:
	;; [unrolled: 59-line block ×6, first 2 shown]
	s_or_b64 exec, exec, s[8:9]
	buffer_load_dword v91, off, s[0:3], 0 offset:280
	buffer_load_dword v92, off, s[0:3], 0 offset:284
	v_cmp_lt_u32_e64 s[4:5], 35, v0
	s_waitcnt vmcnt(0)
	ds_write_b64 v94, v[91:92]
	s_waitcnt lgkmcnt(0)
	; wave barrier
	s_and_saveexec_b64 s[8:9], s[4:5]
	s_cbranch_execz .LBB44_86
; %bb.77:
	s_andn2_b64 vcc, exec, s[10:11]
	s_cbranch_vccnz .LBB44_79
; %bb.78:
	buffer_load_dword v91, v95, s[0:3], 0 offen
	buffer_load_dword v92, v95, s[0:3], 0 offen offset:4
	ds_read_b64 v[96:97], v94
	s_waitcnt vmcnt(0) lgkmcnt(0)
	v_mul_f64 v[91:92], v[91:92], v[96:97]
	s_cbranch_execz .LBB44_80
	s_branch .LBB44_81
.LBB44_79:
                                        ; implicit-def: $vgpr91_vgpr92
.LBB44_80:
	ds_read_b64 v[91:92], v94
.LBB44_81:
	s_and_saveexec_b64 s[12:13], s[6:7]
	s_cbranch_execz .LBB44_85
; %bb.82:
	v_subrev_u32_e32 v96, 36, v0
	s_movk_i32 s51, 0x290
	s_mov_b64 s[6:7], 0
.LBB44_83:                              ; =>This Inner Loop Header: Depth=1
	v_mov_b32_e32 v99, s50
	buffer_load_dword v97, v99, s[0:3], 0 offen
	buffer_load_dword v98, v99, s[0:3], 0 offen offset:4
	v_mov_b32_e32 v99, s51
	ds_read_b64 v[99:100], v99
	v_add_u32_e32 v96, -1, v96
	s_add_i32 s51, s51, 8
	s_add_i32 s50, s50, 8
	v_cmp_eq_u32_e32 vcc, 0, v96
	s_or_b64 s[6:7], vcc, s[6:7]
	s_waitcnt vmcnt(0) lgkmcnt(0)
	v_fma_f64 v[91:92], v[97:98], v[99:100], v[91:92]
	s_andn2_b64 exec, exec, s[6:7]
	s_cbranch_execnz .LBB44_83
; %bb.84:
	s_or_b64 exec, exec, s[6:7]
.LBB44_85:
	s_or_b64 exec, exec, s[12:13]
	v_mov_b32_e32 v96, 0
	ds_read_b64 v[96:97], v96 offset:280
	s_waitcnt lgkmcnt(0)
	v_mul_f64 v[91:92], v[91:92], v[96:97]
	buffer_store_dword v92, off, s[0:3], 0 offset:284
	buffer_store_dword v91, off, s[0:3], 0 offset:280
.LBB44_86:
	s_or_b64 exec, exec, s[8:9]
	buffer_load_dword v91, off, s[0:3], 0 offset:272
	buffer_load_dword v92, off, s[0:3], 0 offset:276
	v_cmp_lt_u32_e64 s[6:7], 34, v0
	s_waitcnt vmcnt(0)
	ds_write_b64 v94, v[91:92]
	s_waitcnt lgkmcnt(0)
	; wave barrier
	s_and_saveexec_b64 s[8:9], s[6:7]
	s_cbranch_execz .LBB44_96
; %bb.87:
	s_andn2_b64 vcc, exec, s[10:11]
	s_cbranch_vccnz .LBB44_89
; %bb.88:
	buffer_load_dword v91, v95, s[0:3], 0 offen
	buffer_load_dword v92, v95, s[0:3], 0 offen offset:4
	ds_read_b64 v[96:97], v94
	s_waitcnt vmcnt(0) lgkmcnt(0)
	v_mul_f64 v[91:92], v[91:92], v[96:97]
	s_cbranch_execz .LBB44_90
	s_branch .LBB44_91
.LBB44_89:
                                        ; implicit-def: $vgpr91_vgpr92
.LBB44_90:
	ds_read_b64 v[91:92], v94
.LBB44_91:
	s_and_saveexec_b64 s[12:13], s[4:5]
	s_cbranch_execz .LBB44_95
; %bb.92:
	v_subrev_u32_e32 v96, 35, v0
	s_movk_i32 s50, 0x288
	s_mov_b64 s[4:5], 0
.LBB44_93:                              ; =>This Inner Loop Header: Depth=1
	v_mov_b32_e32 v99, s49
	buffer_load_dword v97, v99, s[0:3], 0 offen
	buffer_load_dword v98, v99, s[0:3], 0 offen offset:4
	v_mov_b32_e32 v99, s50
	ds_read_b64 v[99:100], v99
	v_add_u32_e32 v96, -1, v96
	s_add_i32 s50, s50, 8
	s_add_i32 s49, s49, 8
	v_cmp_eq_u32_e32 vcc, 0, v96
	s_or_b64 s[4:5], vcc, s[4:5]
	s_waitcnt vmcnt(0) lgkmcnt(0)
	v_fma_f64 v[91:92], v[97:98], v[99:100], v[91:92]
	s_andn2_b64 exec, exec, s[4:5]
	s_cbranch_execnz .LBB44_93
; %bb.94:
	s_or_b64 exec, exec, s[4:5]
.LBB44_95:
	s_or_b64 exec, exec, s[12:13]
	v_mov_b32_e32 v96, 0
	ds_read_b64 v[96:97], v96 offset:272
	s_waitcnt lgkmcnt(0)
	v_mul_f64 v[91:92], v[91:92], v[96:97]
	buffer_store_dword v92, off, s[0:3], 0 offset:276
	buffer_store_dword v91, off, s[0:3], 0 offset:272
.LBB44_96:
	s_or_b64 exec, exec, s[8:9]
	buffer_load_dword v91, off, s[0:3], 0 offset:264
	buffer_load_dword v92, off, s[0:3], 0 offset:268
	v_cmp_lt_u32_e64 s[4:5], 33, v0
	s_waitcnt vmcnt(0)
	ds_write_b64 v94, v[91:92]
	s_waitcnt lgkmcnt(0)
	; wave barrier
	s_and_saveexec_b64 s[8:9], s[4:5]
	s_cbranch_execz .LBB44_106
; %bb.97:
	s_andn2_b64 vcc, exec, s[10:11]
	s_cbranch_vccnz .LBB44_99
; %bb.98:
	buffer_load_dword v91, v95, s[0:3], 0 offen
	buffer_load_dword v92, v95, s[0:3], 0 offen offset:4
	ds_read_b64 v[96:97], v94
	s_waitcnt vmcnt(0) lgkmcnt(0)
	v_mul_f64 v[91:92], v[91:92], v[96:97]
	s_cbranch_execz .LBB44_100
	s_branch .LBB44_101
.LBB44_99:
                                        ; implicit-def: $vgpr91_vgpr92
.LBB44_100:
	ds_read_b64 v[91:92], v94
.LBB44_101:
	s_and_saveexec_b64 s[12:13], s[6:7]
	s_cbranch_execz .LBB44_105
; %bb.102:
	v_subrev_u32_e32 v96, 34, v0
	s_movk_i32 s49, 0x280
	s_mov_b64 s[6:7], 0
.LBB44_103:                             ; =>This Inner Loop Header: Depth=1
	v_mov_b32_e32 v99, s48
	buffer_load_dword v97, v99, s[0:3], 0 offen
	buffer_load_dword v98, v99, s[0:3], 0 offen offset:4
	v_mov_b32_e32 v99, s49
	ds_read_b64 v[99:100], v99
	v_add_u32_e32 v96, -1, v96
	s_add_i32 s49, s49, 8
	s_add_i32 s48, s48, 8
	v_cmp_eq_u32_e32 vcc, 0, v96
	s_or_b64 s[6:7], vcc, s[6:7]
	s_waitcnt vmcnt(0) lgkmcnt(0)
	v_fma_f64 v[91:92], v[97:98], v[99:100], v[91:92]
	s_andn2_b64 exec, exec, s[6:7]
	s_cbranch_execnz .LBB44_103
; %bb.104:
	s_or_b64 exec, exec, s[6:7]
.LBB44_105:
	s_or_b64 exec, exec, s[12:13]
	v_mov_b32_e32 v96, 0
	ds_read_b64 v[96:97], v96 offset:264
	s_waitcnt lgkmcnt(0)
	v_mul_f64 v[91:92], v[91:92], v[96:97]
	buffer_store_dword v92, off, s[0:3], 0 offset:268
	buffer_store_dword v91, off, s[0:3], 0 offset:264
.LBB44_106:
	s_or_b64 exec, exec, s[8:9]
	buffer_load_dword v91, off, s[0:3], 0 offset:256
	buffer_load_dword v92, off, s[0:3], 0 offset:260
	v_cmp_lt_u32_e64 s[6:7], 32, v0
	s_waitcnt vmcnt(0)
	ds_write_b64 v94, v[91:92]
	s_waitcnt lgkmcnt(0)
	; wave barrier
	s_and_saveexec_b64 s[8:9], s[6:7]
	s_cbranch_execz .LBB44_116
; %bb.107:
	s_andn2_b64 vcc, exec, s[10:11]
	s_cbranch_vccnz .LBB44_109
; %bb.108:
	buffer_load_dword v91, v95, s[0:3], 0 offen
	buffer_load_dword v92, v95, s[0:3], 0 offen offset:4
	ds_read_b64 v[96:97], v94
	s_waitcnt vmcnt(0) lgkmcnt(0)
	v_mul_f64 v[91:92], v[91:92], v[96:97]
	s_cbranch_execz .LBB44_110
	s_branch .LBB44_111
.LBB44_109:
                                        ; implicit-def: $vgpr91_vgpr92
.LBB44_110:
	ds_read_b64 v[91:92], v94
.LBB44_111:
	s_and_saveexec_b64 s[12:13], s[4:5]
	s_cbranch_execz .LBB44_115
; %bb.112:
	v_subrev_u32_e32 v96, 33, v0
	s_movk_i32 s48, 0x278
	s_mov_b64 s[4:5], 0
.LBB44_113:                             ; =>This Inner Loop Header: Depth=1
	v_mov_b32_e32 v99, s47
	buffer_load_dword v97, v99, s[0:3], 0 offen
	buffer_load_dword v98, v99, s[0:3], 0 offen offset:4
	v_mov_b32_e32 v99, s48
	ds_read_b64 v[99:100], v99
	v_add_u32_e32 v96, -1, v96
	s_add_i32 s48, s48, 8
	s_add_i32 s47, s47, 8
	v_cmp_eq_u32_e32 vcc, 0, v96
	s_or_b64 s[4:5], vcc, s[4:5]
	s_waitcnt vmcnt(0) lgkmcnt(0)
	v_fma_f64 v[91:92], v[97:98], v[99:100], v[91:92]
	s_andn2_b64 exec, exec, s[4:5]
	s_cbranch_execnz .LBB44_113
; %bb.114:
	s_or_b64 exec, exec, s[4:5]
.LBB44_115:
	s_or_b64 exec, exec, s[12:13]
	v_mov_b32_e32 v96, 0
	ds_read_b64 v[96:97], v96 offset:256
	s_waitcnt lgkmcnt(0)
	v_mul_f64 v[91:92], v[91:92], v[96:97]
	buffer_store_dword v92, off, s[0:3], 0 offset:260
	buffer_store_dword v91, off, s[0:3], 0 offset:256
.LBB44_116:
	;; [unrolled: 58-line block ×18, first 2 shown]
	s_or_b64 exec, exec, s[8:9]
	buffer_load_dword v91, off, s[0:3], 0 offset:120
	buffer_load_dword v92, off, s[0:3], 0 offset:124
	v_cmp_lt_u32_e64 s[4:5], 15, v0
	s_waitcnt vmcnt(0)
	ds_write_b64 v94, v[91:92]
	s_waitcnt lgkmcnt(0)
	; wave barrier
	s_and_saveexec_b64 s[8:9], s[4:5]
	s_cbranch_execz .LBB44_286
; %bb.277:
	s_andn2_b64 vcc, exec, s[10:11]
	s_cbranch_vccnz .LBB44_279
; %bb.278:
	buffer_load_dword v91, v95, s[0:3], 0 offen
	buffer_load_dword v92, v95, s[0:3], 0 offen offset:4
	ds_read_b64 v[96:97], v94
	s_waitcnt vmcnt(0) lgkmcnt(0)
	v_mul_f64 v[91:92], v[91:92], v[96:97]
	s_cbranch_execz .LBB44_280
	s_branch .LBB44_281
.LBB44_279:
                                        ; implicit-def: $vgpr91_vgpr92
.LBB44_280:
	ds_read_b64 v[91:92], v94
.LBB44_281:
	s_and_saveexec_b64 s[12:13], s[6:7]
	s_cbranch_execz .LBB44_285
; %bb.282:
	v_add_u32_e32 v96, -16, v0
	s_movk_i32 s30, 0x1f0
	s_mov_b64 s[6:7], 0
.LBB44_283:                             ; =>This Inner Loop Header: Depth=1
	v_mov_b32_e32 v99, s29
	buffer_load_dword v97, v99, s[0:3], 0 offen
	buffer_load_dword v98, v99, s[0:3], 0 offen offset:4
	v_mov_b32_e32 v99, s30
	ds_read_b64 v[99:100], v99
	v_add_u32_e32 v96, -1, v96
	s_add_i32 s30, s30, 8
	s_add_i32 s29, s29, 8
	v_cmp_eq_u32_e32 vcc, 0, v96
	s_or_b64 s[6:7], vcc, s[6:7]
	s_waitcnt vmcnt(0) lgkmcnt(0)
	v_fma_f64 v[91:92], v[97:98], v[99:100], v[91:92]
	s_andn2_b64 exec, exec, s[6:7]
	s_cbranch_execnz .LBB44_283
; %bb.284:
	s_or_b64 exec, exec, s[6:7]
.LBB44_285:
	s_or_b64 exec, exec, s[12:13]
	v_mov_b32_e32 v96, 0
	ds_read_b64 v[96:97], v96 offset:120
	s_waitcnt lgkmcnt(0)
	v_mul_f64 v[91:92], v[91:92], v[96:97]
	buffer_store_dword v92, off, s[0:3], 0 offset:124
	buffer_store_dword v91, off, s[0:3], 0 offset:120
.LBB44_286:
	s_or_b64 exec, exec, s[8:9]
	buffer_load_dword v91, off, s[0:3], 0 offset:112
	buffer_load_dword v92, off, s[0:3], 0 offset:116
	v_cmp_lt_u32_e64 s[6:7], 14, v0
	s_waitcnt vmcnt(0)
	ds_write_b64 v94, v[91:92]
	s_waitcnt lgkmcnt(0)
	; wave barrier
	s_and_saveexec_b64 s[8:9], s[6:7]
	s_cbranch_execz .LBB44_296
; %bb.287:
	s_andn2_b64 vcc, exec, s[10:11]
	s_cbranch_vccnz .LBB44_289
; %bb.288:
	buffer_load_dword v91, v95, s[0:3], 0 offen
	buffer_load_dword v92, v95, s[0:3], 0 offen offset:4
	ds_read_b64 v[96:97], v94
	s_waitcnt vmcnt(0) lgkmcnt(0)
	v_mul_f64 v[91:92], v[91:92], v[96:97]
	s_cbranch_execz .LBB44_290
	s_branch .LBB44_291
.LBB44_289:
                                        ; implicit-def: $vgpr91_vgpr92
.LBB44_290:
	ds_read_b64 v[91:92], v94
.LBB44_291:
	s_and_saveexec_b64 s[12:13], s[4:5]
	s_cbranch_execz .LBB44_295
; %bb.292:
	v_add_u32_e32 v96, -15, v0
	s_movk_i32 s29, 0x1e8
	s_mov_b64 s[4:5], 0
.LBB44_293:                             ; =>This Inner Loop Header: Depth=1
	v_mov_b32_e32 v99, s28
	buffer_load_dword v97, v99, s[0:3], 0 offen
	buffer_load_dword v98, v99, s[0:3], 0 offen offset:4
	v_mov_b32_e32 v99, s29
	ds_read_b64 v[99:100], v99
	v_add_u32_e32 v96, -1, v96
	s_add_i32 s29, s29, 8
	s_add_i32 s28, s28, 8
	v_cmp_eq_u32_e32 vcc, 0, v96
	s_or_b64 s[4:5], vcc, s[4:5]
	s_waitcnt vmcnt(0) lgkmcnt(0)
	v_fma_f64 v[91:92], v[97:98], v[99:100], v[91:92]
	s_andn2_b64 exec, exec, s[4:5]
	s_cbranch_execnz .LBB44_293
; %bb.294:
	s_or_b64 exec, exec, s[4:5]
.LBB44_295:
	s_or_b64 exec, exec, s[12:13]
	v_mov_b32_e32 v96, 0
	ds_read_b64 v[96:97], v96 offset:112
	s_waitcnt lgkmcnt(0)
	v_mul_f64 v[91:92], v[91:92], v[96:97]
	buffer_store_dword v92, off, s[0:3], 0 offset:116
	buffer_store_dword v91, off, s[0:3], 0 offset:112
.LBB44_296:
	;; [unrolled: 58-line block ×15, first 2 shown]
	s_or_b64 exec, exec, s[8:9]
	buffer_load_dword v91, off, s[0:3], 0
	buffer_load_dword v92, off, s[0:3], 0 offset:4
	v_cmp_ne_u32_e32 vcc, 0, v0
	s_waitcnt vmcnt(0)
	ds_write_b64 v94, v[91:92]
	s_waitcnt lgkmcnt(0)
	; wave barrier
	s_and_saveexec_b64 s[6:7], vcc
	s_cbranch_execz .LBB44_436
; %bb.427:
	s_andn2_b64 vcc, exec, s[10:11]
	s_cbranch_vccnz .LBB44_429
; %bb.428:
	buffer_load_dword v91, v95, s[0:3], 0 offen
	buffer_load_dword v92, v95, s[0:3], 0 offen offset:4
	ds_read_b64 v[96:97], v94
	s_waitcnt vmcnt(0) lgkmcnt(0)
	v_mul_f64 v[91:92], v[91:92], v[96:97]
	s_cbranch_execz .LBB44_430
	s_branch .LBB44_431
.LBB44_429:
                                        ; implicit-def: $vgpr91_vgpr92
.LBB44_430:
	ds_read_b64 v[91:92], v94
.LBB44_431:
	s_and_saveexec_b64 s[8:9], s[4:5]
	s_cbranch_execz .LBB44_435
; %bb.432:
	v_add_u32_e32 v96, -1, v0
	s_movk_i32 s12, 0x178
	s_mov_b64 s[4:5], 0
.LBB44_433:                             ; =>This Inner Loop Header: Depth=1
	v_mov_b32_e32 v99, s14
	buffer_load_dword v97, v99, s[0:3], 0 offen
	buffer_load_dword v98, v99, s[0:3], 0 offen offset:4
	v_mov_b32_e32 v99, s12
	ds_read_b64 v[99:100], v99
	v_add_u32_e32 v96, -1, v96
	s_add_i32 s12, s12, 8
	s_add_i32 s14, s14, 8
	v_cmp_eq_u32_e32 vcc, 0, v96
	s_or_b64 s[4:5], vcc, s[4:5]
	s_waitcnt vmcnt(0) lgkmcnt(0)
	v_fma_f64 v[91:92], v[97:98], v[99:100], v[91:92]
	s_andn2_b64 exec, exec, s[4:5]
	s_cbranch_execnz .LBB44_433
; %bb.434:
	s_or_b64 exec, exec, s[4:5]
.LBB44_435:
	s_or_b64 exec, exec, s[8:9]
	v_mov_b32_e32 v96, 0
	ds_read_b64 v[96:97], v96
	s_waitcnt lgkmcnt(0)
	v_mul_f64 v[91:92], v[91:92], v[96:97]
	buffer_store_dword v92, off, s[0:3], 0 offset:4
	buffer_store_dword v91, off, s[0:3], 0
.LBB44_436:
	s_or_b64 exec, exec, s[6:7]
	s_mov_b64 s[4:5], 0
.LBB44_437:
	s_and_b64 vcc, exec, s[4:5]
	s_cbranch_vccz .LBB44_869
; %bb.438:
	buffer_load_dword v91, off, s[0:3], 0 offset:8
	buffer_load_dword v92, off, s[0:3], 0 offset:12
	v_cmp_eq_u32_e64 s[6:7], 0, v0
	s_waitcnt vmcnt(0)
	ds_write_b64 v94, v[91:92]
	s_waitcnt lgkmcnt(0)
	; wave barrier
	s_and_saveexec_b64 s[4:5], s[6:7]
	s_cbranch_execz .LBB44_444
; %bb.439:
	s_and_b64 vcc, exec, s[10:11]
	s_cbranch_vccz .LBB44_441
; %bb.440:
	buffer_load_dword v91, v95, s[0:3], 0 offen
	buffer_load_dword v92, v95, s[0:3], 0 offen offset:4
	ds_read_b64 v[96:97], v94
	s_waitcnt vmcnt(0) lgkmcnt(0)
	v_mul_f64 v[91:92], v[91:92], v[96:97]
	s_cbranch_execz .LBB44_442
	s_branch .LBB44_443
.LBB44_441:
                                        ; implicit-def: $vgpr91_vgpr92
.LBB44_442:
	ds_read_b64 v[91:92], v94
.LBB44_443:
	v_mov_b32_e32 v96, 0
	ds_read_b64 v[96:97], v96 offset:8
	s_waitcnt lgkmcnt(0)
	v_mul_f64 v[91:92], v[91:92], v[96:97]
	buffer_store_dword v92, off, s[0:3], 0 offset:12
	buffer_store_dword v91, off, s[0:3], 0 offset:8
.LBB44_444:
	s_or_b64 exec, exec, s[4:5]
	buffer_load_dword v91, off, s[0:3], 0 offset:16
	buffer_load_dword v92, off, s[0:3], 0 offset:20
	v_cndmask_b32_e64 v96, 0, 1, s[10:11]
	v_cmp_gt_u32_e32 vcc, 2, v0
	v_cmp_ne_u32_e64 s[4:5], 1, v96
	s_waitcnt vmcnt(0)
	ds_write_b64 v94, v[91:92]
	s_waitcnt lgkmcnt(0)
	; wave barrier
	s_and_saveexec_b64 s[8:9], vcc
	s_cbranch_execz .LBB44_450
; %bb.445:
	s_and_b64 vcc, exec, s[4:5]
	s_cbranch_vccnz .LBB44_447
; %bb.446:
	buffer_load_dword v91, v95, s[0:3], 0 offen
	buffer_load_dword v92, v95, s[0:3], 0 offen offset:4
	ds_read_b64 v[96:97], v94
	s_waitcnt vmcnt(0) lgkmcnt(0)
	v_mul_f64 v[91:92], v[91:92], v[96:97]
	s_cbranch_execz .LBB44_448
	s_branch .LBB44_449
.LBB44_447:
                                        ; implicit-def: $vgpr91_vgpr92
.LBB44_448:
	ds_read_b64 v[91:92], v94
.LBB44_449:
	buffer_load_dword v100, off, s[0:3], 0 offset:8
	buffer_load_dword v101, off, s[0:3], 0 offset:12
	v_mov_b32_e32 v96, 0
	ds_read2_b64 v[96:99], v96 offset0:2 offset1:47
	s_waitcnt vmcnt(0) lgkmcnt(0)
	v_fma_f64 v[98:99], v[100:101], v[98:99], v[91:92]
	v_cndmask_b32_e64 v92, v92, v99, s[6:7]
	v_cndmask_b32_e64 v91, v91, v98, s[6:7]
	v_mul_f64 v[91:92], v[91:92], v[96:97]
	buffer_store_dword v92, off, s[0:3], 0 offset:20
	buffer_store_dword v91, off, s[0:3], 0 offset:16
.LBB44_450:
	s_or_b64 exec, exec, s[8:9]
	buffer_load_dword v91, off, s[0:3], 0 offset:24
	buffer_load_dword v92, off, s[0:3], 0 offset:28
	v_cmp_gt_u32_e32 vcc, 3, v0
	s_waitcnt vmcnt(0)
	ds_write_b64 v94, v[91:92]
	s_waitcnt lgkmcnt(0)
	; wave barrier
	s_and_saveexec_b64 s[8:9], vcc
	s_cbranch_execz .LBB44_458
; %bb.451:
	s_and_b64 vcc, exec, s[4:5]
	s_cbranch_vccnz .LBB44_453
; %bb.452:
	buffer_load_dword v91, v95, s[0:3], 0 offen
	buffer_load_dword v92, v95, s[0:3], 0 offen offset:4
	ds_read_b64 v[96:97], v94
	s_waitcnt vmcnt(0) lgkmcnt(0)
	v_mul_f64 v[91:92], v[91:92], v[96:97]
	s_cbranch_execz .LBB44_454
	s_branch .LBB44_455
.LBB44_453:
                                        ; implicit-def: $vgpr91_vgpr92
.LBB44_454:
	ds_read_b64 v[91:92], v94
.LBB44_455:
	v_cmp_ne_u32_e32 vcc, 2, v0
	s_and_saveexec_b64 s[10:11], vcc
	s_cbranch_execz .LBB44_457
; %bb.456:
	buffer_load_dword v96, v95, s[0:3], 0 offen offset:8
	buffer_load_dword v97, v95, s[0:3], 0 offen offset:12
	buffer_load_dword v98, off, s[0:3], 0 offset:16
	buffer_load_dword v99, off, s[0:3], 0 offset:20
	ds_read_b64 v[100:101], v94 offset:8
	v_mov_b32_e32 v102, 0
	ds_read_b64 v[102:103], v102 offset:384
	s_waitcnt vmcnt(2) lgkmcnt(1)
	v_fma_f64 v[91:92], v[96:97], v[100:101], v[91:92]
	s_waitcnt vmcnt(0) lgkmcnt(0)
	v_fma_f64 v[96:97], v[98:99], v[102:103], v[91:92]
	v_cndmask_b32_e64 v92, v92, v97, s[6:7]
	v_cndmask_b32_e64 v91, v91, v96, s[6:7]
.LBB44_457:
	s_or_b64 exec, exec, s[10:11]
	v_mov_b32_e32 v96, 0
	ds_read_b64 v[96:97], v96 offset:24
	s_waitcnt lgkmcnt(0)
	v_mul_f64 v[91:92], v[91:92], v[96:97]
	buffer_store_dword v92, off, s[0:3], 0 offset:28
	buffer_store_dword v91, off, s[0:3], 0 offset:24
.LBB44_458:
	s_or_b64 exec, exec, s[8:9]
	buffer_load_dword v91, off, s[0:3], 0 offset:32
	buffer_load_dword v92, off, s[0:3], 0 offset:36
	v_cmp_gt_u32_e32 vcc, 4, v0
	s_waitcnt vmcnt(0)
	ds_write_b64 v94, v[91:92]
	s_waitcnt lgkmcnt(0)
	; wave barrier
	s_and_saveexec_b64 s[6:7], vcc
	s_cbranch_execz .LBB44_468
; %bb.459:
	s_and_b64 vcc, exec, s[4:5]
	s_cbranch_vccnz .LBB44_461
; %bb.460:
	buffer_load_dword v91, v95, s[0:3], 0 offen
	buffer_load_dword v92, v95, s[0:3], 0 offen offset:4
	ds_read_b64 v[96:97], v94
	s_waitcnt vmcnt(0) lgkmcnt(0)
	v_mul_f64 v[91:92], v[91:92], v[96:97]
	s_cbranch_execz .LBB44_462
	s_branch .LBB44_463
.LBB44_461:
                                        ; implicit-def: $vgpr91_vgpr92
.LBB44_462:
	ds_read_b64 v[91:92], v94
.LBB44_463:
	v_cmp_ne_u32_e32 vcc, 3, v0
	s_and_saveexec_b64 s[8:9], vcc
	s_cbranch_execz .LBB44_467
; %bb.464:
	s_mov_b32 s10, 0
	v_add_u32_e32 v96, 0x178, v93
	v_add3_u32 v97, v93, s10, 8
	s_mov_b64 s[10:11], 0
	v_mov_b32_e32 v98, v0
.LBB44_465:                             ; =>This Inner Loop Header: Depth=1
	buffer_load_dword v99, v97, s[0:3], 0 offen
	buffer_load_dword v100, v97, s[0:3], 0 offen offset:4
	ds_read_b64 v[101:102], v96
	v_add_u32_e32 v98, 1, v98
	v_cmp_lt_u32_e32 vcc, 2, v98
	v_add_u32_e32 v96, 8, v96
	s_or_b64 s[10:11], vcc, s[10:11]
	v_add_u32_e32 v97, 8, v97
	s_waitcnt vmcnt(0) lgkmcnt(0)
	v_fma_f64 v[91:92], v[99:100], v[101:102], v[91:92]
	s_andn2_b64 exec, exec, s[10:11]
	s_cbranch_execnz .LBB44_465
; %bb.466:
	s_or_b64 exec, exec, s[10:11]
.LBB44_467:
	s_or_b64 exec, exec, s[8:9]
	v_mov_b32_e32 v96, 0
	ds_read_b64 v[96:97], v96 offset:32
	s_waitcnt lgkmcnt(0)
	v_mul_f64 v[91:92], v[91:92], v[96:97]
	buffer_store_dword v92, off, s[0:3], 0 offset:36
	buffer_store_dword v91, off, s[0:3], 0 offset:32
.LBB44_468:
	s_or_b64 exec, exec, s[6:7]
	buffer_load_dword v91, off, s[0:3], 0 offset:40
	buffer_load_dword v92, off, s[0:3], 0 offset:44
	v_cmp_gt_u32_e32 vcc, 5, v0
	s_waitcnt vmcnt(0)
	ds_write_b64 v94, v[91:92]
	s_waitcnt lgkmcnt(0)
	; wave barrier
	s_and_saveexec_b64 s[6:7], vcc
	s_cbranch_execz .LBB44_478
; %bb.469:
	s_and_b64 vcc, exec, s[4:5]
	s_cbranch_vccnz .LBB44_471
; %bb.470:
	buffer_load_dword v91, v95, s[0:3], 0 offen
	buffer_load_dword v92, v95, s[0:3], 0 offen offset:4
	ds_read_b64 v[96:97], v94
	s_waitcnt vmcnt(0) lgkmcnt(0)
	v_mul_f64 v[91:92], v[91:92], v[96:97]
	s_cbranch_execz .LBB44_472
	s_branch .LBB44_473
.LBB44_471:
                                        ; implicit-def: $vgpr91_vgpr92
.LBB44_472:
	ds_read_b64 v[91:92], v94
.LBB44_473:
	v_cmp_ne_u32_e32 vcc, 4, v0
	s_and_saveexec_b64 s[8:9], vcc
	s_cbranch_execz .LBB44_477
; %bb.474:
	s_mov_b32 s10, 0
	v_add_u32_e32 v96, 0x178, v93
	v_add3_u32 v97, v93, s10, 8
	s_mov_b64 s[10:11], 0
	v_mov_b32_e32 v98, v0
.LBB44_475:                             ; =>This Inner Loop Header: Depth=1
	buffer_load_dword v99, v97, s[0:3], 0 offen
	buffer_load_dword v100, v97, s[0:3], 0 offen offset:4
	ds_read_b64 v[101:102], v96
	v_add_u32_e32 v98, 1, v98
	v_cmp_lt_u32_e32 vcc, 3, v98
	v_add_u32_e32 v96, 8, v96
	s_or_b64 s[10:11], vcc, s[10:11]
	v_add_u32_e32 v97, 8, v97
	s_waitcnt vmcnt(0) lgkmcnt(0)
	v_fma_f64 v[91:92], v[99:100], v[101:102], v[91:92]
	s_andn2_b64 exec, exec, s[10:11]
	s_cbranch_execnz .LBB44_475
; %bb.476:
	s_or_b64 exec, exec, s[10:11]
.LBB44_477:
	s_or_b64 exec, exec, s[8:9]
	v_mov_b32_e32 v96, 0
	ds_read_b64 v[96:97], v96 offset:40
	s_waitcnt lgkmcnt(0)
	v_mul_f64 v[91:92], v[91:92], v[96:97]
	buffer_store_dword v92, off, s[0:3], 0 offset:44
	buffer_store_dword v91, off, s[0:3], 0 offset:40
.LBB44_478:
	s_or_b64 exec, exec, s[6:7]
	buffer_load_dword v91, off, s[0:3], 0 offset:48
	buffer_load_dword v92, off, s[0:3], 0 offset:52
	v_cmp_gt_u32_e32 vcc, 6, v0
	s_waitcnt vmcnt(0)
	ds_write_b64 v94, v[91:92]
	s_waitcnt lgkmcnt(0)
	; wave barrier
	s_and_saveexec_b64 s[6:7], vcc
	s_cbranch_execz .LBB44_488
; %bb.479:
	s_and_b64 vcc, exec, s[4:5]
	s_cbranch_vccnz .LBB44_481
; %bb.480:
	buffer_load_dword v91, v95, s[0:3], 0 offen
	buffer_load_dword v92, v95, s[0:3], 0 offen offset:4
	ds_read_b64 v[96:97], v94
	s_waitcnt vmcnt(0) lgkmcnt(0)
	v_mul_f64 v[91:92], v[91:92], v[96:97]
	s_cbranch_execz .LBB44_482
	s_branch .LBB44_483
.LBB44_481:
                                        ; implicit-def: $vgpr91_vgpr92
.LBB44_482:
	ds_read_b64 v[91:92], v94
.LBB44_483:
	v_cmp_ne_u32_e32 vcc, 5, v0
	s_and_saveexec_b64 s[8:9], vcc
	s_cbranch_execz .LBB44_487
; %bb.484:
	s_mov_b32 s10, 0
	v_add_u32_e32 v96, 0x178, v93
	v_add3_u32 v97, v93, s10, 8
	s_mov_b64 s[10:11], 0
	v_mov_b32_e32 v98, v0
.LBB44_485:                             ; =>This Inner Loop Header: Depth=1
	buffer_load_dword v99, v97, s[0:3], 0 offen
	buffer_load_dword v100, v97, s[0:3], 0 offen offset:4
	ds_read_b64 v[101:102], v96
	v_add_u32_e32 v98, 1, v98
	v_cmp_lt_u32_e32 vcc, 4, v98
	v_add_u32_e32 v96, 8, v96
	s_or_b64 s[10:11], vcc, s[10:11]
	v_add_u32_e32 v97, 8, v97
	s_waitcnt vmcnt(0) lgkmcnt(0)
	v_fma_f64 v[91:92], v[99:100], v[101:102], v[91:92]
	s_andn2_b64 exec, exec, s[10:11]
	s_cbranch_execnz .LBB44_485
; %bb.486:
	s_or_b64 exec, exec, s[10:11]
.LBB44_487:
	s_or_b64 exec, exec, s[8:9]
	v_mov_b32_e32 v96, 0
	ds_read_b64 v[96:97], v96 offset:48
	s_waitcnt lgkmcnt(0)
	v_mul_f64 v[91:92], v[91:92], v[96:97]
	buffer_store_dword v92, off, s[0:3], 0 offset:52
	buffer_store_dword v91, off, s[0:3], 0 offset:48
.LBB44_488:
	s_or_b64 exec, exec, s[6:7]
	buffer_load_dword v91, off, s[0:3], 0 offset:56
	buffer_load_dword v92, off, s[0:3], 0 offset:60
	v_cmp_gt_u32_e32 vcc, 7, v0
	s_waitcnt vmcnt(0)
	ds_write_b64 v94, v[91:92]
	s_waitcnt lgkmcnt(0)
	; wave barrier
	s_and_saveexec_b64 s[6:7], vcc
	s_cbranch_execz .LBB44_498
; %bb.489:
	s_and_b64 vcc, exec, s[4:5]
	s_cbranch_vccnz .LBB44_491
; %bb.490:
	buffer_load_dword v91, v95, s[0:3], 0 offen
	buffer_load_dword v92, v95, s[0:3], 0 offen offset:4
	ds_read_b64 v[96:97], v94
	s_waitcnt vmcnt(0) lgkmcnt(0)
	v_mul_f64 v[91:92], v[91:92], v[96:97]
	s_cbranch_execz .LBB44_492
	s_branch .LBB44_493
.LBB44_491:
                                        ; implicit-def: $vgpr91_vgpr92
.LBB44_492:
	ds_read_b64 v[91:92], v94
.LBB44_493:
	v_cmp_ne_u32_e32 vcc, 6, v0
	s_and_saveexec_b64 s[8:9], vcc
	s_cbranch_execz .LBB44_497
; %bb.494:
	s_mov_b32 s10, 0
	v_add_u32_e32 v96, 0x178, v93
	v_add3_u32 v97, v93, s10, 8
	s_mov_b64 s[10:11], 0
	v_mov_b32_e32 v98, v0
.LBB44_495:                             ; =>This Inner Loop Header: Depth=1
	buffer_load_dword v99, v97, s[0:3], 0 offen
	buffer_load_dword v100, v97, s[0:3], 0 offen offset:4
	ds_read_b64 v[101:102], v96
	v_add_u32_e32 v98, 1, v98
	v_cmp_lt_u32_e32 vcc, 5, v98
	v_add_u32_e32 v96, 8, v96
	s_or_b64 s[10:11], vcc, s[10:11]
	v_add_u32_e32 v97, 8, v97
	s_waitcnt vmcnt(0) lgkmcnt(0)
	v_fma_f64 v[91:92], v[99:100], v[101:102], v[91:92]
	s_andn2_b64 exec, exec, s[10:11]
	s_cbranch_execnz .LBB44_495
; %bb.496:
	s_or_b64 exec, exec, s[10:11]
.LBB44_497:
	s_or_b64 exec, exec, s[8:9]
	v_mov_b32_e32 v96, 0
	ds_read_b64 v[96:97], v96 offset:56
	s_waitcnt lgkmcnt(0)
	v_mul_f64 v[91:92], v[91:92], v[96:97]
	buffer_store_dword v92, off, s[0:3], 0 offset:60
	buffer_store_dword v91, off, s[0:3], 0 offset:56
.LBB44_498:
	s_or_b64 exec, exec, s[6:7]
	buffer_load_dword v91, off, s[0:3], 0 offset:64
	buffer_load_dword v92, off, s[0:3], 0 offset:68
	v_cmp_gt_u32_e32 vcc, 8, v0
	s_waitcnt vmcnt(0)
	ds_write_b64 v94, v[91:92]
	s_waitcnt lgkmcnt(0)
	; wave barrier
	s_and_saveexec_b64 s[6:7], vcc
	s_cbranch_execz .LBB44_508
; %bb.499:
	s_and_b64 vcc, exec, s[4:5]
	s_cbranch_vccnz .LBB44_501
; %bb.500:
	buffer_load_dword v91, v95, s[0:3], 0 offen
	buffer_load_dword v92, v95, s[0:3], 0 offen offset:4
	ds_read_b64 v[96:97], v94
	s_waitcnt vmcnt(0) lgkmcnt(0)
	v_mul_f64 v[91:92], v[91:92], v[96:97]
	s_cbranch_execz .LBB44_502
	s_branch .LBB44_503
.LBB44_501:
                                        ; implicit-def: $vgpr91_vgpr92
.LBB44_502:
	ds_read_b64 v[91:92], v94
.LBB44_503:
	v_cmp_ne_u32_e32 vcc, 7, v0
	s_and_saveexec_b64 s[8:9], vcc
	s_cbranch_execz .LBB44_507
; %bb.504:
	s_mov_b32 s10, 0
	v_add_u32_e32 v96, 0x178, v93
	v_add3_u32 v97, v93, s10, 8
	s_mov_b64 s[10:11], 0
	v_mov_b32_e32 v98, v0
.LBB44_505:                             ; =>This Inner Loop Header: Depth=1
	buffer_load_dword v99, v97, s[0:3], 0 offen
	buffer_load_dword v100, v97, s[0:3], 0 offen offset:4
	ds_read_b64 v[101:102], v96
	v_add_u32_e32 v98, 1, v98
	v_cmp_lt_u32_e32 vcc, 6, v98
	v_add_u32_e32 v96, 8, v96
	s_or_b64 s[10:11], vcc, s[10:11]
	v_add_u32_e32 v97, 8, v97
	s_waitcnt vmcnt(0) lgkmcnt(0)
	v_fma_f64 v[91:92], v[99:100], v[101:102], v[91:92]
	s_andn2_b64 exec, exec, s[10:11]
	s_cbranch_execnz .LBB44_505
; %bb.506:
	s_or_b64 exec, exec, s[10:11]
.LBB44_507:
	s_or_b64 exec, exec, s[8:9]
	v_mov_b32_e32 v96, 0
	ds_read_b64 v[96:97], v96 offset:64
	s_waitcnt lgkmcnt(0)
	v_mul_f64 v[91:92], v[91:92], v[96:97]
	buffer_store_dword v92, off, s[0:3], 0 offset:68
	buffer_store_dword v91, off, s[0:3], 0 offset:64
.LBB44_508:
	s_or_b64 exec, exec, s[6:7]
	buffer_load_dword v91, off, s[0:3], 0 offset:72
	buffer_load_dword v92, off, s[0:3], 0 offset:76
	v_cmp_gt_u32_e32 vcc, 9, v0
	s_waitcnt vmcnt(0)
	ds_write_b64 v94, v[91:92]
	s_waitcnt lgkmcnt(0)
	; wave barrier
	s_and_saveexec_b64 s[6:7], vcc
	s_cbranch_execz .LBB44_518
; %bb.509:
	s_and_b64 vcc, exec, s[4:5]
	s_cbranch_vccnz .LBB44_511
; %bb.510:
	buffer_load_dword v91, v95, s[0:3], 0 offen
	buffer_load_dword v92, v95, s[0:3], 0 offen offset:4
	ds_read_b64 v[96:97], v94
	s_waitcnt vmcnt(0) lgkmcnt(0)
	v_mul_f64 v[91:92], v[91:92], v[96:97]
	s_cbranch_execz .LBB44_512
	s_branch .LBB44_513
.LBB44_511:
                                        ; implicit-def: $vgpr91_vgpr92
.LBB44_512:
	ds_read_b64 v[91:92], v94
.LBB44_513:
	v_cmp_ne_u32_e32 vcc, 8, v0
	s_and_saveexec_b64 s[8:9], vcc
	s_cbranch_execz .LBB44_517
; %bb.514:
	s_mov_b32 s10, 0
	v_add_u32_e32 v96, 0x178, v93
	v_add3_u32 v97, v93, s10, 8
	s_mov_b64 s[10:11], 0
	v_mov_b32_e32 v98, v0
.LBB44_515:                             ; =>This Inner Loop Header: Depth=1
	buffer_load_dword v99, v97, s[0:3], 0 offen
	buffer_load_dword v100, v97, s[0:3], 0 offen offset:4
	ds_read_b64 v[101:102], v96
	v_add_u32_e32 v98, 1, v98
	v_cmp_lt_u32_e32 vcc, 7, v98
	v_add_u32_e32 v96, 8, v96
	s_or_b64 s[10:11], vcc, s[10:11]
	v_add_u32_e32 v97, 8, v97
	s_waitcnt vmcnt(0) lgkmcnt(0)
	v_fma_f64 v[91:92], v[99:100], v[101:102], v[91:92]
	s_andn2_b64 exec, exec, s[10:11]
	s_cbranch_execnz .LBB44_515
; %bb.516:
	s_or_b64 exec, exec, s[10:11]
.LBB44_517:
	s_or_b64 exec, exec, s[8:9]
	v_mov_b32_e32 v96, 0
	ds_read_b64 v[96:97], v96 offset:72
	s_waitcnt lgkmcnt(0)
	v_mul_f64 v[91:92], v[91:92], v[96:97]
	buffer_store_dword v92, off, s[0:3], 0 offset:76
	buffer_store_dword v91, off, s[0:3], 0 offset:72
.LBB44_518:
	s_or_b64 exec, exec, s[6:7]
	buffer_load_dword v91, off, s[0:3], 0 offset:80
	buffer_load_dword v92, off, s[0:3], 0 offset:84
	v_cmp_gt_u32_e32 vcc, 10, v0
	s_waitcnt vmcnt(0)
	ds_write_b64 v94, v[91:92]
	s_waitcnt lgkmcnt(0)
	; wave barrier
	s_and_saveexec_b64 s[6:7], vcc
	s_cbranch_execz .LBB44_528
; %bb.519:
	s_and_b64 vcc, exec, s[4:5]
	s_cbranch_vccnz .LBB44_521
; %bb.520:
	buffer_load_dword v91, v95, s[0:3], 0 offen
	buffer_load_dword v92, v95, s[0:3], 0 offen offset:4
	ds_read_b64 v[96:97], v94
	s_waitcnt vmcnt(0) lgkmcnt(0)
	v_mul_f64 v[91:92], v[91:92], v[96:97]
	s_cbranch_execz .LBB44_522
	s_branch .LBB44_523
.LBB44_521:
                                        ; implicit-def: $vgpr91_vgpr92
.LBB44_522:
	ds_read_b64 v[91:92], v94
.LBB44_523:
	v_cmp_ne_u32_e32 vcc, 9, v0
	s_and_saveexec_b64 s[8:9], vcc
	s_cbranch_execz .LBB44_527
; %bb.524:
	s_mov_b32 s10, 0
	v_add_u32_e32 v96, 0x178, v93
	v_add3_u32 v97, v93, s10, 8
	s_mov_b64 s[10:11], 0
	v_mov_b32_e32 v98, v0
.LBB44_525:                             ; =>This Inner Loop Header: Depth=1
	buffer_load_dword v99, v97, s[0:3], 0 offen
	buffer_load_dword v100, v97, s[0:3], 0 offen offset:4
	ds_read_b64 v[101:102], v96
	v_add_u32_e32 v98, 1, v98
	v_cmp_lt_u32_e32 vcc, 8, v98
	v_add_u32_e32 v96, 8, v96
	s_or_b64 s[10:11], vcc, s[10:11]
	v_add_u32_e32 v97, 8, v97
	s_waitcnt vmcnt(0) lgkmcnt(0)
	v_fma_f64 v[91:92], v[99:100], v[101:102], v[91:92]
	s_andn2_b64 exec, exec, s[10:11]
	s_cbranch_execnz .LBB44_525
; %bb.526:
	s_or_b64 exec, exec, s[10:11]
.LBB44_527:
	s_or_b64 exec, exec, s[8:9]
	v_mov_b32_e32 v96, 0
	ds_read_b64 v[96:97], v96 offset:80
	s_waitcnt lgkmcnt(0)
	v_mul_f64 v[91:92], v[91:92], v[96:97]
	buffer_store_dword v92, off, s[0:3], 0 offset:84
	buffer_store_dword v91, off, s[0:3], 0 offset:80
.LBB44_528:
	s_or_b64 exec, exec, s[6:7]
	buffer_load_dword v91, off, s[0:3], 0 offset:88
	buffer_load_dword v92, off, s[0:3], 0 offset:92
	v_cmp_gt_u32_e32 vcc, 11, v0
	s_waitcnt vmcnt(0)
	ds_write_b64 v94, v[91:92]
	s_waitcnt lgkmcnt(0)
	; wave barrier
	s_and_saveexec_b64 s[6:7], vcc
	s_cbranch_execz .LBB44_538
; %bb.529:
	s_and_b64 vcc, exec, s[4:5]
	s_cbranch_vccnz .LBB44_531
; %bb.530:
	buffer_load_dword v91, v95, s[0:3], 0 offen
	buffer_load_dword v92, v95, s[0:3], 0 offen offset:4
	ds_read_b64 v[96:97], v94
	s_waitcnt vmcnt(0) lgkmcnt(0)
	v_mul_f64 v[91:92], v[91:92], v[96:97]
	s_cbranch_execz .LBB44_532
	s_branch .LBB44_533
.LBB44_531:
                                        ; implicit-def: $vgpr91_vgpr92
.LBB44_532:
	ds_read_b64 v[91:92], v94
.LBB44_533:
	v_cmp_ne_u32_e32 vcc, 10, v0
	s_and_saveexec_b64 s[8:9], vcc
	s_cbranch_execz .LBB44_537
; %bb.534:
	s_mov_b32 s10, 0
	v_add_u32_e32 v96, 0x178, v93
	v_add3_u32 v97, v93, s10, 8
	s_mov_b64 s[10:11], 0
	v_mov_b32_e32 v98, v0
.LBB44_535:                             ; =>This Inner Loop Header: Depth=1
	buffer_load_dword v99, v97, s[0:3], 0 offen
	buffer_load_dword v100, v97, s[0:3], 0 offen offset:4
	ds_read_b64 v[101:102], v96
	v_add_u32_e32 v98, 1, v98
	v_cmp_lt_u32_e32 vcc, 9, v98
	v_add_u32_e32 v96, 8, v96
	s_or_b64 s[10:11], vcc, s[10:11]
	v_add_u32_e32 v97, 8, v97
	s_waitcnt vmcnt(0) lgkmcnt(0)
	v_fma_f64 v[91:92], v[99:100], v[101:102], v[91:92]
	s_andn2_b64 exec, exec, s[10:11]
	s_cbranch_execnz .LBB44_535
; %bb.536:
	s_or_b64 exec, exec, s[10:11]
.LBB44_537:
	s_or_b64 exec, exec, s[8:9]
	v_mov_b32_e32 v96, 0
	ds_read_b64 v[96:97], v96 offset:88
	s_waitcnt lgkmcnt(0)
	v_mul_f64 v[91:92], v[91:92], v[96:97]
	buffer_store_dword v92, off, s[0:3], 0 offset:92
	buffer_store_dword v91, off, s[0:3], 0 offset:88
.LBB44_538:
	s_or_b64 exec, exec, s[6:7]
	buffer_load_dword v91, off, s[0:3], 0 offset:96
	buffer_load_dword v92, off, s[0:3], 0 offset:100
	v_cmp_gt_u32_e32 vcc, 12, v0
	s_waitcnt vmcnt(0)
	ds_write_b64 v94, v[91:92]
	s_waitcnt lgkmcnt(0)
	; wave barrier
	s_and_saveexec_b64 s[6:7], vcc
	s_cbranch_execz .LBB44_548
; %bb.539:
	s_and_b64 vcc, exec, s[4:5]
	s_cbranch_vccnz .LBB44_541
; %bb.540:
	buffer_load_dword v91, v95, s[0:3], 0 offen
	buffer_load_dword v92, v95, s[0:3], 0 offen offset:4
	ds_read_b64 v[96:97], v94
	s_waitcnt vmcnt(0) lgkmcnt(0)
	v_mul_f64 v[91:92], v[91:92], v[96:97]
	s_cbranch_execz .LBB44_542
	s_branch .LBB44_543
.LBB44_541:
                                        ; implicit-def: $vgpr91_vgpr92
.LBB44_542:
	ds_read_b64 v[91:92], v94
.LBB44_543:
	v_cmp_ne_u32_e32 vcc, 11, v0
	s_and_saveexec_b64 s[8:9], vcc
	s_cbranch_execz .LBB44_547
; %bb.544:
	s_mov_b32 s10, 0
	v_add_u32_e32 v96, 0x178, v93
	v_add3_u32 v97, v93, s10, 8
	s_mov_b64 s[10:11], 0
	v_mov_b32_e32 v98, v0
.LBB44_545:                             ; =>This Inner Loop Header: Depth=1
	buffer_load_dword v99, v97, s[0:3], 0 offen
	buffer_load_dword v100, v97, s[0:3], 0 offen offset:4
	ds_read_b64 v[101:102], v96
	v_add_u32_e32 v98, 1, v98
	v_cmp_lt_u32_e32 vcc, 10, v98
	v_add_u32_e32 v96, 8, v96
	s_or_b64 s[10:11], vcc, s[10:11]
	v_add_u32_e32 v97, 8, v97
	s_waitcnt vmcnt(0) lgkmcnt(0)
	v_fma_f64 v[91:92], v[99:100], v[101:102], v[91:92]
	s_andn2_b64 exec, exec, s[10:11]
	s_cbranch_execnz .LBB44_545
; %bb.546:
	s_or_b64 exec, exec, s[10:11]
.LBB44_547:
	s_or_b64 exec, exec, s[8:9]
	v_mov_b32_e32 v96, 0
	ds_read_b64 v[96:97], v96 offset:96
	s_waitcnt lgkmcnt(0)
	v_mul_f64 v[91:92], v[91:92], v[96:97]
	buffer_store_dword v92, off, s[0:3], 0 offset:100
	buffer_store_dword v91, off, s[0:3], 0 offset:96
.LBB44_548:
	s_or_b64 exec, exec, s[6:7]
	buffer_load_dword v91, off, s[0:3], 0 offset:104
	buffer_load_dword v92, off, s[0:3], 0 offset:108
	v_cmp_gt_u32_e32 vcc, 13, v0
	s_waitcnt vmcnt(0)
	ds_write_b64 v94, v[91:92]
	s_waitcnt lgkmcnt(0)
	; wave barrier
	s_and_saveexec_b64 s[6:7], vcc
	s_cbranch_execz .LBB44_558
; %bb.549:
	s_and_b64 vcc, exec, s[4:5]
	s_cbranch_vccnz .LBB44_551
; %bb.550:
	buffer_load_dword v91, v95, s[0:3], 0 offen
	buffer_load_dword v92, v95, s[0:3], 0 offen offset:4
	ds_read_b64 v[96:97], v94
	s_waitcnt vmcnt(0) lgkmcnt(0)
	v_mul_f64 v[91:92], v[91:92], v[96:97]
	s_cbranch_execz .LBB44_552
	s_branch .LBB44_553
.LBB44_551:
                                        ; implicit-def: $vgpr91_vgpr92
.LBB44_552:
	ds_read_b64 v[91:92], v94
.LBB44_553:
	v_cmp_ne_u32_e32 vcc, 12, v0
	s_and_saveexec_b64 s[8:9], vcc
	s_cbranch_execz .LBB44_557
; %bb.554:
	s_mov_b32 s10, 0
	v_add_u32_e32 v96, 0x178, v93
	v_add3_u32 v97, v93, s10, 8
	s_mov_b64 s[10:11], 0
	v_mov_b32_e32 v98, v0
.LBB44_555:                             ; =>This Inner Loop Header: Depth=1
	buffer_load_dword v99, v97, s[0:3], 0 offen
	buffer_load_dword v100, v97, s[0:3], 0 offen offset:4
	ds_read_b64 v[101:102], v96
	v_add_u32_e32 v98, 1, v98
	v_cmp_lt_u32_e32 vcc, 11, v98
	v_add_u32_e32 v96, 8, v96
	s_or_b64 s[10:11], vcc, s[10:11]
	v_add_u32_e32 v97, 8, v97
	s_waitcnt vmcnt(0) lgkmcnt(0)
	v_fma_f64 v[91:92], v[99:100], v[101:102], v[91:92]
	s_andn2_b64 exec, exec, s[10:11]
	s_cbranch_execnz .LBB44_555
; %bb.556:
	s_or_b64 exec, exec, s[10:11]
.LBB44_557:
	s_or_b64 exec, exec, s[8:9]
	v_mov_b32_e32 v96, 0
	ds_read_b64 v[96:97], v96 offset:104
	s_waitcnt lgkmcnt(0)
	v_mul_f64 v[91:92], v[91:92], v[96:97]
	buffer_store_dword v92, off, s[0:3], 0 offset:108
	buffer_store_dword v91, off, s[0:3], 0 offset:104
.LBB44_558:
	s_or_b64 exec, exec, s[6:7]
	buffer_load_dword v91, off, s[0:3], 0 offset:112
	buffer_load_dword v92, off, s[0:3], 0 offset:116
	v_cmp_gt_u32_e32 vcc, 14, v0
	s_waitcnt vmcnt(0)
	ds_write_b64 v94, v[91:92]
	s_waitcnt lgkmcnt(0)
	; wave barrier
	s_and_saveexec_b64 s[6:7], vcc
	s_cbranch_execz .LBB44_568
; %bb.559:
	s_and_b64 vcc, exec, s[4:5]
	s_cbranch_vccnz .LBB44_561
; %bb.560:
	buffer_load_dword v91, v95, s[0:3], 0 offen
	buffer_load_dword v92, v95, s[0:3], 0 offen offset:4
	ds_read_b64 v[96:97], v94
	s_waitcnt vmcnt(0) lgkmcnt(0)
	v_mul_f64 v[91:92], v[91:92], v[96:97]
	s_cbranch_execz .LBB44_562
	s_branch .LBB44_563
.LBB44_561:
                                        ; implicit-def: $vgpr91_vgpr92
.LBB44_562:
	ds_read_b64 v[91:92], v94
.LBB44_563:
	v_cmp_ne_u32_e32 vcc, 13, v0
	s_and_saveexec_b64 s[8:9], vcc
	s_cbranch_execz .LBB44_567
; %bb.564:
	s_mov_b32 s10, 0
	v_add_u32_e32 v96, 0x178, v93
	v_add3_u32 v97, v93, s10, 8
	s_mov_b64 s[10:11], 0
	v_mov_b32_e32 v98, v0
.LBB44_565:                             ; =>This Inner Loop Header: Depth=1
	buffer_load_dword v99, v97, s[0:3], 0 offen
	buffer_load_dword v100, v97, s[0:3], 0 offen offset:4
	ds_read_b64 v[101:102], v96
	v_add_u32_e32 v98, 1, v98
	v_cmp_lt_u32_e32 vcc, 12, v98
	v_add_u32_e32 v96, 8, v96
	s_or_b64 s[10:11], vcc, s[10:11]
	v_add_u32_e32 v97, 8, v97
	s_waitcnt vmcnt(0) lgkmcnt(0)
	v_fma_f64 v[91:92], v[99:100], v[101:102], v[91:92]
	s_andn2_b64 exec, exec, s[10:11]
	s_cbranch_execnz .LBB44_565
; %bb.566:
	s_or_b64 exec, exec, s[10:11]
.LBB44_567:
	s_or_b64 exec, exec, s[8:9]
	v_mov_b32_e32 v96, 0
	ds_read_b64 v[96:97], v96 offset:112
	s_waitcnt lgkmcnt(0)
	v_mul_f64 v[91:92], v[91:92], v[96:97]
	buffer_store_dword v92, off, s[0:3], 0 offset:116
	buffer_store_dword v91, off, s[0:3], 0 offset:112
.LBB44_568:
	s_or_b64 exec, exec, s[6:7]
	buffer_load_dword v91, off, s[0:3], 0 offset:120
	buffer_load_dword v92, off, s[0:3], 0 offset:124
	v_cmp_gt_u32_e32 vcc, 15, v0
	s_waitcnt vmcnt(0)
	ds_write_b64 v94, v[91:92]
	s_waitcnt lgkmcnt(0)
	; wave barrier
	s_and_saveexec_b64 s[6:7], vcc
	s_cbranch_execz .LBB44_578
; %bb.569:
	s_and_b64 vcc, exec, s[4:5]
	s_cbranch_vccnz .LBB44_571
; %bb.570:
	buffer_load_dword v91, v95, s[0:3], 0 offen
	buffer_load_dword v92, v95, s[0:3], 0 offen offset:4
	ds_read_b64 v[96:97], v94
	s_waitcnt vmcnt(0) lgkmcnt(0)
	v_mul_f64 v[91:92], v[91:92], v[96:97]
	s_cbranch_execz .LBB44_572
	s_branch .LBB44_573
.LBB44_571:
                                        ; implicit-def: $vgpr91_vgpr92
.LBB44_572:
	ds_read_b64 v[91:92], v94
.LBB44_573:
	v_cmp_ne_u32_e32 vcc, 14, v0
	s_and_saveexec_b64 s[8:9], vcc
	s_cbranch_execz .LBB44_577
; %bb.574:
	s_mov_b32 s10, 0
	v_add_u32_e32 v96, 0x178, v93
	v_add3_u32 v97, v93, s10, 8
	s_mov_b64 s[10:11], 0
	v_mov_b32_e32 v98, v0
.LBB44_575:                             ; =>This Inner Loop Header: Depth=1
	buffer_load_dword v99, v97, s[0:3], 0 offen
	buffer_load_dword v100, v97, s[0:3], 0 offen offset:4
	ds_read_b64 v[101:102], v96
	v_add_u32_e32 v98, 1, v98
	v_cmp_lt_u32_e32 vcc, 13, v98
	v_add_u32_e32 v96, 8, v96
	s_or_b64 s[10:11], vcc, s[10:11]
	v_add_u32_e32 v97, 8, v97
	s_waitcnt vmcnt(0) lgkmcnt(0)
	v_fma_f64 v[91:92], v[99:100], v[101:102], v[91:92]
	s_andn2_b64 exec, exec, s[10:11]
	s_cbranch_execnz .LBB44_575
; %bb.576:
	s_or_b64 exec, exec, s[10:11]
.LBB44_577:
	s_or_b64 exec, exec, s[8:9]
	v_mov_b32_e32 v96, 0
	ds_read_b64 v[96:97], v96 offset:120
	s_waitcnt lgkmcnt(0)
	v_mul_f64 v[91:92], v[91:92], v[96:97]
	buffer_store_dword v92, off, s[0:3], 0 offset:124
	buffer_store_dword v91, off, s[0:3], 0 offset:120
.LBB44_578:
	s_or_b64 exec, exec, s[6:7]
	buffer_load_dword v91, off, s[0:3], 0 offset:128
	buffer_load_dword v92, off, s[0:3], 0 offset:132
	v_cmp_gt_u32_e32 vcc, 16, v0
	s_waitcnt vmcnt(0)
	ds_write_b64 v94, v[91:92]
	s_waitcnt lgkmcnt(0)
	; wave barrier
	s_and_saveexec_b64 s[6:7], vcc
	s_cbranch_execz .LBB44_588
; %bb.579:
	s_and_b64 vcc, exec, s[4:5]
	s_cbranch_vccnz .LBB44_581
; %bb.580:
	buffer_load_dword v91, v95, s[0:3], 0 offen
	buffer_load_dword v92, v95, s[0:3], 0 offen offset:4
	ds_read_b64 v[96:97], v94
	s_waitcnt vmcnt(0) lgkmcnt(0)
	v_mul_f64 v[91:92], v[91:92], v[96:97]
	s_cbranch_execz .LBB44_582
	s_branch .LBB44_583
.LBB44_581:
                                        ; implicit-def: $vgpr91_vgpr92
.LBB44_582:
	ds_read_b64 v[91:92], v94
.LBB44_583:
	v_cmp_ne_u32_e32 vcc, 15, v0
	s_and_saveexec_b64 s[8:9], vcc
	s_cbranch_execz .LBB44_587
; %bb.584:
	s_mov_b32 s10, 0
	v_add_u32_e32 v96, 0x178, v93
	v_add3_u32 v97, v93, s10, 8
	s_mov_b64 s[10:11], 0
	v_mov_b32_e32 v98, v0
.LBB44_585:                             ; =>This Inner Loop Header: Depth=1
	buffer_load_dword v99, v97, s[0:3], 0 offen
	buffer_load_dword v100, v97, s[0:3], 0 offen offset:4
	ds_read_b64 v[101:102], v96
	v_add_u32_e32 v98, 1, v98
	v_cmp_lt_u32_e32 vcc, 14, v98
	v_add_u32_e32 v96, 8, v96
	s_or_b64 s[10:11], vcc, s[10:11]
	v_add_u32_e32 v97, 8, v97
	s_waitcnt vmcnt(0) lgkmcnt(0)
	v_fma_f64 v[91:92], v[99:100], v[101:102], v[91:92]
	s_andn2_b64 exec, exec, s[10:11]
	s_cbranch_execnz .LBB44_585
; %bb.586:
	s_or_b64 exec, exec, s[10:11]
.LBB44_587:
	s_or_b64 exec, exec, s[8:9]
	v_mov_b32_e32 v96, 0
	ds_read_b64 v[96:97], v96 offset:128
	s_waitcnt lgkmcnt(0)
	v_mul_f64 v[91:92], v[91:92], v[96:97]
	buffer_store_dword v92, off, s[0:3], 0 offset:132
	buffer_store_dword v91, off, s[0:3], 0 offset:128
.LBB44_588:
	s_or_b64 exec, exec, s[6:7]
	buffer_load_dword v91, off, s[0:3], 0 offset:136
	buffer_load_dword v92, off, s[0:3], 0 offset:140
	v_cmp_gt_u32_e32 vcc, 17, v0
	s_waitcnt vmcnt(0)
	ds_write_b64 v94, v[91:92]
	s_waitcnt lgkmcnt(0)
	; wave barrier
	s_and_saveexec_b64 s[6:7], vcc
	s_cbranch_execz .LBB44_598
; %bb.589:
	s_and_b64 vcc, exec, s[4:5]
	s_cbranch_vccnz .LBB44_591
; %bb.590:
	buffer_load_dword v91, v95, s[0:3], 0 offen
	buffer_load_dword v92, v95, s[0:3], 0 offen offset:4
	ds_read_b64 v[96:97], v94
	s_waitcnt vmcnt(0) lgkmcnt(0)
	v_mul_f64 v[91:92], v[91:92], v[96:97]
	s_cbranch_execz .LBB44_592
	s_branch .LBB44_593
.LBB44_591:
                                        ; implicit-def: $vgpr91_vgpr92
.LBB44_592:
	ds_read_b64 v[91:92], v94
.LBB44_593:
	v_cmp_ne_u32_e32 vcc, 16, v0
	s_and_saveexec_b64 s[8:9], vcc
	s_cbranch_execz .LBB44_597
; %bb.594:
	s_mov_b32 s10, 0
	v_add_u32_e32 v96, 0x178, v93
	v_add3_u32 v97, v93, s10, 8
	s_mov_b64 s[10:11], 0
	v_mov_b32_e32 v98, v0
.LBB44_595:                             ; =>This Inner Loop Header: Depth=1
	buffer_load_dword v99, v97, s[0:3], 0 offen
	buffer_load_dword v100, v97, s[0:3], 0 offen offset:4
	ds_read_b64 v[101:102], v96
	v_add_u32_e32 v98, 1, v98
	v_cmp_lt_u32_e32 vcc, 15, v98
	v_add_u32_e32 v96, 8, v96
	s_or_b64 s[10:11], vcc, s[10:11]
	v_add_u32_e32 v97, 8, v97
	s_waitcnt vmcnt(0) lgkmcnt(0)
	v_fma_f64 v[91:92], v[99:100], v[101:102], v[91:92]
	s_andn2_b64 exec, exec, s[10:11]
	s_cbranch_execnz .LBB44_595
; %bb.596:
	s_or_b64 exec, exec, s[10:11]
.LBB44_597:
	s_or_b64 exec, exec, s[8:9]
	v_mov_b32_e32 v96, 0
	ds_read_b64 v[96:97], v96 offset:136
	s_waitcnt lgkmcnt(0)
	v_mul_f64 v[91:92], v[91:92], v[96:97]
	buffer_store_dword v92, off, s[0:3], 0 offset:140
	buffer_store_dword v91, off, s[0:3], 0 offset:136
.LBB44_598:
	s_or_b64 exec, exec, s[6:7]
	buffer_load_dword v91, off, s[0:3], 0 offset:144
	buffer_load_dword v92, off, s[0:3], 0 offset:148
	v_cmp_gt_u32_e32 vcc, 18, v0
	s_waitcnt vmcnt(0)
	ds_write_b64 v94, v[91:92]
	s_waitcnt lgkmcnt(0)
	; wave barrier
	s_and_saveexec_b64 s[6:7], vcc
	s_cbranch_execz .LBB44_608
; %bb.599:
	s_and_b64 vcc, exec, s[4:5]
	s_cbranch_vccnz .LBB44_601
; %bb.600:
	buffer_load_dword v91, v95, s[0:3], 0 offen
	buffer_load_dword v92, v95, s[0:3], 0 offen offset:4
	ds_read_b64 v[96:97], v94
	s_waitcnt vmcnt(0) lgkmcnt(0)
	v_mul_f64 v[91:92], v[91:92], v[96:97]
	s_cbranch_execz .LBB44_602
	s_branch .LBB44_603
.LBB44_601:
                                        ; implicit-def: $vgpr91_vgpr92
.LBB44_602:
	ds_read_b64 v[91:92], v94
.LBB44_603:
	v_cmp_ne_u32_e32 vcc, 17, v0
	s_and_saveexec_b64 s[8:9], vcc
	s_cbranch_execz .LBB44_607
; %bb.604:
	s_mov_b32 s10, 0
	v_add_u32_e32 v96, 0x178, v93
	v_add3_u32 v97, v93, s10, 8
	s_mov_b64 s[10:11], 0
	v_mov_b32_e32 v98, v0
.LBB44_605:                             ; =>This Inner Loop Header: Depth=1
	buffer_load_dword v99, v97, s[0:3], 0 offen
	buffer_load_dword v100, v97, s[0:3], 0 offen offset:4
	ds_read_b64 v[101:102], v96
	v_add_u32_e32 v98, 1, v98
	v_cmp_lt_u32_e32 vcc, 16, v98
	v_add_u32_e32 v96, 8, v96
	s_or_b64 s[10:11], vcc, s[10:11]
	v_add_u32_e32 v97, 8, v97
	s_waitcnt vmcnt(0) lgkmcnt(0)
	v_fma_f64 v[91:92], v[99:100], v[101:102], v[91:92]
	s_andn2_b64 exec, exec, s[10:11]
	s_cbranch_execnz .LBB44_605
; %bb.606:
	s_or_b64 exec, exec, s[10:11]
.LBB44_607:
	s_or_b64 exec, exec, s[8:9]
	v_mov_b32_e32 v96, 0
	ds_read_b64 v[96:97], v96 offset:144
	s_waitcnt lgkmcnt(0)
	v_mul_f64 v[91:92], v[91:92], v[96:97]
	buffer_store_dword v92, off, s[0:3], 0 offset:148
	buffer_store_dword v91, off, s[0:3], 0 offset:144
.LBB44_608:
	s_or_b64 exec, exec, s[6:7]
	buffer_load_dword v91, off, s[0:3], 0 offset:152
	buffer_load_dword v92, off, s[0:3], 0 offset:156
	v_cmp_gt_u32_e32 vcc, 19, v0
	s_waitcnt vmcnt(0)
	ds_write_b64 v94, v[91:92]
	s_waitcnt lgkmcnt(0)
	; wave barrier
	s_and_saveexec_b64 s[6:7], vcc
	s_cbranch_execz .LBB44_618
; %bb.609:
	s_and_b64 vcc, exec, s[4:5]
	s_cbranch_vccnz .LBB44_611
; %bb.610:
	buffer_load_dword v91, v95, s[0:3], 0 offen
	buffer_load_dword v92, v95, s[0:3], 0 offen offset:4
	ds_read_b64 v[96:97], v94
	s_waitcnt vmcnt(0) lgkmcnt(0)
	v_mul_f64 v[91:92], v[91:92], v[96:97]
	s_cbranch_execz .LBB44_612
	s_branch .LBB44_613
.LBB44_611:
                                        ; implicit-def: $vgpr91_vgpr92
.LBB44_612:
	ds_read_b64 v[91:92], v94
.LBB44_613:
	v_cmp_ne_u32_e32 vcc, 18, v0
	s_and_saveexec_b64 s[8:9], vcc
	s_cbranch_execz .LBB44_617
; %bb.614:
	s_mov_b32 s10, 0
	v_add_u32_e32 v96, 0x178, v93
	v_add3_u32 v97, v93, s10, 8
	s_mov_b64 s[10:11], 0
	v_mov_b32_e32 v98, v0
.LBB44_615:                             ; =>This Inner Loop Header: Depth=1
	buffer_load_dword v99, v97, s[0:3], 0 offen
	buffer_load_dword v100, v97, s[0:3], 0 offen offset:4
	ds_read_b64 v[101:102], v96
	v_add_u32_e32 v98, 1, v98
	v_cmp_lt_u32_e32 vcc, 17, v98
	v_add_u32_e32 v96, 8, v96
	s_or_b64 s[10:11], vcc, s[10:11]
	v_add_u32_e32 v97, 8, v97
	s_waitcnt vmcnt(0) lgkmcnt(0)
	v_fma_f64 v[91:92], v[99:100], v[101:102], v[91:92]
	s_andn2_b64 exec, exec, s[10:11]
	s_cbranch_execnz .LBB44_615
; %bb.616:
	s_or_b64 exec, exec, s[10:11]
.LBB44_617:
	s_or_b64 exec, exec, s[8:9]
	v_mov_b32_e32 v96, 0
	ds_read_b64 v[96:97], v96 offset:152
	s_waitcnt lgkmcnt(0)
	v_mul_f64 v[91:92], v[91:92], v[96:97]
	buffer_store_dword v92, off, s[0:3], 0 offset:156
	buffer_store_dword v91, off, s[0:3], 0 offset:152
.LBB44_618:
	s_or_b64 exec, exec, s[6:7]
	buffer_load_dword v91, off, s[0:3], 0 offset:160
	buffer_load_dword v92, off, s[0:3], 0 offset:164
	v_cmp_gt_u32_e32 vcc, 20, v0
	s_waitcnt vmcnt(0)
	ds_write_b64 v94, v[91:92]
	s_waitcnt lgkmcnt(0)
	; wave barrier
	s_and_saveexec_b64 s[6:7], vcc
	s_cbranch_execz .LBB44_628
; %bb.619:
	s_and_b64 vcc, exec, s[4:5]
	s_cbranch_vccnz .LBB44_621
; %bb.620:
	buffer_load_dword v91, v95, s[0:3], 0 offen
	buffer_load_dword v92, v95, s[0:3], 0 offen offset:4
	ds_read_b64 v[96:97], v94
	s_waitcnt vmcnt(0) lgkmcnt(0)
	v_mul_f64 v[91:92], v[91:92], v[96:97]
	s_cbranch_execz .LBB44_622
	s_branch .LBB44_623
.LBB44_621:
                                        ; implicit-def: $vgpr91_vgpr92
.LBB44_622:
	ds_read_b64 v[91:92], v94
.LBB44_623:
	v_cmp_ne_u32_e32 vcc, 19, v0
	s_and_saveexec_b64 s[8:9], vcc
	s_cbranch_execz .LBB44_627
; %bb.624:
	s_mov_b32 s10, 0
	v_add_u32_e32 v96, 0x178, v93
	v_add3_u32 v97, v93, s10, 8
	s_mov_b64 s[10:11], 0
	v_mov_b32_e32 v98, v0
.LBB44_625:                             ; =>This Inner Loop Header: Depth=1
	buffer_load_dword v99, v97, s[0:3], 0 offen
	buffer_load_dword v100, v97, s[0:3], 0 offen offset:4
	ds_read_b64 v[101:102], v96
	v_add_u32_e32 v98, 1, v98
	v_cmp_lt_u32_e32 vcc, 18, v98
	v_add_u32_e32 v96, 8, v96
	s_or_b64 s[10:11], vcc, s[10:11]
	v_add_u32_e32 v97, 8, v97
	s_waitcnt vmcnt(0) lgkmcnt(0)
	v_fma_f64 v[91:92], v[99:100], v[101:102], v[91:92]
	s_andn2_b64 exec, exec, s[10:11]
	s_cbranch_execnz .LBB44_625
; %bb.626:
	s_or_b64 exec, exec, s[10:11]
.LBB44_627:
	s_or_b64 exec, exec, s[8:9]
	v_mov_b32_e32 v96, 0
	ds_read_b64 v[96:97], v96 offset:160
	s_waitcnt lgkmcnt(0)
	v_mul_f64 v[91:92], v[91:92], v[96:97]
	buffer_store_dword v92, off, s[0:3], 0 offset:164
	buffer_store_dword v91, off, s[0:3], 0 offset:160
.LBB44_628:
	s_or_b64 exec, exec, s[6:7]
	buffer_load_dword v91, off, s[0:3], 0 offset:168
	buffer_load_dword v92, off, s[0:3], 0 offset:172
	v_cmp_gt_u32_e32 vcc, 21, v0
	s_waitcnt vmcnt(0)
	ds_write_b64 v94, v[91:92]
	s_waitcnt lgkmcnt(0)
	; wave barrier
	s_and_saveexec_b64 s[6:7], vcc
	s_cbranch_execz .LBB44_638
; %bb.629:
	s_and_b64 vcc, exec, s[4:5]
	s_cbranch_vccnz .LBB44_631
; %bb.630:
	buffer_load_dword v91, v95, s[0:3], 0 offen
	buffer_load_dword v92, v95, s[0:3], 0 offen offset:4
	ds_read_b64 v[96:97], v94
	s_waitcnt vmcnt(0) lgkmcnt(0)
	v_mul_f64 v[91:92], v[91:92], v[96:97]
	s_cbranch_execz .LBB44_632
	s_branch .LBB44_633
.LBB44_631:
                                        ; implicit-def: $vgpr91_vgpr92
.LBB44_632:
	ds_read_b64 v[91:92], v94
.LBB44_633:
	v_cmp_ne_u32_e32 vcc, 20, v0
	s_and_saveexec_b64 s[8:9], vcc
	s_cbranch_execz .LBB44_637
; %bb.634:
	s_mov_b32 s10, 0
	v_add_u32_e32 v96, 0x178, v93
	v_add3_u32 v97, v93, s10, 8
	s_mov_b64 s[10:11], 0
	v_mov_b32_e32 v98, v0
.LBB44_635:                             ; =>This Inner Loop Header: Depth=1
	buffer_load_dword v99, v97, s[0:3], 0 offen
	buffer_load_dword v100, v97, s[0:3], 0 offen offset:4
	ds_read_b64 v[101:102], v96
	v_add_u32_e32 v98, 1, v98
	v_cmp_lt_u32_e32 vcc, 19, v98
	v_add_u32_e32 v96, 8, v96
	s_or_b64 s[10:11], vcc, s[10:11]
	v_add_u32_e32 v97, 8, v97
	s_waitcnt vmcnt(0) lgkmcnt(0)
	v_fma_f64 v[91:92], v[99:100], v[101:102], v[91:92]
	s_andn2_b64 exec, exec, s[10:11]
	s_cbranch_execnz .LBB44_635
; %bb.636:
	s_or_b64 exec, exec, s[10:11]
.LBB44_637:
	s_or_b64 exec, exec, s[8:9]
	v_mov_b32_e32 v96, 0
	ds_read_b64 v[96:97], v96 offset:168
	s_waitcnt lgkmcnt(0)
	v_mul_f64 v[91:92], v[91:92], v[96:97]
	buffer_store_dword v92, off, s[0:3], 0 offset:172
	buffer_store_dword v91, off, s[0:3], 0 offset:168
.LBB44_638:
	s_or_b64 exec, exec, s[6:7]
	buffer_load_dword v91, off, s[0:3], 0 offset:176
	buffer_load_dword v92, off, s[0:3], 0 offset:180
	v_cmp_gt_u32_e32 vcc, 22, v0
	s_waitcnt vmcnt(0)
	ds_write_b64 v94, v[91:92]
	s_waitcnt lgkmcnt(0)
	; wave barrier
	s_and_saveexec_b64 s[6:7], vcc
	s_cbranch_execz .LBB44_648
; %bb.639:
	s_and_b64 vcc, exec, s[4:5]
	s_cbranch_vccnz .LBB44_641
; %bb.640:
	buffer_load_dword v91, v95, s[0:3], 0 offen
	buffer_load_dword v92, v95, s[0:3], 0 offen offset:4
	ds_read_b64 v[96:97], v94
	s_waitcnt vmcnt(0) lgkmcnt(0)
	v_mul_f64 v[91:92], v[91:92], v[96:97]
	s_cbranch_execz .LBB44_642
	s_branch .LBB44_643
.LBB44_641:
                                        ; implicit-def: $vgpr91_vgpr92
.LBB44_642:
	ds_read_b64 v[91:92], v94
.LBB44_643:
	v_cmp_ne_u32_e32 vcc, 21, v0
	s_and_saveexec_b64 s[8:9], vcc
	s_cbranch_execz .LBB44_647
; %bb.644:
	s_mov_b32 s10, 0
	v_add_u32_e32 v96, 0x178, v93
	v_add3_u32 v97, v93, s10, 8
	s_mov_b64 s[10:11], 0
	v_mov_b32_e32 v98, v0
.LBB44_645:                             ; =>This Inner Loop Header: Depth=1
	buffer_load_dword v99, v97, s[0:3], 0 offen
	buffer_load_dword v100, v97, s[0:3], 0 offen offset:4
	ds_read_b64 v[101:102], v96
	v_add_u32_e32 v98, 1, v98
	v_cmp_lt_u32_e32 vcc, 20, v98
	v_add_u32_e32 v96, 8, v96
	s_or_b64 s[10:11], vcc, s[10:11]
	v_add_u32_e32 v97, 8, v97
	s_waitcnt vmcnt(0) lgkmcnt(0)
	v_fma_f64 v[91:92], v[99:100], v[101:102], v[91:92]
	s_andn2_b64 exec, exec, s[10:11]
	s_cbranch_execnz .LBB44_645
; %bb.646:
	s_or_b64 exec, exec, s[10:11]
.LBB44_647:
	s_or_b64 exec, exec, s[8:9]
	v_mov_b32_e32 v96, 0
	ds_read_b64 v[96:97], v96 offset:176
	s_waitcnt lgkmcnt(0)
	v_mul_f64 v[91:92], v[91:92], v[96:97]
	buffer_store_dword v92, off, s[0:3], 0 offset:180
	buffer_store_dword v91, off, s[0:3], 0 offset:176
.LBB44_648:
	s_or_b64 exec, exec, s[6:7]
	buffer_load_dword v91, off, s[0:3], 0 offset:184
	buffer_load_dword v92, off, s[0:3], 0 offset:188
	v_cmp_gt_u32_e32 vcc, 23, v0
	s_waitcnt vmcnt(0)
	ds_write_b64 v94, v[91:92]
	s_waitcnt lgkmcnt(0)
	; wave barrier
	s_and_saveexec_b64 s[6:7], vcc
	s_cbranch_execz .LBB44_658
; %bb.649:
	s_and_b64 vcc, exec, s[4:5]
	s_cbranch_vccnz .LBB44_651
; %bb.650:
	buffer_load_dword v91, v95, s[0:3], 0 offen
	buffer_load_dword v92, v95, s[0:3], 0 offen offset:4
	ds_read_b64 v[96:97], v94
	s_waitcnt vmcnt(0) lgkmcnt(0)
	v_mul_f64 v[91:92], v[91:92], v[96:97]
	s_cbranch_execz .LBB44_652
	s_branch .LBB44_653
.LBB44_651:
                                        ; implicit-def: $vgpr91_vgpr92
.LBB44_652:
	ds_read_b64 v[91:92], v94
.LBB44_653:
	v_cmp_ne_u32_e32 vcc, 22, v0
	s_and_saveexec_b64 s[8:9], vcc
	s_cbranch_execz .LBB44_657
; %bb.654:
	s_mov_b32 s10, 0
	v_add_u32_e32 v96, 0x178, v93
	v_add3_u32 v97, v93, s10, 8
	s_mov_b64 s[10:11], 0
	v_mov_b32_e32 v98, v0
.LBB44_655:                             ; =>This Inner Loop Header: Depth=1
	buffer_load_dword v99, v97, s[0:3], 0 offen
	buffer_load_dword v100, v97, s[0:3], 0 offen offset:4
	ds_read_b64 v[101:102], v96
	v_add_u32_e32 v98, 1, v98
	v_cmp_lt_u32_e32 vcc, 21, v98
	v_add_u32_e32 v96, 8, v96
	s_or_b64 s[10:11], vcc, s[10:11]
	v_add_u32_e32 v97, 8, v97
	s_waitcnt vmcnt(0) lgkmcnt(0)
	v_fma_f64 v[91:92], v[99:100], v[101:102], v[91:92]
	s_andn2_b64 exec, exec, s[10:11]
	s_cbranch_execnz .LBB44_655
; %bb.656:
	s_or_b64 exec, exec, s[10:11]
.LBB44_657:
	s_or_b64 exec, exec, s[8:9]
	v_mov_b32_e32 v96, 0
	ds_read_b64 v[96:97], v96 offset:184
	s_waitcnt lgkmcnt(0)
	v_mul_f64 v[91:92], v[91:92], v[96:97]
	buffer_store_dword v92, off, s[0:3], 0 offset:188
	buffer_store_dword v91, off, s[0:3], 0 offset:184
.LBB44_658:
	s_or_b64 exec, exec, s[6:7]
	buffer_load_dword v91, off, s[0:3], 0 offset:192
	buffer_load_dword v92, off, s[0:3], 0 offset:196
	v_cmp_gt_u32_e32 vcc, 24, v0
	s_waitcnt vmcnt(0)
	ds_write_b64 v94, v[91:92]
	s_waitcnt lgkmcnt(0)
	; wave barrier
	s_and_saveexec_b64 s[6:7], vcc
	s_cbranch_execz .LBB44_668
; %bb.659:
	s_and_b64 vcc, exec, s[4:5]
	s_cbranch_vccnz .LBB44_661
; %bb.660:
	buffer_load_dword v91, v95, s[0:3], 0 offen
	buffer_load_dword v92, v95, s[0:3], 0 offen offset:4
	ds_read_b64 v[96:97], v94
	s_waitcnt vmcnt(0) lgkmcnt(0)
	v_mul_f64 v[91:92], v[91:92], v[96:97]
	s_cbranch_execz .LBB44_662
	s_branch .LBB44_663
.LBB44_661:
                                        ; implicit-def: $vgpr91_vgpr92
.LBB44_662:
	ds_read_b64 v[91:92], v94
.LBB44_663:
	v_cmp_ne_u32_e32 vcc, 23, v0
	s_and_saveexec_b64 s[8:9], vcc
	s_cbranch_execz .LBB44_667
; %bb.664:
	s_mov_b32 s10, 0
	v_add_u32_e32 v96, 0x178, v93
	v_add3_u32 v97, v93, s10, 8
	s_mov_b64 s[10:11], 0
	v_mov_b32_e32 v98, v0
.LBB44_665:                             ; =>This Inner Loop Header: Depth=1
	buffer_load_dword v99, v97, s[0:3], 0 offen
	buffer_load_dword v100, v97, s[0:3], 0 offen offset:4
	ds_read_b64 v[101:102], v96
	v_add_u32_e32 v98, 1, v98
	v_cmp_lt_u32_e32 vcc, 22, v98
	v_add_u32_e32 v96, 8, v96
	s_or_b64 s[10:11], vcc, s[10:11]
	v_add_u32_e32 v97, 8, v97
	s_waitcnt vmcnt(0) lgkmcnt(0)
	v_fma_f64 v[91:92], v[99:100], v[101:102], v[91:92]
	s_andn2_b64 exec, exec, s[10:11]
	s_cbranch_execnz .LBB44_665
; %bb.666:
	s_or_b64 exec, exec, s[10:11]
.LBB44_667:
	s_or_b64 exec, exec, s[8:9]
	v_mov_b32_e32 v96, 0
	ds_read_b64 v[96:97], v96 offset:192
	s_waitcnt lgkmcnt(0)
	v_mul_f64 v[91:92], v[91:92], v[96:97]
	buffer_store_dword v92, off, s[0:3], 0 offset:196
	buffer_store_dword v91, off, s[0:3], 0 offset:192
.LBB44_668:
	s_or_b64 exec, exec, s[6:7]
	buffer_load_dword v91, off, s[0:3], 0 offset:200
	buffer_load_dword v92, off, s[0:3], 0 offset:204
	v_cmp_gt_u32_e32 vcc, 25, v0
	s_waitcnt vmcnt(0)
	ds_write_b64 v94, v[91:92]
	s_waitcnt lgkmcnt(0)
	; wave barrier
	s_and_saveexec_b64 s[6:7], vcc
	s_cbranch_execz .LBB44_678
; %bb.669:
	s_and_b64 vcc, exec, s[4:5]
	s_cbranch_vccnz .LBB44_671
; %bb.670:
	buffer_load_dword v91, v95, s[0:3], 0 offen
	buffer_load_dword v92, v95, s[0:3], 0 offen offset:4
	ds_read_b64 v[96:97], v94
	s_waitcnt vmcnt(0) lgkmcnt(0)
	v_mul_f64 v[91:92], v[91:92], v[96:97]
	s_cbranch_execz .LBB44_672
	s_branch .LBB44_673
.LBB44_671:
                                        ; implicit-def: $vgpr91_vgpr92
.LBB44_672:
	ds_read_b64 v[91:92], v94
.LBB44_673:
	v_cmp_ne_u32_e32 vcc, 24, v0
	s_and_saveexec_b64 s[8:9], vcc
	s_cbranch_execz .LBB44_677
; %bb.674:
	s_mov_b32 s10, 0
	v_add_u32_e32 v96, 0x178, v93
	v_add3_u32 v97, v93, s10, 8
	s_mov_b64 s[10:11], 0
	v_mov_b32_e32 v98, v0
.LBB44_675:                             ; =>This Inner Loop Header: Depth=1
	buffer_load_dword v99, v97, s[0:3], 0 offen
	buffer_load_dword v100, v97, s[0:3], 0 offen offset:4
	ds_read_b64 v[101:102], v96
	v_add_u32_e32 v98, 1, v98
	v_cmp_lt_u32_e32 vcc, 23, v98
	v_add_u32_e32 v96, 8, v96
	s_or_b64 s[10:11], vcc, s[10:11]
	v_add_u32_e32 v97, 8, v97
	s_waitcnt vmcnt(0) lgkmcnt(0)
	v_fma_f64 v[91:92], v[99:100], v[101:102], v[91:92]
	s_andn2_b64 exec, exec, s[10:11]
	s_cbranch_execnz .LBB44_675
; %bb.676:
	s_or_b64 exec, exec, s[10:11]
.LBB44_677:
	s_or_b64 exec, exec, s[8:9]
	v_mov_b32_e32 v96, 0
	ds_read_b64 v[96:97], v96 offset:200
	s_waitcnt lgkmcnt(0)
	v_mul_f64 v[91:92], v[91:92], v[96:97]
	buffer_store_dword v92, off, s[0:3], 0 offset:204
	buffer_store_dword v91, off, s[0:3], 0 offset:200
.LBB44_678:
	s_or_b64 exec, exec, s[6:7]
	buffer_load_dword v91, off, s[0:3], 0 offset:208
	buffer_load_dword v92, off, s[0:3], 0 offset:212
	v_cmp_gt_u32_e32 vcc, 26, v0
	s_waitcnt vmcnt(0)
	ds_write_b64 v94, v[91:92]
	s_waitcnt lgkmcnt(0)
	; wave barrier
	s_and_saveexec_b64 s[6:7], vcc
	s_cbranch_execz .LBB44_688
; %bb.679:
	s_and_b64 vcc, exec, s[4:5]
	s_cbranch_vccnz .LBB44_681
; %bb.680:
	buffer_load_dword v91, v95, s[0:3], 0 offen
	buffer_load_dword v92, v95, s[0:3], 0 offen offset:4
	ds_read_b64 v[96:97], v94
	s_waitcnt vmcnt(0) lgkmcnt(0)
	v_mul_f64 v[91:92], v[91:92], v[96:97]
	s_cbranch_execz .LBB44_682
	s_branch .LBB44_683
.LBB44_681:
                                        ; implicit-def: $vgpr91_vgpr92
.LBB44_682:
	ds_read_b64 v[91:92], v94
.LBB44_683:
	v_cmp_ne_u32_e32 vcc, 25, v0
	s_and_saveexec_b64 s[8:9], vcc
	s_cbranch_execz .LBB44_687
; %bb.684:
	s_mov_b32 s10, 0
	v_add_u32_e32 v96, 0x178, v93
	v_add3_u32 v97, v93, s10, 8
	s_mov_b64 s[10:11], 0
	v_mov_b32_e32 v98, v0
.LBB44_685:                             ; =>This Inner Loop Header: Depth=1
	buffer_load_dword v99, v97, s[0:3], 0 offen
	buffer_load_dword v100, v97, s[0:3], 0 offen offset:4
	ds_read_b64 v[101:102], v96
	v_add_u32_e32 v98, 1, v98
	v_cmp_lt_u32_e32 vcc, 24, v98
	v_add_u32_e32 v96, 8, v96
	s_or_b64 s[10:11], vcc, s[10:11]
	v_add_u32_e32 v97, 8, v97
	s_waitcnt vmcnt(0) lgkmcnt(0)
	v_fma_f64 v[91:92], v[99:100], v[101:102], v[91:92]
	s_andn2_b64 exec, exec, s[10:11]
	s_cbranch_execnz .LBB44_685
; %bb.686:
	s_or_b64 exec, exec, s[10:11]
.LBB44_687:
	s_or_b64 exec, exec, s[8:9]
	v_mov_b32_e32 v96, 0
	ds_read_b64 v[96:97], v96 offset:208
	s_waitcnt lgkmcnt(0)
	v_mul_f64 v[91:92], v[91:92], v[96:97]
	buffer_store_dword v92, off, s[0:3], 0 offset:212
	buffer_store_dword v91, off, s[0:3], 0 offset:208
.LBB44_688:
	s_or_b64 exec, exec, s[6:7]
	buffer_load_dword v91, off, s[0:3], 0 offset:216
	buffer_load_dword v92, off, s[0:3], 0 offset:220
	v_cmp_gt_u32_e32 vcc, 27, v0
	s_waitcnt vmcnt(0)
	ds_write_b64 v94, v[91:92]
	s_waitcnt lgkmcnt(0)
	; wave barrier
	s_and_saveexec_b64 s[6:7], vcc
	s_cbranch_execz .LBB44_698
; %bb.689:
	s_and_b64 vcc, exec, s[4:5]
	s_cbranch_vccnz .LBB44_691
; %bb.690:
	buffer_load_dword v91, v95, s[0:3], 0 offen
	buffer_load_dword v92, v95, s[0:3], 0 offen offset:4
	ds_read_b64 v[96:97], v94
	s_waitcnt vmcnt(0) lgkmcnt(0)
	v_mul_f64 v[91:92], v[91:92], v[96:97]
	s_cbranch_execz .LBB44_692
	s_branch .LBB44_693
.LBB44_691:
                                        ; implicit-def: $vgpr91_vgpr92
.LBB44_692:
	ds_read_b64 v[91:92], v94
.LBB44_693:
	v_cmp_ne_u32_e32 vcc, 26, v0
	s_and_saveexec_b64 s[8:9], vcc
	s_cbranch_execz .LBB44_697
; %bb.694:
	s_mov_b32 s10, 0
	v_add_u32_e32 v96, 0x178, v93
	v_add3_u32 v97, v93, s10, 8
	s_mov_b64 s[10:11], 0
	v_mov_b32_e32 v98, v0
.LBB44_695:                             ; =>This Inner Loop Header: Depth=1
	buffer_load_dword v99, v97, s[0:3], 0 offen
	buffer_load_dword v100, v97, s[0:3], 0 offen offset:4
	ds_read_b64 v[101:102], v96
	v_add_u32_e32 v98, 1, v98
	v_cmp_lt_u32_e32 vcc, 25, v98
	v_add_u32_e32 v96, 8, v96
	s_or_b64 s[10:11], vcc, s[10:11]
	v_add_u32_e32 v97, 8, v97
	s_waitcnt vmcnt(0) lgkmcnt(0)
	v_fma_f64 v[91:92], v[99:100], v[101:102], v[91:92]
	s_andn2_b64 exec, exec, s[10:11]
	s_cbranch_execnz .LBB44_695
; %bb.696:
	s_or_b64 exec, exec, s[10:11]
.LBB44_697:
	s_or_b64 exec, exec, s[8:9]
	v_mov_b32_e32 v96, 0
	ds_read_b64 v[96:97], v96 offset:216
	s_waitcnt lgkmcnt(0)
	v_mul_f64 v[91:92], v[91:92], v[96:97]
	buffer_store_dword v92, off, s[0:3], 0 offset:220
	buffer_store_dword v91, off, s[0:3], 0 offset:216
.LBB44_698:
	s_or_b64 exec, exec, s[6:7]
	buffer_load_dword v91, off, s[0:3], 0 offset:224
	buffer_load_dword v92, off, s[0:3], 0 offset:228
	v_cmp_gt_u32_e32 vcc, 28, v0
	s_waitcnt vmcnt(0)
	ds_write_b64 v94, v[91:92]
	s_waitcnt lgkmcnt(0)
	; wave barrier
	s_and_saveexec_b64 s[6:7], vcc
	s_cbranch_execz .LBB44_708
; %bb.699:
	s_and_b64 vcc, exec, s[4:5]
	s_cbranch_vccnz .LBB44_701
; %bb.700:
	buffer_load_dword v91, v95, s[0:3], 0 offen
	buffer_load_dword v92, v95, s[0:3], 0 offen offset:4
	ds_read_b64 v[96:97], v94
	s_waitcnt vmcnt(0) lgkmcnt(0)
	v_mul_f64 v[91:92], v[91:92], v[96:97]
	s_cbranch_execz .LBB44_702
	s_branch .LBB44_703
.LBB44_701:
                                        ; implicit-def: $vgpr91_vgpr92
.LBB44_702:
	ds_read_b64 v[91:92], v94
.LBB44_703:
	v_cmp_ne_u32_e32 vcc, 27, v0
	s_and_saveexec_b64 s[8:9], vcc
	s_cbranch_execz .LBB44_707
; %bb.704:
	s_mov_b32 s10, 0
	v_add_u32_e32 v96, 0x178, v93
	v_add3_u32 v97, v93, s10, 8
	s_mov_b64 s[10:11], 0
	v_mov_b32_e32 v98, v0
.LBB44_705:                             ; =>This Inner Loop Header: Depth=1
	buffer_load_dword v99, v97, s[0:3], 0 offen
	buffer_load_dword v100, v97, s[0:3], 0 offen offset:4
	ds_read_b64 v[101:102], v96
	v_add_u32_e32 v98, 1, v98
	v_cmp_lt_u32_e32 vcc, 26, v98
	v_add_u32_e32 v96, 8, v96
	s_or_b64 s[10:11], vcc, s[10:11]
	v_add_u32_e32 v97, 8, v97
	s_waitcnt vmcnt(0) lgkmcnt(0)
	v_fma_f64 v[91:92], v[99:100], v[101:102], v[91:92]
	s_andn2_b64 exec, exec, s[10:11]
	s_cbranch_execnz .LBB44_705
; %bb.706:
	s_or_b64 exec, exec, s[10:11]
.LBB44_707:
	s_or_b64 exec, exec, s[8:9]
	v_mov_b32_e32 v96, 0
	ds_read_b64 v[96:97], v96 offset:224
	s_waitcnt lgkmcnt(0)
	v_mul_f64 v[91:92], v[91:92], v[96:97]
	buffer_store_dword v92, off, s[0:3], 0 offset:228
	buffer_store_dword v91, off, s[0:3], 0 offset:224
.LBB44_708:
	s_or_b64 exec, exec, s[6:7]
	buffer_load_dword v91, off, s[0:3], 0 offset:232
	buffer_load_dword v92, off, s[0:3], 0 offset:236
	v_cmp_gt_u32_e32 vcc, 29, v0
	s_waitcnt vmcnt(0)
	ds_write_b64 v94, v[91:92]
	s_waitcnt lgkmcnt(0)
	; wave barrier
	s_and_saveexec_b64 s[6:7], vcc
	s_cbranch_execz .LBB44_718
; %bb.709:
	s_and_b64 vcc, exec, s[4:5]
	s_cbranch_vccnz .LBB44_711
; %bb.710:
	buffer_load_dword v91, v95, s[0:3], 0 offen
	buffer_load_dword v92, v95, s[0:3], 0 offen offset:4
	ds_read_b64 v[96:97], v94
	s_waitcnt vmcnt(0) lgkmcnt(0)
	v_mul_f64 v[91:92], v[91:92], v[96:97]
	s_cbranch_execz .LBB44_712
	s_branch .LBB44_713
.LBB44_711:
                                        ; implicit-def: $vgpr91_vgpr92
.LBB44_712:
	ds_read_b64 v[91:92], v94
.LBB44_713:
	v_cmp_ne_u32_e32 vcc, 28, v0
	s_and_saveexec_b64 s[8:9], vcc
	s_cbranch_execz .LBB44_717
; %bb.714:
	s_mov_b32 s10, 0
	v_add_u32_e32 v96, 0x178, v93
	v_add3_u32 v97, v93, s10, 8
	s_mov_b64 s[10:11], 0
	v_mov_b32_e32 v98, v0
.LBB44_715:                             ; =>This Inner Loop Header: Depth=1
	buffer_load_dword v99, v97, s[0:3], 0 offen
	buffer_load_dword v100, v97, s[0:3], 0 offen offset:4
	ds_read_b64 v[101:102], v96
	v_add_u32_e32 v98, 1, v98
	v_cmp_lt_u32_e32 vcc, 27, v98
	v_add_u32_e32 v96, 8, v96
	s_or_b64 s[10:11], vcc, s[10:11]
	v_add_u32_e32 v97, 8, v97
	s_waitcnt vmcnt(0) lgkmcnt(0)
	v_fma_f64 v[91:92], v[99:100], v[101:102], v[91:92]
	s_andn2_b64 exec, exec, s[10:11]
	s_cbranch_execnz .LBB44_715
; %bb.716:
	s_or_b64 exec, exec, s[10:11]
.LBB44_717:
	s_or_b64 exec, exec, s[8:9]
	v_mov_b32_e32 v96, 0
	ds_read_b64 v[96:97], v96 offset:232
	s_waitcnt lgkmcnt(0)
	v_mul_f64 v[91:92], v[91:92], v[96:97]
	buffer_store_dword v92, off, s[0:3], 0 offset:236
	buffer_store_dword v91, off, s[0:3], 0 offset:232
.LBB44_718:
	s_or_b64 exec, exec, s[6:7]
	buffer_load_dword v91, off, s[0:3], 0 offset:240
	buffer_load_dword v92, off, s[0:3], 0 offset:244
	v_cmp_gt_u32_e32 vcc, 30, v0
	s_waitcnt vmcnt(0)
	ds_write_b64 v94, v[91:92]
	s_waitcnt lgkmcnt(0)
	; wave barrier
	s_and_saveexec_b64 s[6:7], vcc
	s_cbranch_execz .LBB44_728
; %bb.719:
	s_and_b64 vcc, exec, s[4:5]
	s_cbranch_vccnz .LBB44_721
; %bb.720:
	buffer_load_dword v91, v95, s[0:3], 0 offen
	buffer_load_dword v92, v95, s[0:3], 0 offen offset:4
	ds_read_b64 v[96:97], v94
	s_waitcnt vmcnt(0) lgkmcnt(0)
	v_mul_f64 v[91:92], v[91:92], v[96:97]
	s_cbranch_execz .LBB44_722
	s_branch .LBB44_723
.LBB44_721:
                                        ; implicit-def: $vgpr91_vgpr92
.LBB44_722:
	ds_read_b64 v[91:92], v94
.LBB44_723:
	v_cmp_ne_u32_e32 vcc, 29, v0
	s_and_saveexec_b64 s[8:9], vcc
	s_cbranch_execz .LBB44_727
; %bb.724:
	s_mov_b32 s10, 0
	v_add_u32_e32 v96, 0x178, v93
	v_add3_u32 v97, v93, s10, 8
	s_mov_b64 s[10:11], 0
	v_mov_b32_e32 v98, v0
.LBB44_725:                             ; =>This Inner Loop Header: Depth=1
	buffer_load_dword v99, v97, s[0:3], 0 offen
	buffer_load_dword v100, v97, s[0:3], 0 offen offset:4
	ds_read_b64 v[101:102], v96
	v_add_u32_e32 v98, 1, v98
	v_cmp_lt_u32_e32 vcc, 28, v98
	v_add_u32_e32 v96, 8, v96
	s_or_b64 s[10:11], vcc, s[10:11]
	v_add_u32_e32 v97, 8, v97
	s_waitcnt vmcnt(0) lgkmcnt(0)
	v_fma_f64 v[91:92], v[99:100], v[101:102], v[91:92]
	s_andn2_b64 exec, exec, s[10:11]
	s_cbranch_execnz .LBB44_725
; %bb.726:
	s_or_b64 exec, exec, s[10:11]
.LBB44_727:
	s_or_b64 exec, exec, s[8:9]
	v_mov_b32_e32 v96, 0
	ds_read_b64 v[96:97], v96 offset:240
	s_waitcnt lgkmcnt(0)
	v_mul_f64 v[91:92], v[91:92], v[96:97]
	buffer_store_dword v92, off, s[0:3], 0 offset:244
	buffer_store_dword v91, off, s[0:3], 0 offset:240
.LBB44_728:
	s_or_b64 exec, exec, s[6:7]
	buffer_load_dword v91, off, s[0:3], 0 offset:248
	buffer_load_dword v92, off, s[0:3], 0 offset:252
	v_cmp_gt_u32_e32 vcc, 31, v0
	s_waitcnt vmcnt(0)
	ds_write_b64 v94, v[91:92]
	s_waitcnt lgkmcnt(0)
	; wave barrier
	s_and_saveexec_b64 s[6:7], vcc
	s_cbranch_execz .LBB44_738
; %bb.729:
	s_and_b64 vcc, exec, s[4:5]
	s_cbranch_vccnz .LBB44_731
; %bb.730:
	buffer_load_dword v91, v95, s[0:3], 0 offen
	buffer_load_dword v92, v95, s[0:3], 0 offen offset:4
	ds_read_b64 v[96:97], v94
	s_waitcnt vmcnt(0) lgkmcnt(0)
	v_mul_f64 v[91:92], v[91:92], v[96:97]
	s_cbranch_execz .LBB44_732
	s_branch .LBB44_733
.LBB44_731:
                                        ; implicit-def: $vgpr91_vgpr92
.LBB44_732:
	ds_read_b64 v[91:92], v94
.LBB44_733:
	v_cmp_ne_u32_e32 vcc, 30, v0
	s_and_saveexec_b64 s[8:9], vcc
	s_cbranch_execz .LBB44_737
; %bb.734:
	s_mov_b32 s10, 0
	v_add_u32_e32 v96, 0x178, v93
	v_add3_u32 v97, v93, s10, 8
	s_mov_b64 s[10:11], 0
	v_mov_b32_e32 v98, v0
.LBB44_735:                             ; =>This Inner Loop Header: Depth=1
	buffer_load_dword v99, v97, s[0:3], 0 offen
	buffer_load_dword v100, v97, s[0:3], 0 offen offset:4
	ds_read_b64 v[101:102], v96
	v_add_u32_e32 v98, 1, v98
	v_cmp_lt_u32_e32 vcc, 29, v98
	v_add_u32_e32 v96, 8, v96
	s_or_b64 s[10:11], vcc, s[10:11]
	v_add_u32_e32 v97, 8, v97
	s_waitcnt vmcnt(0) lgkmcnt(0)
	v_fma_f64 v[91:92], v[99:100], v[101:102], v[91:92]
	s_andn2_b64 exec, exec, s[10:11]
	s_cbranch_execnz .LBB44_735
; %bb.736:
	s_or_b64 exec, exec, s[10:11]
.LBB44_737:
	s_or_b64 exec, exec, s[8:9]
	v_mov_b32_e32 v96, 0
	ds_read_b64 v[96:97], v96 offset:248
	s_waitcnt lgkmcnt(0)
	v_mul_f64 v[91:92], v[91:92], v[96:97]
	buffer_store_dword v92, off, s[0:3], 0 offset:252
	buffer_store_dword v91, off, s[0:3], 0 offset:248
.LBB44_738:
	s_or_b64 exec, exec, s[6:7]
	buffer_load_dword v91, off, s[0:3], 0 offset:256
	buffer_load_dword v92, off, s[0:3], 0 offset:260
	v_cmp_gt_u32_e32 vcc, 32, v0
	s_waitcnt vmcnt(0)
	ds_write_b64 v94, v[91:92]
	s_waitcnt lgkmcnt(0)
	; wave barrier
	s_and_saveexec_b64 s[6:7], vcc
	s_cbranch_execz .LBB44_748
; %bb.739:
	s_and_b64 vcc, exec, s[4:5]
	s_cbranch_vccnz .LBB44_741
; %bb.740:
	buffer_load_dword v91, v95, s[0:3], 0 offen
	buffer_load_dword v92, v95, s[0:3], 0 offen offset:4
	ds_read_b64 v[96:97], v94
	s_waitcnt vmcnt(0) lgkmcnt(0)
	v_mul_f64 v[91:92], v[91:92], v[96:97]
	s_cbranch_execz .LBB44_742
	s_branch .LBB44_743
.LBB44_741:
                                        ; implicit-def: $vgpr91_vgpr92
.LBB44_742:
	ds_read_b64 v[91:92], v94
.LBB44_743:
	v_cmp_ne_u32_e32 vcc, 31, v0
	s_and_saveexec_b64 s[8:9], vcc
	s_cbranch_execz .LBB44_747
; %bb.744:
	s_mov_b32 s10, 0
	v_add_u32_e32 v96, 0x178, v93
	v_add3_u32 v97, v93, s10, 8
	s_mov_b64 s[10:11], 0
	v_mov_b32_e32 v98, v0
.LBB44_745:                             ; =>This Inner Loop Header: Depth=1
	buffer_load_dword v99, v97, s[0:3], 0 offen
	buffer_load_dword v100, v97, s[0:3], 0 offen offset:4
	ds_read_b64 v[101:102], v96
	v_add_u32_e32 v98, 1, v98
	v_cmp_lt_u32_e32 vcc, 30, v98
	v_add_u32_e32 v96, 8, v96
	s_or_b64 s[10:11], vcc, s[10:11]
	v_add_u32_e32 v97, 8, v97
	s_waitcnt vmcnt(0) lgkmcnt(0)
	v_fma_f64 v[91:92], v[99:100], v[101:102], v[91:92]
	s_andn2_b64 exec, exec, s[10:11]
	s_cbranch_execnz .LBB44_745
; %bb.746:
	s_or_b64 exec, exec, s[10:11]
.LBB44_747:
	s_or_b64 exec, exec, s[8:9]
	v_mov_b32_e32 v96, 0
	ds_read_b64 v[96:97], v96 offset:256
	s_waitcnt lgkmcnt(0)
	v_mul_f64 v[91:92], v[91:92], v[96:97]
	buffer_store_dword v92, off, s[0:3], 0 offset:260
	buffer_store_dword v91, off, s[0:3], 0 offset:256
.LBB44_748:
	s_or_b64 exec, exec, s[6:7]
	buffer_load_dword v91, off, s[0:3], 0 offset:264
	buffer_load_dword v92, off, s[0:3], 0 offset:268
	v_cmp_gt_u32_e32 vcc, 33, v0
	s_waitcnt vmcnt(0)
	ds_write_b64 v94, v[91:92]
	s_waitcnt lgkmcnt(0)
	; wave barrier
	s_and_saveexec_b64 s[6:7], vcc
	s_cbranch_execz .LBB44_758
; %bb.749:
	s_and_b64 vcc, exec, s[4:5]
	s_cbranch_vccnz .LBB44_751
; %bb.750:
	buffer_load_dword v91, v95, s[0:3], 0 offen
	buffer_load_dword v92, v95, s[0:3], 0 offen offset:4
	ds_read_b64 v[96:97], v94
	s_waitcnt vmcnt(0) lgkmcnt(0)
	v_mul_f64 v[91:92], v[91:92], v[96:97]
	s_cbranch_execz .LBB44_752
	s_branch .LBB44_753
.LBB44_751:
                                        ; implicit-def: $vgpr91_vgpr92
.LBB44_752:
	ds_read_b64 v[91:92], v94
.LBB44_753:
	v_cmp_ne_u32_e32 vcc, 32, v0
	s_and_saveexec_b64 s[8:9], vcc
	s_cbranch_execz .LBB44_757
; %bb.754:
	s_mov_b32 s10, 0
	v_add_u32_e32 v96, 0x178, v93
	v_add3_u32 v97, v93, s10, 8
	s_mov_b64 s[10:11], 0
	v_mov_b32_e32 v98, v0
.LBB44_755:                             ; =>This Inner Loop Header: Depth=1
	buffer_load_dword v99, v97, s[0:3], 0 offen
	buffer_load_dword v100, v97, s[0:3], 0 offen offset:4
	ds_read_b64 v[101:102], v96
	v_add_u32_e32 v98, 1, v98
	v_cmp_lt_u32_e32 vcc, 31, v98
	v_add_u32_e32 v96, 8, v96
	s_or_b64 s[10:11], vcc, s[10:11]
	v_add_u32_e32 v97, 8, v97
	s_waitcnt vmcnt(0) lgkmcnt(0)
	v_fma_f64 v[91:92], v[99:100], v[101:102], v[91:92]
	s_andn2_b64 exec, exec, s[10:11]
	s_cbranch_execnz .LBB44_755
; %bb.756:
	s_or_b64 exec, exec, s[10:11]
.LBB44_757:
	s_or_b64 exec, exec, s[8:9]
	v_mov_b32_e32 v96, 0
	ds_read_b64 v[96:97], v96 offset:264
	s_waitcnt lgkmcnt(0)
	v_mul_f64 v[91:92], v[91:92], v[96:97]
	buffer_store_dword v92, off, s[0:3], 0 offset:268
	buffer_store_dword v91, off, s[0:3], 0 offset:264
.LBB44_758:
	s_or_b64 exec, exec, s[6:7]
	buffer_load_dword v91, off, s[0:3], 0 offset:272
	buffer_load_dword v92, off, s[0:3], 0 offset:276
	v_cmp_gt_u32_e32 vcc, 34, v0
	s_waitcnt vmcnt(0)
	ds_write_b64 v94, v[91:92]
	s_waitcnt lgkmcnt(0)
	; wave barrier
	s_and_saveexec_b64 s[6:7], vcc
	s_cbranch_execz .LBB44_768
; %bb.759:
	s_and_b64 vcc, exec, s[4:5]
	s_cbranch_vccnz .LBB44_761
; %bb.760:
	buffer_load_dword v91, v95, s[0:3], 0 offen
	buffer_load_dword v92, v95, s[0:3], 0 offen offset:4
	ds_read_b64 v[96:97], v94
	s_waitcnt vmcnt(0) lgkmcnt(0)
	v_mul_f64 v[91:92], v[91:92], v[96:97]
	s_cbranch_execz .LBB44_762
	s_branch .LBB44_763
.LBB44_761:
                                        ; implicit-def: $vgpr91_vgpr92
.LBB44_762:
	ds_read_b64 v[91:92], v94
.LBB44_763:
	v_cmp_ne_u32_e32 vcc, 33, v0
	s_and_saveexec_b64 s[8:9], vcc
	s_cbranch_execz .LBB44_767
; %bb.764:
	s_mov_b32 s10, 0
	v_add_u32_e32 v96, 0x178, v93
	v_add3_u32 v97, v93, s10, 8
	s_mov_b64 s[10:11], 0
	v_mov_b32_e32 v98, v0
.LBB44_765:                             ; =>This Inner Loop Header: Depth=1
	buffer_load_dword v99, v97, s[0:3], 0 offen
	buffer_load_dword v100, v97, s[0:3], 0 offen offset:4
	ds_read_b64 v[101:102], v96
	v_add_u32_e32 v98, 1, v98
	v_cmp_lt_u32_e32 vcc, 32, v98
	v_add_u32_e32 v96, 8, v96
	s_or_b64 s[10:11], vcc, s[10:11]
	v_add_u32_e32 v97, 8, v97
	s_waitcnt vmcnt(0) lgkmcnt(0)
	v_fma_f64 v[91:92], v[99:100], v[101:102], v[91:92]
	s_andn2_b64 exec, exec, s[10:11]
	s_cbranch_execnz .LBB44_765
; %bb.766:
	s_or_b64 exec, exec, s[10:11]
.LBB44_767:
	s_or_b64 exec, exec, s[8:9]
	v_mov_b32_e32 v96, 0
	ds_read_b64 v[96:97], v96 offset:272
	s_waitcnt lgkmcnt(0)
	v_mul_f64 v[91:92], v[91:92], v[96:97]
	buffer_store_dword v92, off, s[0:3], 0 offset:276
	buffer_store_dword v91, off, s[0:3], 0 offset:272
.LBB44_768:
	s_or_b64 exec, exec, s[6:7]
	buffer_load_dword v91, off, s[0:3], 0 offset:280
	buffer_load_dword v92, off, s[0:3], 0 offset:284
	v_cmp_gt_u32_e32 vcc, 35, v0
	s_waitcnt vmcnt(0)
	ds_write_b64 v94, v[91:92]
	s_waitcnt lgkmcnt(0)
	; wave barrier
	s_and_saveexec_b64 s[6:7], vcc
	s_cbranch_execz .LBB44_778
; %bb.769:
	s_and_b64 vcc, exec, s[4:5]
	s_cbranch_vccnz .LBB44_771
; %bb.770:
	buffer_load_dword v91, v95, s[0:3], 0 offen
	buffer_load_dword v92, v95, s[0:3], 0 offen offset:4
	ds_read_b64 v[96:97], v94
	s_waitcnt vmcnt(0) lgkmcnt(0)
	v_mul_f64 v[91:92], v[91:92], v[96:97]
	s_cbranch_execz .LBB44_772
	s_branch .LBB44_773
.LBB44_771:
                                        ; implicit-def: $vgpr91_vgpr92
.LBB44_772:
	ds_read_b64 v[91:92], v94
.LBB44_773:
	v_cmp_ne_u32_e32 vcc, 34, v0
	s_and_saveexec_b64 s[8:9], vcc
	s_cbranch_execz .LBB44_777
; %bb.774:
	s_mov_b32 s10, 0
	v_add_u32_e32 v96, 0x178, v93
	v_add3_u32 v97, v93, s10, 8
	s_mov_b64 s[10:11], 0
	v_mov_b32_e32 v98, v0
.LBB44_775:                             ; =>This Inner Loop Header: Depth=1
	buffer_load_dword v99, v97, s[0:3], 0 offen
	buffer_load_dword v100, v97, s[0:3], 0 offen offset:4
	ds_read_b64 v[101:102], v96
	v_add_u32_e32 v98, 1, v98
	v_cmp_lt_u32_e32 vcc, 33, v98
	v_add_u32_e32 v96, 8, v96
	s_or_b64 s[10:11], vcc, s[10:11]
	v_add_u32_e32 v97, 8, v97
	s_waitcnt vmcnt(0) lgkmcnt(0)
	v_fma_f64 v[91:92], v[99:100], v[101:102], v[91:92]
	s_andn2_b64 exec, exec, s[10:11]
	s_cbranch_execnz .LBB44_775
; %bb.776:
	s_or_b64 exec, exec, s[10:11]
.LBB44_777:
	s_or_b64 exec, exec, s[8:9]
	v_mov_b32_e32 v96, 0
	ds_read_b64 v[96:97], v96 offset:280
	s_waitcnt lgkmcnt(0)
	v_mul_f64 v[91:92], v[91:92], v[96:97]
	buffer_store_dword v92, off, s[0:3], 0 offset:284
	buffer_store_dword v91, off, s[0:3], 0 offset:280
.LBB44_778:
	s_or_b64 exec, exec, s[6:7]
	buffer_load_dword v91, off, s[0:3], 0 offset:288
	buffer_load_dword v92, off, s[0:3], 0 offset:292
	v_cmp_gt_u32_e32 vcc, 36, v0
	s_waitcnt vmcnt(0)
	ds_write_b64 v94, v[91:92]
	s_waitcnt lgkmcnt(0)
	; wave barrier
	s_and_saveexec_b64 s[6:7], vcc
	s_cbranch_execz .LBB44_788
; %bb.779:
	s_and_b64 vcc, exec, s[4:5]
	s_cbranch_vccnz .LBB44_781
; %bb.780:
	buffer_load_dword v91, v95, s[0:3], 0 offen
	buffer_load_dword v92, v95, s[0:3], 0 offen offset:4
	ds_read_b64 v[96:97], v94
	s_waitcnt vmcnt(0) lgkmcnt(0)
	v_mul_f64 v[91:92], v[91:92], v[96:97]
	s_cbranch_execz .LBB44_782
	s_branch .LBB44_783
.LBB44_781:
                                        ; implicit-def: $vgpr91_vgpr92
.LBB44_782:
	ds_read_b64 v[91:92], v94
.LBB44_783:
	v_cmp_ne_u32_e32 vcc, 35, v0
	s_and_saveexec_b64 s[8:9], vcc
	s_cbranch_execz .LBB44_787
; %bb.784:
	s_mov_b32 s10, 0
	v_add_u32_e32 v96, 0x178, v93
	v_add3_u32 v97, v93, s10, 8
	s_mov_b64 s[10:11], 0
	v_mov_b32_e32 v98, v0
.LBB44_785:                             ; =>This Inner Loop Header: Depth=1
	buffer_load_dword v99, v97, s[0:3], 0 offen
	buffer_load_dword v100, v97, s[0:3], 0 offen offset:4
	ds_read_b64 v[101:102], v96
	v_add_u32_e32 v98, 1, v98
	v_cmp_lt_u32_e32 vcc, 34, v98
	v_add_u32_e32 v96, 8, v96
	s_or_b64 s[10:11], vcc, s[10:11]
	v_add_u32_e32 v97, 8, v97
	s_waitcnt vmcnt(0) lgkmcnt(0)
	v_fma_f64 v[91:92], v[99:100], v[101:102], v[91:92]
	s_andn2_b64 exec, exec, s[10:11]
	s_cbranch_execnz .LBB44_785
; %bb.786:
	s_or_b64 exec, exec, s[10:11]
.LBB44_787:
	s_or_b64 exec, exec, s[8:9]
	v_mov_b32_e32 v96, 0
	ds_read_b64 v[96:97], v96 offset:288
	s_waitcnt lgkmcnt(0)
	v_mul_f64 v[91:92], v[91:92], v[96:97]
	buffer_store_dword v92, off, s[0:3], 0 offset:292
	buffer_store_dword v91, off, s[0:3], 0 offset:288
.LBB44_788:
	s_or_b64 exec, exec, s[6:7]
	buffer_load_dword v91, off, s[0:3], 0 offset:296
	buffer_load_dword v92, off, s[0:3], 0 offset:300
	v_cmp_gt_u32_e32 vcc, 37, v0
	s_waitcnt vmcnt(0)
	ds_write_b64 v94, v[91:92]
	s_waitcnt lgkmcnt(0)
	; wave barrier
	s_and_saveexec_b64 s[6:7], vcc
	s_cbranch_execz .LBB44_798
; %bb.789:
	s_and_b64 vcc, exec, s[4:5]
	s_cbranch_vccnz .LBB44_791
; %bb.790:
	buffer_load_dword v91, v95, s[0:3], 0 offen
	buffer_load_dword v92, v95, s[0:3], 0 offen offset:4
	ds_read_b64 v[96:97], v94
	s_waitcnt vmcnt(0) lgkmcnt(0)
	v_mul_f64 v[91:92], v[91:92], v[96:97]
	s_cbranch_execz .LBB44_792
	s_branch .LBB44_793
.LBB44_791:
                                        ; implicit-def: $vgpr91_vgpr92
.LBB44_792:
	ds_read_b64 v[91:92], v94
.LBB44_793:
	v_cmp_ne_u32_e32 vcc, 36, v0
	s_and_saveexec_b64 s[8:9], vcc
	s_cbranch_execz .LBB44_797
; %bb.794:
	s_mov_b32 s10, 0
	v_add_u32_e32 v96, 0x178, v93
	v_add3_u32 v97, v93, s10, 8
	s_mov_b64 s[10:11], 0
	v_mov_b32_e32 v98, v0
.LBB44_795:                             ; =>This Inner Loop Header: Depth=1
	buffer_load_dword v99, v97, s[0:3], 0 offen
	buffer_load_dword v100, v97, s[0:3], 0 offen offset:4
	ds_read_b64 v[101:102], v96
	v_add_u32_e32 v98, 1, v98
	v_cmp_lt_u32_e32 vcc, 35, v98
	v_add_u32_e32 v96, 8, v96
	s_or_b64 s[10:11], vcc, s[10:11]
	v_add_u32_e32 v97, 8, v97
	s_waitcnt vmcnt(0) lgkmcnt(0)
	v_fma_f64 v[91:92], v[99:100], v[101:102], v[91:92]
	s_andn2_b64 exec, exec, s[10:11]
	s_cbranch_execnz .LBB44_795
; %bb.796:
	s_or_b64 exec, exec, s[10:11]
.LBB44_797:
	s_or_b64 exec, exec, s[8:9]
	v_mov_b32_e32 v96, 0
	ds_read_b64 v[96:97], v96 offset:296
	s_waitcnt lgkmcnt(0)
	v_mul_f64 v[91:92], v[91:92], v[96:97]
	buffer_store_dword v92, off, s[0:3], 0 offset:300
	buffer_store_dword v91, off, s[0:3], 0 offset:296
.LBB44_798:
	s_or_b64 exec, exec, s[6:7]
	buffer_load_dword v91, off, s[0:3], 0 offset:304
	buffer_load_dword v92, off, s[0:3], 0 offset:308
	v_cmp_gt_u32_e32 vcc, 38, v0
	s_waitcnt vmcnt(0)
	ds_write_b64 v94, v[91:92]
	s_waitcnt lgkmcnt(0)
	; wave barrier
	s_and_saveexec_b64 s[6:7], vcc
	s_cbranch_execz .LBB44_808
; %bb.799:
	s_and_b64 vcc, exec, s[4:5]
	s_cbranch_vccnz .LBB44_801
; %bb.800:
	buffer_load_dword v91, v95, s[0:3], 0 offen
	buffer_load_dword v92, v95, s[0:3], 0 offen offset:4
	ds_read_b64 v[96:97], v94
	s_waitcnt vmcnt(0) lgkmcnt(0)
	v_mul_f64 v[91:92], v[91:92], v[96:97]
	s_cbranch_execz .LBB44_802
	s_branch .LBB44_803
.LBB44_801:
                                        ; implicit-def: $vgpr91_vgpr92
.LBB44_802:
	ds_read_b64 v[91:92], v94
.LBB44_803:
	v_cmp_ne_u32_e32 vcc, 37, v0
	s_and_saveexec_b64 s[8:9], vcc
	s_cbranch_execz .LBB44_807
; %bb.804:
	s_mov_b32 s10, 0
	v_add_u32_e32 v96, 0x178, v93
	v_add3_u32 v97, v93, s10, 8
	s_mov_b64 s[10:11], 0
	v_mov_b32_e32 v98, v0
.LBB44_805:                             ; =>This Inner Loop Header: Depth=1
	buffer_load_dword v99, v97, s[0:3], 0 offen
	buffer_load_dword v100, v97, s[0:3], 0 offen offset:4
	ds_read_b64 v[101:102], v96
	v_add_u32_e32 v98, 1, v98
	v_cmp_lt_u32_e32 vcc, 36, v98
	v_add_u32_e32 v96, 8, v96
	s_or_b64 s[10:11], vcc, s[10:11]
	v_add_u32_e32 v97, 8, v97
	s_waitcnt vmcnt(0) lgkmcnt(0)
	v_fma_f64 v[91:92], v[99:100], v[101:102], v[91:92]
	s_andn2_b64 exec, exec, s[10:11]
	s_cbranch_execnz .LBB44_805
; %bb.806:
	s_or_b64 exec, exec, s[10:11]
.LBB44_807:
	s_or_b64 exec, exec, s[8:9]
	v_mov_b32_e32 v96, 0
	ds_read_b64 v[96:97], v96 offset:304
	s_waitcnt lgkmcnt(0)
	v_mul_f64 v[91:92], v[91:92], v[96:97]
	buffer_store_dword v92, off, s[0:3], 0 offset:308
	buffer_store_dword v91, off, s[0:3], 0 offset:304
.LBB44_808:
	s_or_b64 exec, exec, s[6:7]
	buffer_load_dword v91, off, s[0:3], 0 offset:312
	buffer_load_dword v92, off, s[0:3], 0 offset:316
	v_cmp_gt_u32_e32 vcc, 39, v0
	s_waitcnt vmcnt(0)
	ds_write_b64 v94, v[91:92]
	s_waitcnt lgkmcnt(0)
	; wave barrier
	s_and_saveexec_b64 s[6:7], vcc
	s_cbranch_execz .LBB44_818
; %bb.809:
	s_and_b64 vcc, exec, s[4:5]
	s_cbranch_vccnz .LBB44_811
; %bb.810:
	buffer_load_dword v91, v95, s[0:3], 0 offen
	buffer_load_dword v92, v95, s[0:3], 0 offen offset:4
	ds_read_b64 v[96:97], v94
	s_waitcnt vmcnt(0) lgkmcnt(0)
	v_mul_f64 v[91:92], v[91:92], v[96:97]
	s_cbranch_execz .LBB44_812
	s_branch .LBB44_813
.LBB44_811:
                                        ; implicit-def: $vgpr91_vgpr92
.LBB44_812:
	ds_read_b64 v[91:92], v94
.LBB44_813:
	v_cmp_ne_u32_e32 vcc, 38, v0
	s_and_saveexec_b64 s[8:9], vcc
	s_cbranch_execz .LBB44_817
; %bb.814:
	s_mov_b32 s10, 0
	v_add_u32_e32 v96, 0x178, v93
	v_add3_u32 v97, v93, s10, 8
	s_mov_b64 s[10:11], 0
	v_mov_b32_e32 v98, v0
.LBB44_815:                             ; =>This Inner Loop Header: Depth=1
	buffer_load_dword v99, v97, s[0:3], 0 offen
	buffer_load_dword v100, v97, s[0:3], 0 offen offset:4
	ds_read_b64 v[101:102], v96
	v_add_u32_e32 v98, 1, v98
	v_cmp_lt_u32_e32 vcc, 37, v98
	v_add_u32_e32 v96, 8, v96
	s_or_b64 s[10:11], vcc, s[10:11]
	v_add_u32_e32 v97, 8, v97
	s_waitcnt vmcnt(0) lgkmcnt(0)
	v_fma_f64 v[91:92], v[99:100], v[101:102], v[91:92]
	s_andn2_b64 exec, exec, s[10:11]
	s_cbranch_execnz .LBB44_815
; %bb.816:
	s_or_b64 exec, exec, s[10:11]
.LBB44_817:
	s_or_b64 exec, exec, s[8:9]
	v_mov_b32_e32 v96, 0
	ds_read_b64 v[96:97], v96 offset:312
	s_waitcnt lgkmcnt(0)
	v_mul_f64 v[91:92], v[91:92], v[96:97]
	buffer_store_dword v92, off, s[0:3], 0 offset:316
	buffer_store_dword v91, off, s[0:3], 0 offset:312
.LBB44_818:
	s_or_b64 exec, exec, s[6:7]
	buffer_load_dword v91, off, s[0:3], 0 offset:320
	buffer_load_dword v92, off, s[0:3], 0 offset:324
	v_cmp_gt_u32_e32 vcc, 40, v0
	s_waitcnt vmcnt(0)
	ds_write_b64 v94, v[91:92]
	s_waitcnt lgkmcnt(0)
	; wave barrier
	s_and_saveexec_b64 s[6:7], vcc
	s_cbranch_execz .LBB44_828
; %bb.819:
	s_and_b64 vcc, exec, s[4:5]
	s_cbranch_vccnz .LBB44_821
; %bb.820:
	buffer_load_dword v91, v95, s[0:3], 0 offen
	buffer_load_dword v92, v95, s[0:3], 0 offen offset:4
	ds_read_b64 v[96:97], v94
	s_waitcnt vmcnt(0) lgkmcnt(0)
	v_mul_f64 v[91:92], v[91:92], v[96:97]
	s_cbranch_execz .LBB44_822
	s_branch .LBB44_823
.LBB44_821:
                                        ; implicit-def: $vgpr91_vgpr92
.LBB44_822:
	ds_read_b64 v[91:92], v94
.LBB44_823:
	v_cmp_ne_u32_e32 vcc, 39, v0
	s_and_saveexec_b64 s[8:9], vcc
	s_cbranch_execz .LBB44_827
; %bb.824:
	s_mov_b32 s10, 0
	v_add_u32_e32 v96, 0x178, v93
	v_add3_u32 v97, v93, s10, 8
	s_mov_b64 s[10:11], 0
	v_mov_b32_e32 v98, v0
.LBB44_825:                             ; =>This Inner Loop Header: Depth=1
	buffer_load_dword v99, v97, s[0:3], 0 offen
	buffer_load_dword v100, v97, s[0:3], 0 offen offset:4
	ds_read_b64 v[101:102], v96
	v_add_u32_e32 v98, 1, v98
	v_cmp_lt_u32_e32 vcc, 38, v98
	v_add_u32_e32 v96, 8, v96
	s_or_b64 s[10:11], vcc, s[10:11]
	v_add_u32_e32 v97, 8, v97
	s_waitcnt vmcnt(0) lgkmcnt(0)
	v_fma_f64 v[91:92], v[99:100], v[101:102], v[91:92]
	s_andn2_b64 exec, exec, s[10:11]
	s_cbranch_execnz .LBB44_825
; %bb.826:
	s_or_b64 exec, exec, s[10:11]
.LBB44_827:
	s_or_b64 exec, exec, s[8:9]
	v_mov_b32_e32 v96, 0
	ds_read_b64 v[96:97], v96 offset:320
	s_waitcnt lgkmcnt(0)
	v_mul_f64 v[91:92], v[91:92], v[96:97]
	buffer_store_dword v92, off, s[0:3], 0 offset:324
	buffer_store_dword v91, off, s[0:3], 0 offset:320
.LBB44_828:
	s_or_b64 exec, exec, s[6:7]
	buffer_load_dword v91, off, s[0:3], 0 offset:328
	buffer_load_dword v92, off, s[0:3], 0 offset:332
	v_cmp_gt_u32_e32 vcc, 41, v0
	s_waitcnt vmcnt(0)
	ds_write_b64 v94, v[91:92]
	s_waitcnt lgkmcnt(0)
	; wave barrier
	s_and_saveexec_b64 s[6:7], vcc
	s_cbranch_execz .LBB44_838
; %bb.829:
	s_and_b64 vcc, exec, s[4:5]
	s_cbranch_vccnz .LBB44_831
; %bb.830:
	buffer_load_dword v91, v95, s[0:3], 0 offen
	buffer_load_dword v92, v95, s[0:3], 0 offen offset:4
	ds_read_b64 v[96:97], v94
	s_waitcnt vmcnt(0) lgkmcnt(0)
	v_mul_f64 v[91:92], v[91:92], v[96:97]
	s_cbranch_execz .LBB44_832
	s_branch .LBB44_833
.LBB44_831:
                                        ; implicit-def: $vgpr91_vgpr92
.LBB44_832:
	ds_read_b64 v[91:92], v94
.LBB44_833:
	v_cmp_ne_u32_e32 vcc, 40, v0
	s_and_saveexec_b64 s[8:9], vcc
	s_cbranch_execz .LBB44_837
; %bb.834:
	s_mov_b32 s10, 0
	v_add_u32_e32 v96, 0x178, v93
	v_add3_u32 v97, v93, s10, 8
	s_mov_b64 s[10:11], 0
	v_mov_b32_e32 v98, v0
.LBB44_835:                             ; =>This Inner Loop Header: Depth=1
	buffer_load_dword v99, v97, s[0:3], 0 offen
	buffer_load_dword v100, v97, s[0:3], 0 offen offset:4
	ds_read_b64 v[101:102], v96
	v_add_u32_e32 v98, 1, v98
	v_cmp_lt_u32_e32 vcc, 39, v98
	v_add_u32_e32 v96, 8, v96
	s_or_b64 s[10:11], vcc, s[10:11]
	v_add_u32_e32 v97, 8, v97
	s_waitcnt vmcnt(0) lgkmcnt(0)
	v_fma_f64 v[91:92], v[99:100], v[101:102], v[91:92]
	s_andn2_b64 exec, exec, s[10:11]
	s_cbranch_execnz .LBB44_835
; %bb.836:
	s_or_b64 exec, exec, s[10:11]
.LBB44_837:
	s_or_b64 exec, exec, s[8:9]
	v_mov_b32_e32 v96, 0
	ds_read_b64 v[96:97], v96 offset:328
	s_waitcnt lgkmcnt(0)
	v_mul_f64 v[91:92], v[91:92], v[96:97]
	buffer_store_dword v92, off, s[0:3], 0 offset:332
	buffer_store_dword v91, off, s[0:3], 0 offset:328
.LBB44_838:
	s_or_b64 exec, exec, s[6:7]
	buffer_load_dword v91, off, s[0:3], 0 offset:336
	buffer_load_dword v92, off, s[0:3], 0 offset:340
	v_cmp_gt_u32_e32 vcc, 42, v0
	s_waitcnt vmcnt(0)
	ds_write_b64 v94, v[91:92]
	s_waitcnt lgkmcnt(0)
	; wave barrier
	s_and_saveexec_b64 s[6:7], vcc
	s_cbranch_execz .LBB44_848
; %bb.839:
	s_and_b64 vcc, exec, s[4:5]
	s_cbranch_vccnz .LBB44_841
; %bb.840:
	buffer_load_dword v91, v95, s[0:3], 0 offen
	buffer_load_dword v92, v95, s[0:3], 0 offen offset:4
	ds_read_b64 v[96:97], v94
	s_waitcnt vmcnt(0) lgkmcnt(0)
	v_mul_f64 v[91:92], v[91:92], v[96:97]
	s_cbranch_execz .LBB44_842
	s_branch .LBB44_843
.LBB44_841:
                                        ; implicit-def: $vgpr91_vgpr92
.LBB44_842:
	ds_read_b64 v[91:92], v94
.LBB44_843:
	v_cmp_ne_u32_e32 vcc, 41, v0
	s_and_saveexec_b64 s[8:9], vcc
	s_cbranch_execz .LBB44_847
; %bb.844:
	s_mov_b32 s10, 0
	v_add_u32_e32 v96, 0x178, v93
	v_add3_u32 v97, v93, s10, 8
	s_mov_b64 s[10:11], 0
	v_mov_b32_e32 v98, v0
.LBB44_845:                             ; =>This Inner Loop Header: Depth=1
	buffer_load_dword v99, v97, s[0:3], 0 offen
	buffer_load_dword v100, v97, s[0:3], 0 offen offset:4
	ds_read_b64 v[101:102], v96
	v_add_u32_e32 v98, 1, v98
	v_cmp_lt_u32_e32 vcc, 40, v98
	v_add_u32_e32 v96, 8, v96
	s_or_b64 s[10:11], vcc, s[10:11]
	v_add_u32_e32 v97, 8, v97
	s_waitcnt vmcnt(0) lgkmcnt(0)
	v_fma_f64 v[91:92], v[99:100], v[101:102], v[91:92]
	s_andn2_b64 exec, exec, s[10:11]
	s_cbranch_execnz .LBB44_845
; %bb.846:
	s_or_b64 exec, exec, s[10:11]
.LBB44_847:
	s_or_b64 exec, exec, s[8:9]
	v_mov_b32_e32 v96, 0
	ds_read_b64 v[96:97], v96 offset:336
	s_waitcnt lgkmcnt(0)
	v_mul_f64 v[91:92], v[91:92], v[96:97]
	buffer_store_dword v92, off, s[0:3], 0 offset:340
	buffer_store_dword v91, off, s[0:3], 0 offset:336
.LBB44_848:
	s_or_b64 exec, exec, s[6:7]
	buffer_load_dword v91, off, s[0:3], 0 offset:344
	buffer_load_dword v92, off, s[0:3], 0 offset:348
	v_cmp_gt_u32_e64 s[6:7], 43, v0
	s_waitcnt vmcnt(0)
	ds_write_b64 v94, v[91:92]
	s_waitcnt lgkmcnt(0)
	; wave barrier
	s_and_saveexec_b64 s[8:9], s[6:7]
	s_cbranch_execz .LBB44_858
; %bb.849:
	s_and_b64 vcc, exec, s[4:5]
	s_cbranch_vccnz .LBB44_851
; %bb.850:
	buffer_load_dword v91, v95, s[0:3], 0 offen
	buffer_load_dword v92, v95, s[0:3], 0 offen offset:4
	ds_read_b64 v[96:97], v94
	s_waitcnt vmcnt(0) lgkmcnt(0)
	v_mul_f64 v[91:92], v[91:92], v[96:97]
	s_cbranch_execz .LBB44_852
	s_branch .LBB44_853
.LBB44_851:
                                        ; implicit-def: $vgpr91_vgpr92
.LBB44_852:
	ds_read_b64 v[91:92], v94
.LBB44_853:
	v_cmp_ne_u32_e32 vcc, 42, v0
	s_and_saveexec_b64 s[10:11], vcc
	s_cbranch_execz .LBB44_857
; %bb.854:
	s_mov_b32 s12, 0
	v_add_u32_e32 v96, 0x178, v93
	v_add3_u32 v97, v93, s12, 8
	s_mov_b64 s[12:13], 0
	v_mov_b32_e32 v98, v0
.LBB44_855:                             ; =>This Inner Loop Header: Depth=1
	buffer_load_dword v99, v97, s[0:3], 0 offen
	buffer_load_dword v100, v97, s[0:3], 0 offen offset:4
	ds_read_b64 v[101:102], v96
	v_add_u32_e32 v98, 1, v98
	v_cmp_lt_u32_e32 vcc, 41, v98
	v_add_u32_e32 v96, 8, v96
	s_or_b64 s[12:13], vcc, s[12:13]
	v_add_u32_e32 v97, 8, v97
	s_waitcnt vmcnt(0) lgkmcnt(0)
	v_fma_f64 v[91:92], v[99:100], v[101:102], v[91:92]
	s_andn2_b64 exec, exec, s[12:13]
	s_cbranch_execnz .LBB44_855
; %bb.856:
	s_or_b64 exec, exec, s[12:13]
.LBB44_857:
	s_or_b64 exec, exec, s[10:11]
	v_mov_b32_e32 v96, 0
	ds_read_b64 v[96:97], v96 offset:344
	s_waitcnt lgkmcnt(0)
	v_mul_f64 v[91:92], v[91:92], v[96:97]
	buffer_store_dword v92, off, s[0:3], 0 offset:348
	buffer_store_dword v91, off, s[0:3], 0 offset:344
.LBB44_858:
	s_or_b64 exec, exec, s[8:9]
	buffer_load_dword v91, off, s[0:3], 0 offset:352
	buffer_load_dword v92, off, s[0:3], 0 offset:356
	v_cmp_ne_u32_e32 vcc, 44, v0
	s_waitcnt vmcnt(0)
	ds_write_b64 v94, v[91:92]
	s_waitcnt lgkmcnt(0)
	; wave barrier
	s_and_saveexec_b64 s[8:9], vcc
	s_cbranch_execz .LBB44_868
; %bb.859:
	s_and_b64 vcc, exec, s[4:5]
	s_cbranch_vccnz .LBB44_861
; %bb.860:
	buffer_load_dword v91, v95, s[0:3], 0 offen
	buffer_load_dword v92, v95, s[0:3], 0 offen offset:4
	ds_read_b64 v[95:96], v94
	s_waitcnt vmcnt(0) lgkmcnt(0)
	v_mul_f64 v[91:92], v[91:92], v[95:96]
	s_cbranch_execz .LBB44_862
	s_branch .LBB44_863
.LBB44_861:
                                        ; implicit-def: $vgpr91_vgpr92
.LBB44_862:
	ds_read_b64 v[91:92], v94
.LBB44_863:
	s_and_saveexec_b64 s[4:5], s[6:7]
	s_cbranch_execz .LBB44_867
; %bb.864:
	s_mov_b32 s6, 0
	v_add_u32_e32 v94, 0x178, v93
	v_add3_u32 v93, v93, s6, 8
	s_mov_b64 s[6:7], 0
.LBB44_865:                             ; =>This Inner Loop Header: Depth=1
	buffer_load_dword v95, v93, s[0:3], 0 offen
	buffer_load_dword v96, v93, s[0:3], 0 offen offset:4
	ds_read_b64 v[97:98], v94
	v_add_u32_e32 v0, 1, v0
	v_cmp_lt_u32_e32 vcc, 42, v0
	v_add_u32_e32 v94, 8, v94
	s_or_b64 s[6:7], vcc, s[6:7]
	v_add_u32_e32 v93, 8, v93
	s_waitcnt vmcnt(0) lgkmcnt(0)
	v_fma_f64 v[91:92], v[95:96], v[97:98], v[91:92]
	s_andn2_b64 exec, exec, s[6:7]
	s_cbranch_execnz .LBB44_865
; %bb.866:
	s_or_b64 exec, exec, s[6:7]
.LBB44_867:
	s_or_b64 exec, exec, s[4:5]
	v_mov_b32_e32 v0, 0
	ds_read_b64 v[93:94], v0 offset:352
	s_waitcnt lgkmcnt(0)
	v_mul_f64 v[91:92], v[91:92], v[93:94]
	buffer_store_dword v92, off, s[0:3], 0 offset:356
	buffer_store_dword v91, off, s[0:3], 0 offset:352
.LBB44_868:
	s_or_b64 exec, exec, s[8:9]
.LBB44_869:
	buffer_load_dword v91, off, s[0:3], 0
	buffer_load_dword v92, off, s[0:3], 0 offset:4
	buffer_load_dword v93, off, s[0:3], 0 offset:8
	;; [unrolled: 1-line block ×31, first 2 shown]
	s_waitcnt vmcnt(30)
	global_store_dwordx2 v[87:88], v[91:92], off
	s_waitcnt vmcnt(29)
	global_store_dwordx2 v[89:90], v[93:94], off
	buffer_load_dword v87, off, s[0:3], 0 offset:128
	buffer_load_dword v88, off, s[0:3], 0 offset:132
	s_nop 0
	buffer_load_dword v89, off, s[0:3], 0 offset:136
	buffer_load_dword v90, off, s[0:3], 0 offset:140
	buffer_load_dword v91, off, s[0:3], 0 offset:144
	buffer_load_dword v92, off, s[0:3], 0 offset:148
	buffer_load_dword v93, off, s[0:3], 0 offset:152
	buffer_load_dword v94, off, s[0:3], 0 offset:156
	s_waitcnt vmcnt(36)
	global_store_dwordx2 v[1:2], v[95:96], off
	s_waitcnt vmcnt(35)
	global_store_dwordx2 v[7:8], v[97:98], off
	buffer_load_dword v0, off, s[0:3], 0 offset:160
	buffer_load_dword v1, off, s[0:3], 0 offset:164
	s_nop 0
	buffer_load_dword v7, off, s[0:3], 0 offset:168
	buffer_load_dword v8, off, s[0:3], 0 offset:172
	buffer_load_dword v95, off, s[0:3], 0 offset:176
	buffer_load_dword v96, off, s[0:3], 0 offset:180
	buffer_load_dword v97, off, s[0:3], 0 offset:184
	buffer_load_dword v98, off, s[0:3], 0 offset:188
	;; [unrolled: 13-line block ×4, first 2 shown]
	s_waitcnt vmcnt(48)
	global_store_dwordx2 v[9:10], v[107:108], off
	global_store_dwordx2 v[15:16], v[109:110], off
	;; [unrolled: 1-line block ×4, first 2 shown]
	s_waitcnt vmcnt(50)
	global_store_dwordx2 v[27:28], v[115:116], off
	s_waitcnt vmcnt(49)
	global_store_dwordx2 v[31:32], v[117:118], off
	buffer_load_dword v9, off, s[0:3], 0 offset:256
	buffer_load_dword v10, off, s[0:3], 0 offset:260
	;; [unrolled: 1-line block ×26, first 2 shown]
	s_waitcnt vmcnt(62)
	global_store_dwordx2 v[17:18], v[119:120], off
	global_store_dwordx2 v[21:22], v[121:122], off
	global_store_dwordx2 v[25:26], v[87:88], off
	global_store_dwordx2 v[29:30], v[89:90], off
	global_store_dwordx2 v[33:34], v[91:92], off
	global_store_dwordx2 v[35:36], v[93:94], off
	s_waitcnt vmcnt(62)
	global_store_dwordx2 v[37:38], v[0:1], off
	global_store_dwordx2 v[39:40], v[7:8], off
	s_waitcnt vmcnt(62)
	global_store_dwordx2 v[41:42], v[95:96], off
	s_waitcnt vmcnt(61)
	;; [unrolled: 2-line block ×23, first 2 shown]
	global_store_dwordx2 v[85:86], v[123:124], off
.LBB44_870:
	s_endpgm
	.section	.rodata,"a",@progbits
	.p2align	6, 0x0
	.amdhsa_kernel _ZN9rocsolver6v33100L18trti2_kernel_smallILi45EdPdEEv13rocblas_fill_17rocblas_diagonal_T1_iil
		.amdhsa_group_segment_fixed_size 728
		.amdhsa_private_segment_fixed_size 368
		.amdhsa_kernarg_size 32
		.amdhsa_user_sgpr_count 6
		.amdhsa_user_sgpr_private_segment_buffer 1
		.amdhsa_user_sgpr_dispatch_ptr 0
		.amdhsa_user_sgpr_queue_ptr 0
		.amdhsa_user_sgpr_kernarg_segment_ptr 1
		.amdhsa_user_sgpr_dispatch_id 0
		.amdhsa_user_sgpr_flat_scratch_init 0
		.amdhsa_user_sgpr_private_segment_size 0
		.amdhsa_uses_dynamic_stack 0
		.amdhsa_system_sgpr_private_segment_wavefront_offset 1
		.amdhsa_system_sgpr_workgroup_id_x 1
		.amdhsa_system_sgpr_workgroup_id_y 0
		.amdhsa_system_sgpr_workgroup_id_z 0
		.amdhsa_system_sgpr_workgroup_info 0
		.amdhsa_system_vgpr_workitem_id 0
		.amdhsa_next_free_vgpr 125
		.amdhsa_next_free_sgpr 58
		.amdhsa_reserve_vcc 1
		.amdhsa_reserve_flat_scratch 0
		.amdhsa_float_round_mode_32 0
		.amdhsa_float_round_mode_16_64 0
		.amdhsa_float_denorm_mode_32 3
		.amdhsa_float_denorm_mode_16_64 3
		.amdhsa_dx10_clamp 1
		.amdhsa_ieee_mode 1
		.amdhsa_fp16_overflow 0
		.amdhsa_exception_fp_ieee_invalid_op 0
		.amdhsa_exception_fp_denorm_src 0
		.amdhsa_exception_fp_ieee_div_zero 0
		.amdhsa_exception_fp_ieee_overflow 0
		.amdhsa_exception_fp_ieee_underflow 0
		.amdhsa_exception_fp_ieee_inexact 0
		.amdhsa_exception_int_div_zero 0
	.end_amdhsa_kernel
	.section	.text._ZN9rocsolver6v33100L18trti2_kernel_smallILi45EdPdEEv13rocblas_fill_17rocblas_diagonal_T1_iil,"axG",@progbits,_ZN9rocsolver6v33100L18trti2_kernel_smallILi45EdPdEEv13rocblas_fill_17rocblas_diagonal_T1_iil,comdat
.Lfunc_end44:
	.size	_ZN9rocsolver6v33100L18trti2_kernel_smallILi45EdPdEEv13rocblas_fill_17rocblas_diagonal_T1_iil, .Lfunc_end44-_ZN9rocsolver6v33100L18trti2_kernel_smallILi45EdPdEEv13rocblas_fill_17rocblas_diagonal_T1_iil
                                        ; -- End function
	.set _ZN9rocsolver6v33100L18trti2_kernel_smallILi45EdPdEEv13rocblas_fill_17rocblas_diagonal_T1_iil.num_vgpr, 125
	.set _ZN9rocsolver6v33100L18trti2_kernel_smallILi45EdPdEEv13rocblas_fill_17rocblas_diagonal_T1_iil.num_agpr, 0
	.set _ZN9rocsolver6v33100L18trti2_kernel_smallILi45EdPdEEv13rocblas_fill_17rocblas_diagonal_T1_iil.numbered_sgpr, 58
	.set _ZN9rocsolver6v33100L18trti2_kernel_smallILi45EdPdEEv13rocblas_fill_17rocblas_diagonal_T1_iil.num_named_barrier, 0
	.set _ZN9rocsolver6v33100L18trti2_kernel_smallILi45EdPdEEv13rocblas_fill_17rocblas_diagonal_T1_iil.private_seg_size, 368
	.set _ZN9rocsolver6v33100L18trti2_kernel_smallILi45EdPdEEv13rocblas_fill_17rocblas_diagonal_T1_iil.uses_vcc, 1
	.set _ZN9rocsolver6v33100L18trti2_kernel_smallILi45EdPdEEv13rocblas_fill_17rocblas_diagonal_T1_iil.uses_flat_scratch, 0
	.set _ZN9rocsolver6v33100L18trti2_kernel_smallILi45EdPdEEv13rocblas_fill_17rocblas_diagonal_T1_iil.has_dyn_sized_stack, 0
	.set _ZN9rocsolver6v33100L18trti2_kernel_smallILi45EdPdEEv13rocblas_fill_17rocblas_diagonal_T1_iil.has_recursion, 0
	.set _ZN9rocsolver6v33100L18trti2_kernel_smallILi45EdPdEEv13rocblas_fill_17rocblas_diagonal_T1_iil.has_indirect_call, 0
	.section	.AMDGPU.csdata,"",@progbits
; Kernel info:
; codeLenInByte = 26400
; TotalNumSgprs: 62
; NumVgprs: 125
; ScratchSize: 368
; MemoryBound: 0
; FloatMode: 240
; IeeeMode: 1
; LDSByteSize: 728 bytes/workgroup (compile time only)
; SGPRBlocks: 7
; VGPRBlocks: 31
; NumSGPRsForWavesPerEU: 62
; NumVGPRsForWavesPerEU: 125
; Occupancy: 2
; WaveLimiterHint : 0
; COMPUTE_PGM_RSRC2:SCRATCH_EN: 1
; COMPUTE_PGM_RSRC2:USER_SGPR: 6
; COMPUTE_PGM_RSRC2:TRAP_HANDLER: 0
; COMPUTE_PGM_RSRC2:TGID_X_EN: 1
; COMPUTE_PGM_RSRC2:TGID_Y_EN: 0
; COMPUTE_PGM_RSRC2:TGID_Z_EN: 0
; COMPUTE_PGM_RSRC2:TIDIG_COMP_CNT: 0
	.section	.text._ZN9rocsolver6v33100L18trti2_kernel_smallILi46EdPdEEv13rocblas_fill_17rocblas_diagonal_T1_iil,"axG",@progbits,_ZN9rocsolver6v33100L18trti2_kernel_smallILi46EdPdEEv13rocblas_fill_17rocblas_diagonal_T1_iil,comdat
	.globl	_ZN9rocsolver6v33100L18trti2_kernel_smallILi46EdPdEEv13rocblas_fill_17rocblas_diagonal_T1_iil ; -- Begin function _ZN9rocsolver6v33100L18trti2_kernel_smallILi46EdPdEEv13rocblas_fill_17rocblas_diagonal_T1_iil
	.p2align	8
	.type	_ZN9rocsolver6v33100L18trti2_kernel_smallILi46EdPdEEv13rocblas_fill_17rocblas_diagonal_T1_iil,@function
_ZN9rocsolver6v33100L18trti2_kernel_smallILi46EdPdEEv13rocblas_fill_17rocblas_diagonal_T1_iil: ; @_ZN9rocsolver6v33100L18trti2_kernel_smallILi46EdPdEEv13rocblas_fill_17rocblas_diagonal_T1_iil
; %bb.0:
	s_add_u32 s0, s0, s7
	s_addc_u32 s1, s1, 0
	v_cmp_gt_u32_e32 vcc, 46, v0
	s_and_saveexec_b64 s[8:9], vcc
	s_cbranch_execz .LBB45_890
; %bb.1:
	s_load_dwordx8 s[8:15], s[4:5], 0x0
	s_ashr_i32 s7, s6, 31
	v_lshlrev_b32_e32 v95, 3, v0
	s_waitcnt lgkmcnt(0)
	s_ashr_i32 s5, s12, 31
	s_mov_b32 s4, s12
	s_mul_hi_u32 s12, s14, s6
	s_mul_i32 s7, s14, s7
	s_add_i32 s7, s12, s7
	s_mul_i32 s12, s15, s6
	s_add_i32 s7, s7, s12
	s_mul_i32 s6, s14, s6
	s_lshl_b64 s[6:7], s[6:7], 3
	s_add_u32 s6, s10, s6
	s_addc_u32 s7, s11, s7
	s_lshl_b64 s[4:5], s[4:5], 3
	s_add_u32 s4, s6, s4
	s_addc_u32 s5, s7, s5
	s_add_i32 s6, s13, s13
	v_add_u32_e32 v3, s6, v0
	v_ashrrev_i32_e32 v4, 31, v3
	v_lshlrev_b64 v[1:2], 3, v[3:4]
	v_mov_b32_e32 v4, s5
	v_add_co_u32_e32 v1, vcc, s4, v1
	v_add_u32_e32 v3, s13, v3
	v_addc_co_u32_e32 v2, vcc, v4, v2, vcc
	v_ashrrev_i32_e32 v4, 31, v3
	v_lshlrev_b64 v[4:5], 3, v[3:4]
	v_mov_b32_e32 v6, s5
	v_add_co_u32_e32 v7, vcc, s4, v4
	v_addc_co_u32_e32 v8, vcc, v6, v5, vcc
	v_add_u32_e32 v5, s13, v3
	v_ashrrev_i32_e32 v6, 31, v5
	v_lshlrev_b64 v[3:4], 3, v[5:6]
	v_mov_b32_e32 v6, s5
	v_add_co_u32_e32 v3, vcc, s4, v3
	v_add_u32_e32 v5, s13, v5
	v_addc_co_u32_e32 v4, vcc, v6, v4, vcc
	v_ashrrev_i32_e32 v6, 31, v5
	v_lshlrev_b64 v[9:10], 3, v[5:6]
	v_mov_b32_e32 v6, s5
	v_add_co_u32_e32 v11, vcc, s4, v9
	v_add_u32_e32 v9, s13, v5
	v_addc_co_u32_e32 v12, vcc, v6, v10, vcc
	;; [unrolled: 6-line block ×3, first 2 shown]
	v_ashrrev_i32_e32 v10, 31, v9
	v_lshlrev_b64 v[13:14], 3, v[9:10]
	v_add_u32_e32 v15, s13, v9
	v_mov_b32_e32 v10, s5
	v_add_co_u32_e32 v13, vcc, s4, v13
	v_ashrrev_i32_e32 v16, 31, v15
	v_addc_co_u32_e32 v14, vcc, v10, v14, vcc
	v_lshlrev_b64 v[9:10], 3, v[15:16]
	v_add_u32_e32 v17, s13, v15
	v_mov_b32_e32 v16, s5
	v_add_co_u32_e32 v9, vcc, s4, v9
	v_ashrrev_i32_e32 v18, 31, v17
	v_addc_co_u32_e32 v10, vcc, v16, v10, vcc
	;; [unrolled: 6-line block ×7, first 2 shown]
	v_lshlrev_b64 v[23:24], 3, v[19:20]
	v_mov_b32_e32 v31, s5
	v_add_co_u32_e32 v33, vcc, s4, v23
	v_add_u32_e32 v23, s13, v19
	v_addc_co_u32_e32 v34, vcc, v27, v24, vcc
	v_ashrrev_i32_e32 v24, 31, v23
	v_lshlrev_b64 v[19:20], 3, v[23:24]
	v_mov_b32_e32 v35, s5
	v_add_co_u32_e32 v19, vcc, s4, v19
	v_addc_co_u32_e32 v20, vcc, v27, v20, vcc
	v_add_u32_e32 v27, s13, v23
	v_ashrrev_i32_e32 v28, 31, v27
	v_lshlrev_b64 v[23:24], 3, v[27:28]
	v_mov_b32_e32 v37, s5
	v_add_co_u32_e32 v23, vcc, s4, v23
	v_addc_co_u32_e32 v24, vcc, v31, v24, vcc
	v_add_u32_e32 v31, s13, v27
	;; [unrolled: 6-line block ×21, first 2 shown]
	v_ashrrev_i32_e32 v72, 31, v71
	v_lshlrev_b64 v[69:70], 3, v[71:72]
	global_load_dwordx2 v[93:94], v95, s[4:5]
	global_load_dwordx2 v[98:99], v[1:2], off
	global_load_dwordx2 v[100:101], v[7:8], off
	;; [unrolled: 1-line block ×3, first 2 shown]
	v_add_co_u32_e32 v69, vcc, s4, v69
	v_addc_co_u32_e32 v70, vcc, v73, v70, vcc
	v_add_u32_e32 v73, s13, v71
	v_ashrrev_i32_e32 v74, 31, v73
	v_lshlrev_b64 v[71:72], 3, v[73:74]
	s_ashr_i32 s7, s13, 31
	v_add_co_u32_e32 v71, vcc, s4, v71
	v_addc_co_u32_e32 v72, vcc, v75, v72, vcc
	v_add_u32_e32 v75, s13, v73
	v_mov_b32_e32 v73, s5
	v_add_co_u32_e32 v89, vcc, s4, v95
	s_mov_b32 s6, s13
	v_addc_co_u32_e32 v90, vcc, 0, v73, vcc
	s_lshl_b64 s[6:7], s[6:7], 3
	v_mov_b32_e32 v73, s7
	v_add_co_u32_e32 v91, vcc, s6, v89
	v_addc_co_u32_e32 v92, vcc, v90, v73, vcc
	global_load_dwordx2 v[96:97], v[91:92], off
	global_load_dwordx2 v[104:105], v[11:12], off
	v_ashrrev_i32_e32 v76, 31, v75
	v_lshlrev_b64 v[73:74], 3, v[75:76]
	v_mov_b32_e32 v77, s5
	v_add_co_u32_e32 v73, vcc, s4, v73
	v_addc_co_u32_e32 v74, vcc, v77, v74, vcc
	v_add_u32_e32 v77, s13, v75
	v_ashrrev_i32_e32 v78, 31, v77
	v_lshlrev_b64 v[75:76], 3, v[77:78]
	v_mov_b32_e32 v79, s5
	v_add_co_u32_e32 v75, vcc, s4, v75
	v_addc_co_u32_e32 v76, vcc, v79, v76, vcc
	v_add_u32_e32 v79, s13, v77
	;; [unrolled: 6-line block ×3, first 2 shown]
	v_ashrrev_i32_e32 v82, 31, v81
	v_lshlrev_b64 v[79:80], 3, v[81:82]
	v_mov_b32_e32 v83, s5
	v_add_co_u32_e32 v79, vcc, s4, v79
	global_load_dwordx2 v[106:107], v[5:6], off
	global_load_dwordx2 v[108:109], v[13:14], off
	v_addc_co_u32_e32 v80, vcc, v83, v80, vcc
	v_add_u32_e32 v83, s13, v81
	v_ashrrev_i32_e32 v84, 31, v83
	v_lshlrev_b64 v[81:82], 3, v[83:84]
	v_mov_b32_e32 v85, s5
	v_add_co_u32_e32 v81, vcc, s4, v81
	v_addc_co_u32_e32 v82, vcc, v85, v82, vcc
	v_add_u32_e32 v85, s13, v83
	v_ashrrev_i32_e32 v86, 31, v85
	v_lshlrev_b64 v[83:84], 3, v[85:86]
	v_mov_b32_e32 v87, s5
	v_add_co_u32_e32 v83, vcc, s4, v83
	v_addc_co_u32_e32 v84, vcc, v87, v84, vcc
	global_load_dwordx2 v[110:111], v[9:10], off
	global_load_dwordx2 v[112:113], v[15:16], off
	;; [unrolled: 1-line block ×3, first 2 shown]
	v_add_u32_e32 v87, s13, v85
	v_ashrrev_i32_e32 v88, 31, v87
	v_lshlrev_b64 v[85:86], 3, v[87:88]
	v_add_u32_e32 v87, s13, v87
	v_ashrrev_i32_e32 v88, 31, v87
	v_mov_b32_e32 v116, s5
	v_add_co_u32_e32 v85, vcc, s4, v85
	v_lshlrev_b64 v[87:88], 3, v[87:88]
	v_addc_co_u32_e32 v86, vcc, v116, v86, vcc
	global_load_dwordx2 v[116:117], v[21:22], off
	v_mov_b32_e32 v120, s5
	global_load_dwordx2 v[118:119], v[25:26], off
	v_add_co_u32_e32 v87, vcc, s4, v87
	v_addc_co_u32_e32 v88, vcc, v120, v88, vcc
	global_load_dwordx2 v[120:121], v[29:30], off
	global_load_dwordx2 v[122:123], v[87:88], off
	s_waitcnt vmcnt(14)
	buffer_store_dword v94, off, s[0:3], 0 offset:4
	buffer_store_dword v93, off, s[0:3], 0
	global_load_dwordx2 v[93:94], v[33:34], off
	s_waitcnt vmcnt(13)
	buffer_store_dword v97, off, s[0:3], 0 offset:12
	buffer_store_dword v96, off, s[0:3], 0 offset:8
	global_load_dwordx2 v[96:97], v[19:20], off
	s_nop 0
	buffer_store_dword v99, off, s[0:3], 0 offset:20
	buffer_store_dword v98, off, s[0:3], 0 offset:16
	global_load_dwordx2 v[98:99], v[23:24], off
	s_nop 0
	buffer_store_dword v101, off, s[0:3], 0 offset:28
	buffer_store_dword v100, off, s[0:3], 0 offset:24
	;; [unrolled: 1-line block ×4, first 2 shown]
	s_waitcnt vmcnt(22)
	buffer_store_dword v105, off, s[0:3], 0 offset:44
	buffer_store_dword v104, off, s[0:3], 0 offset:40
	s_waitcnt vmcnt(23)
	buffer_store_dword v107, off, s[0:3], 0 offset:52
	buffer_store_dword v106, off, s[0:3], 0 offset:48
	s_waitcnt vmcnt(24)
	buffer_store_dword v109, off, s[0:3], 0 offset:60
	global_load_dwordx2 v[100:101], v[27:28], off
	global_load_dwordx2 v[102:103], v[31:32], off
	;; [unrolled: 1-line block ×4, first 2 shown]
	s_cmpk_lg_i32 s9, 0x84
	buffer_store_dword v108, off, s[0:3], 0 offset:56
	global_load_dwordx2 v[108:109], v[39:40], off
	s_cselect_b64 s[10:11], -1, 0
	s_cmpk_eq_i32 s9, 0x84
	s_waitcnt vmcnt(30)
	buffer_store_dword v111, off, s[0:3], 0 offset:68
	buffer_store_dword v110, off, s[0:3], 0 offset:64
	global_load_dwordx2 v[110:111], v[41:42], off
	s_waitcnt vmcnt(32)
	buffer_store_dword v112, off, s[0:3], 0 offset:72
	buffer_store_dword v113, off, s[0:3], 0 offset:76
	global_load_dwordx2 v[112:113], v[43:44], off
	;; [unrolled: 4-line block ×9, first 2 shown]
	s_waitcnt vmcnt(32)
	buffer_store_dword v100, off, s[0:3], 0 offset:136
	buffer_store_dword v101, off, s[0:3], 0 offset:140
	s_waitcnt vmcnt(33)
	buffer_store_dword v102, off, s[0:3], 0 offset:144
	buffer_store_dword v103, off, s[0:3], 0 offset:148
	;; [unrolled: 3-line block ×7, first 2 shown]
	s_waitcnt vmcnt(32)
	buffer_store_dword v114, off, s[0:3], 0 offset:192
	global_load_dwordx2 v[100:101], v[59:60], off
	global_load_dwordx2 v[102:103], v[61:62], off
	;; [unrolled: 1-line block ×7, first 2 shown]
	s_nop 0
	buffer_store_dword v115, off, s[0:3], 0 offset:196
	global_load_dwordx2 v[114:115], v[73:74], off
	s_waitcnt vmcnt(39)
	buffer_store_dword v117, off, s[0:3], 0 offset:204
	buffer_store_dword v116, off, s[0:3], 0 offset:200
	global_load_dwordx2 v[116:117], v[75:76], off
	s_waitcnt vmcnt(39)
	buffer_store_dword v119, off, s[0:3], 0 offset:212
	;; [unrolled: 4-line block ×3, first 2 shown]
	s_waitcnt vmcnt(37)
	buffer_store_dword v93, off, s[0:3], 0 offset:224
	buffer_store_dword v94, off, s[0:3], 0 offset:228
	global_load_dwordx2 v[93:94], v[77:78], off
	s_nop 0
	buffer_store_dword v121, off, s[0:3], 0 offset:220
	global_load_dwordx2 v[120:121], v[83:84], off
	s_waitcnt vmcnt(39)
	buffer_store_dword v96, off, s[0:3], 0 offset:232
	buffer_store_dword v97, off, s[0:3], 0 offset:236
	global_load_dwordx2 v[96:97], v[81:82], off
	s_waitcnt vmcnt(39)
	buffer_store_dword v98, off, s[0:3], 0 offset:240
	;; [unrolled: 4-line block ×3, first 2 shown]
	buffer_store_dword v100, off, s[0:3], 0 offset:248
	s_waitcnt vmcnt(27)
	buffer_store_dword v103, off, s[0:3], 0 offset:260
	buffer_store_dword v102, off, s[0:3], 0 offset:256
	s_waitcnt vmcnt(28)
	buffer_store_dword v104, off, s[0:3], 0 offset:264
	;; [unrolled: 3-line block ×9, first 2 shown]
	buffer_store_dword v94, off, s[0:3], 0 offset:324
	buffer_store_dword v118, off, s[0:3], 0 offset:328
	;; [unrolled: 1-line block ×3, first 2 shown]
	s_waitcnt vmcnt(25)
	buffer_store_dword v96, off, s[0:3], 0 offset:336
	buffer_store_dword v97, off, s[0:3], 0 offset:340
	buffer_store_dword v121, off, s[0:3], 0 offset:348
	buffer_store_dword v120, off, s[0:3], 0 offset:344
	s_waitcnt vmcnt(26)
	buffer_store_dword v99, off, s[0:3], 0 offset:356
	buffer_store_dword v98, off, s[0:3], 0 offset:352
	;; [unrolled: 1-line block ×3, first 2 shown]
	v_mov_b32_e32 v93, 0
	v_mov_b32_e32 v94, 0xbff00000
	buffer_store_dword v123, off, s[0:3], 0 offset:364
	s_cbranch_scc1 .LBB45_3
; %bb.2:
	v_mov_b32_e32 v93, 0
	v_lshl_add_u32 v104, v0, 3, v93
	buffer_load_dword v93, v104, s[0:3], 0 offen
	buffer_load_dword v94, v104, s[0:3], 0 offen offset:4
	s_waitcnt vmcnt(0)
	v_div_scale_f64 v[96:97], s[4:5], v[93:94], v[93:94], 1.0
	v_rcp_f64_e32 v[98:99], v[96:97]
	v_fma_f64 v[100:101], -v[96:97], v[98:99], 1.0
	v_fma_f64 v[98:99], v[98:99], v[100:101], v[98:99]
	v_div_scale_f64 v[100:101], vcc, 1.0, v[93:94], 1.0
	v_fma_f64 v[102:103], -v[96:97], v[98:99], 1.0
	v_fma_f64 v[98:99], v[98:99], v[102:103], v[98:99]
	v_mul_f64 v[102:103], v[100:101], v[98:99]
	v_fma_f64 v[96:97], -v[96:97], v[102:103], v[100:101]
	v_div_fmas_f64 v[96:97], v[96:97], v[98:99], v[102:103]
	v_div_fixup_f64 v[93:94], v[96:97], v[93:94], 1.0
	buffer_store_dword v93, v104, s[0:3], 0 offen
	buffer_store_dword v94, v104, s[0:3], 0 offen offset:4
	v_xor_b32_e32 v94, 0x80000000, v94
.LBB45_3:
	s_cmpk_eq_i32 s8, 0x79
	v_add_u32_e32 v96, 0x170, v95
	v_mov_b32_e32 v97, v95
	s_mov_b64 s[4:5], -1
	ds_write_b64 v95, v[93:94]
	s_cbranch_scc1 .LBB45_447
; %bb.4:
	buffer_load_dword v93, off, s[0:3], 0 offset:352
	buffer_load_dword v94, off, s[0:3], 0 offset:356
	s_movk_i32 s12, 0x48
	s_movk_i32 s13, 0x50
	;; [unrolled: 1-line block ×35, first 2 shown]
	v_cmp_eq_u32_e64 s[4:5], 45, v0
	s_waitcnt vmcnt(0)
	ds_write_b64 v96, v[93:94]
	s_waitcnt lgkmcnt(0)
	; wave barrier
	s_and_saveexec_b64 s[6:7], s[4:5]
	s_cbranch_execz .LBB45_10
; %bb.5:
	s_and_b64 vcc, exec, s[10:11]
	s_cbranch_vccz .LBB45_7
; %bb.6:
	buffer_load_dword v93, v97, s[0:3], 0 offen
	buffer_load_dword v94, v97, s[0:3], 0 offen offset:4
	ds_read_b64 v[98:99], v96
	s_waitcnt vmcnt(0) lgkmcnt(0)
	v_mul_f64 v[93:94], v[93:94], v[98:99]
	s_cbranch_execz .LBB45_8
	s_branch .LBB45_9
.LBB45_7:
                                        ; implicit-def: $vgpr93_vgpr94
.LBB45_8:
	ds_read_b64 v[93:94], v96
.LBB45_9:
	v_mov_b32_e32 v98, 0
	ds_read_b64 v[98:99], v98 offset:352
	s_waitcnt lgkmcnt(0)
	v_mul_f64 v[93:94], v[93:94], v[98:99]
	buffer_store_dword v94, off, s[0:3], 0 offset:356
	buffer_store_dword v93, off, s[0:3], 0 offset:352
.LBB45_10:
	s_or_b64 exec, exec, s[6:7]
	buffer_load_dword v93, off, s[0:3], 0 offset:344
	buffer_load_dword v94, off, s[0:3], 0 offset:348
	s_or_b32 s14, 0, 8
	s_mov_b32 s15, 16
	s_mov_b32 s16, 24
	;; [unrolled: 1-line block ×9, first 2 shown]
	v_cmp_lt_u32_e64 s[6:7], 43, v0
	s_waitcnt vmcnt(0)
	ds_write_b64 v96, v[93:94]
	s_waitcnt lgkmcnt(0)
	; wave barrier
	s_and_saveexec_b64 s[8:9], s[6:7]
	s_cbranch_execz .LBB45_16
; %bb.11:
	s_andn2_b64 vcc, exec, s[10:11]
	s_cbranch_vccnz .LBB45_13
; %bb.12:
	buffer_load_dword v93, v97, s[0:3], 0 offen
	buffer_load_dword v94, v97, s[0:3], 0 offen offset:4
	ds_read_b64 v[98:99], v96
	s_waitcnt vmcnt(0) lgkmcnt(0)
	v_mul_f64 v[93:94], v[93:94], v[98:99]
	s_cbranch_execz .LBB45_14
	s_branch .LBB45_15
.LBB45_13:
                                        ; implicit-def: $vgpr93_vgpr94
.LBB45_14:
	ds_read_b64 v[93:94], v96
.LBB45_15:
	buffer_load_dword v102, off, s[0:3], 0 offset:352
	buffer_load_dword v103, off, s[0:3], 0 offset:356
	v_mov_b32_e32 v98, 0
	ds_read2_b64 v[98:101], v98 offset0:43 offset1:90
	s_waitcnt vmcnt(0) lgkmcnt(0)
	v_fma_f64 v[100:101], v[102:103], v[100:101], v[93:94]
	v_cndmask_b32_e64 v94, v94, v101, s[4:5]
	v_cndmask_b32_e64 v93, v93, v100, s[4:5]
	v_mul_f64 v[93:94], v[93:94], v[98:99]
	buffer_store_dword v94, off, s[0:3], 0 offset:348
	buffer_store_dword v93, off, s[0:3], 0 offset:344
.LBB45_16:
	s_or_b64 exec, exec, s[8:9]
	buffer_load_dword v93, off, s[0:3], 0 offset:336
	buffer_load_dword v94, off, s[0:3], 0 offset:340
	v_cmp_lt_u32_e64 s[4:5], 42, v0
	s_waitcnt vmcnt(0)
	ds_write_b64 v96, v[93:94]
	s_waitcnt lgkmcnt(0)
	; wave barrier
	s_and_saveexec_b64 s[8:9], s[4:5]
	s_cbranch_execz .LBB45_26
; %bb.17:
	s_andn2_b64 vcc, exec, s[10:11]
	s_cbranch_vccnz .LBB45_19
; %bb.18:
	buffer_load_dword v93, v97, s[0:3], 0 offen
	buffer_load_dword v94, v97, s[0:3], 0 offen offset:4
	ds_read_b64 v[98:99], v96
	s_waitcnt vmcnt(0) lgkmcnt(0)
	v_mul_f64 v[93:94], v[93:94], v[98:99]
	s_cbranch_execz .LBB45_20
	s_branch .LBB45_21
.LBB45_19:
                                        ; implicit-def: $vgpr93_vgpr94
.LBB45_20:
	ds_read_b64 v[93:94], v96
.LBB45_21:
	s_and_saveexec_b64 s[12:13], s[6:7]
	s_cbranch_execz .LBB45_25
; %bb.22:
	v_subrev_u32_e32 v98, 43, v0
	s_movk_i32 s58, 0x2c8
	s_mov_b64 s[6:7], 0
.LBB45_23:                              ; =>This Inner Loop Header: Depth=1
	v_mov_b32_e32 v100, s57
	buffer_load_dword v99, v100, s[0:3], 0 offen
	s_nop 0
	buffer_load_dword v100, v100, s[0:3], 0 offen offset:4
	v_mov_b32_e32 v101, s58
	ds_read_b64 v[101:102], v101
	v_add_u32_e32 v98, -1, v98
	s_add_i32 s58, s58, 8
	s_add_i32 s57, s57, 8
	v_cmp_eq_u32_e32 vcc, 0, v98
	s_or_b64 s[6:7], vcc, s[6:7]
	s_waitcnt vmcnt(0) lgkmcnt(0)
	v_fma_f64 v[93:94], v[99:100], v[101:102], v[93:94]
	s_andn2_b64 exec, exec, s[6:7]
	s_cbranch_execnz .LBB45_23
; %bb.24:
	s_or_b64 exec, exec, s[6:7]
.LBB45_25:
	s_or_b64 exec, exec, s[12:13]
	v_mov_b32_e32 v98, 0
	ds_read_b64 v[98:99], v98 offset:336
	s_waitcnt lgkmcnt(0)
	v_mul_f64 v[93:94], v[93:94], v[98:99]
	buffer_store_dword v94, off, s[0:3], 0 offset:340
	buffer_store_dword v93, off, s[0:3], 0 offset:336
.LBB45_26:
	s_or_b64 exec, exec, s[8:9]
	buffer_load_dword v93, off, s[0:3], 0 offset:328
	buffer_load_dword v94, off, s[0:3], 0 offset:332
	v_cmp_lt_u32_e64 s[6:7], 41, v0
	s_waitcnt vmcnt(0)
	ds_write_b64 v96, v[93:94]
	s_waitcnt lgkmcnt(0)
	; wave barrier
	s_and_saveexec_b64 s[8:9], s[6:7]
	s_cbranch_execz .LBB45_36
; %bb.27:
	s_andn2_b64 vcc, exec, s[10:11]
	s_cbranch_vccnz .LBB45_29
; %bb.28:
	buffer_load_dword v93, v97, s[0:3], 0 offen
	buffer_load_dword v94, v97, s[0:3], 0 offen offset:4
	ds_read_b64 v[98:99], v96
	s_waitcnt vmcnt(0) lgkmcnt(0)
	v_mul_f64 v[93:94], v[93:94], v[98:99]
	s_cbranch_execz .LBB45_30
	s_branch .LBB45_31
.LBB45_29:
                                        ; implicit-def: $vgpr93_vgpr94
.LBB45_30:
	ds_read_b64 v[93:94], v96
.LBB45_31:
	s_and_saveexec_b64 s[12:13], s[4:5]
	s_cbranch_execz .LBB45_35
; %bb.32:
	v_subrev_u32_e32 v98, 42, v0
	s_movk_i32 s57, 0x2c0
	s_mov_b64 s[4:5], 0
.LBB45_33:                              ; =>This Inner Loop Header: Depth=1
	v_mov_b32_e32 v100, s56
	buffer_load_dword v99, v100, s[0:3], 0 offen
	s_nop 0
	buffer_load_dword v100, v100, s[0:3], 0 offen offset:4
	v_mov_b32_e32 v101, s57
	ds_read_b64 v[101:102], v101
	v_add_u32_e32 v98, -1, v98
	s_add_i32 s57, s57, 8
	s_add_i32 s56, s56, 8
	v_cmp_eq_u32_e32 vcc, 0, v98
	s_or_b64 s[4:5], vcc, s[4:5]
	s_waitcnt vmcnt(0) lgkmcnt(0)
	v_fma_f64 v[93:94], v[99:100], v[101:102], v[93:94]
	s_andn2_b64 exec, exec, s[4:5]
	s_cbranch_execnz .LBB45_33
; %bb.34:
	s_or_b64 exec, exec, s[4:5]
.LBB45_35:
	s_or_b64 exec, exec, s[12:13]
	v_mov_b32_e32 v98, 0
	ds_read_b64 v[98:99], v98 offset:328
	s_waitcnt lgkmcnt(0)
	v_mul_f64 v[93:94], v[93:94], v[98:99]
	buffer_store_dword v94, off, s[0:3], 0 offset:332
	buffer_store_dword v93, off, s[0:3], 0 offset:328
.LBB45_36:
	;; [unrolled: 59-line block ×7, first 2 shown]
	s_or_b64 exec, exec, s[4:5]
	buffer_load_dword v93, off, s[0:3], 0 offset:280
	buffer_load_dword v94, off, s[0:3], 0 offset:284
	v_cmp_lt_u32_e64 s[4:5], 35, v0
	s_waitcnt vmcnt(0)
	ds_write_b64 v96, v[93:94]
	s_waitcnt lgkmcnt(0)
	; wave barrier
	s_and_saveexec_b64 s[6:7], s[4:5]
	s_cbranch_execz .LBB45_96
; %bb.87:
	s_andn2_b64 vcc, exec, s[10:11]
	s_cbranch_vccnz .LBB45_89
; %bb.88:
	buffer_load_dword v93, v97, s[0:3], 0 offen
	buffer_load_dword v94, v97, s[0:3], 0 offen offset:4
	ds_read_b64 v[98:99], v96
	s_waitcnt vmcnt(0) lgkmcnt(0)
	v_mul_f64 v[93:94], v[93:94], v[98:99]
	s_cbranch_execz .LBB45_90
	s_branch .LBB45_91
.LBB45_89:
                                        ; implicit-def: $vgpr93_vgpr94
.LBB45_90:
	ds_read_b64 v[93:94], v96
.LBB45_91:
	s_and_saveexec_b64 s[12:13], s[8:9]
	s_cbranch_execz .LBB45_95
; %bb.92:
	v_subrev_u32_e32 v98, 36, v0
	s_movk_i32 s51, 0x290
	s_mov_b64 s[8:9], 0
.LBB45_93:                              ; =>This Inner Loop Header: Depth=1
	v_mov_b32_e32 v101, s50
	buffer_load_dword v99, v101, s[0:3], 0 offen
	buffer_load_dword v100, v101, s[0:3], 0 offen offset:4
	v_mov_b32_e32 v101, s51
	ds_read_b64 v[101:102], v101
	v_add_u32_e32 v98, -1, v98
	s_add_i32 s51, s51, 8
	s_add_i32 s50, s50, 8
	v_cmp_eq_u32_e32 vcc, 0, v98
	s_or_b64 s[8:9], vcc, s[8:9]
	s_waitcnt vmcnt(0) lgkmcnt(0)
	v_fma_f64 v[93:94], v[99:100], v[101:102], v[93:94]
	s_andn2_b64 exec, exec, s[8:9]
	s_cbranch_execnz .LBB45_93
; %bb.94:
	s_or_b64 exec, exec, s[8:9]
.LBB45_95:
	s_or_b64 exec, exec, s[12:13]
	v_mov_b32_e32 v98, 0
	ds_read_b64 v[98:99], v98 offset:280
	s_waitcnt lgkmcnt(0)
	v_mul_f64 v[93:94], v[93:94], v[98:99]
	buffer_store_dword v94, off, s[0:3], 0 offset:284
	buffer_store_dword v93, off, s[0:3], 0 offset:280
.LBB45_96:
	s_or_b64 exec, exec, s[6:7]
	buffer_load_dword v93, off, s[0:3], 0 offset:272
	buffer_load_dword v94, off, s[0:3], 0 offset:276
	v_cmp_lt_u32_e64 s[6:7], 34, v0
	s_waitcnt vmcnt(0)
	ds_write_b64 v96, v[93:94]
	s_waitcnt lgkmcnt(0)
	; wave barrier
	s_and_saveexec_b64 s[8:9], s[6:7]
	s_cbranch_execz .LBB45_106
; %bb.97:
	s_andn2_b64 vcc, exec, s[10:11]
	s_cbranch_vccnz .LBB45_99
; %bb.98:
	buffer_load_dword v93, v97, s[0:3], 0 offen
	buffer_load_dword v94, v97, s[0:3], 0 offen offset:4
	ds_read_b64 v[98:99], v96
	s_waitcnt vmcnt(0) lgkmcnt(0)
	v_mul_f64 v[93:94], v[93:94], v[98:99]
	s_cbranch_execz .LBB45_100
	s_branch .LBB45_101
.LBB45_99:
                                        ; implicit-def: $vgpr93_vgpr94
.LBB45_100:
	ds_read_b64 v[93:94], v96
.LBB45_101:
	s_and_saveexec_b64 s[12:13], s[4:5]
	s_cbranch_execz .LBB45_105
; %bb.102:
	v_subrev_u32_e32 v98, 35, v0
	s_movk_i32 s50, 0x288
	s_mov_b64 s[4:5], 0
.LBB45_103:                             ; =>This Inner Loop Header: Depth=1
	v_mov_b32_e32 v101, s49
	buffer_load_dword v99, v101, s[0:3], 0 offen
	buffer_load_dword v100, v101, s[0:3], 0 offen offset:4
	v_mov_b32_e32 v101, s50
	ds_read_b64 v[101:102], v101
	v_add_u32_e32 v98, -1, v98
	s_add_i32 s50, s50, 8
	s_add_i32 s49, s49, 8
	v_cmp_eq_u32_e32 vcc, 0, v98
	s_or_b64 s[4:5], vcc, s[4:5]
	s_waitcnt vmcnt(0) lgkmcnt(0)
	v_fma_f64 v[93:94], v[99:100], v[101:102], v[93:94]
	s_andn2_b64 exec, exec, s[4:5]
	s_cbranch_execnz .LBB45_103
; %bb.104:
	s_or_b64 exec, exec, s[4:5]
.LBB45_105:
	s_or_b64 exec, exec, s[12:13]
	v_mov_b32_e32 v98, 0
	ds_read_b64 v[98:99], v98 offset:272
	s_waitcnt lgkmcnt(0)
	v_mul_f64 v[93:94], v[93:94], v[98:99]
	buffer_store_dword v94, off, s[0:3], 0 offset:276
	buffer_store_dword v93, off, s[0:3], 0 offset:272
.LBB45_106:
	s_or_b64 exec, exec, s[8:9]
	buffer_load_dword v93, off, s[0:3], 0 offset:264
	buffer_load_dword v94, off, s[0:3], 0 offset:268
	v_cmp_lt_u32_e64 s[4:5], 33, v0
	s_waitcnt vmcnt(0)
	ds_write_b64 v96, v[93:94]
	s_waitcnt lgkmcnt(0)
	; wave barrier
	s_and_saveexec_b64 s[8:9], s[4:5]
	s_cbranch_execz .LBB45_116
; %bb.107:
	s_andn2_b64 vcc, exec, s[10:11]
	s_cbranch_vccnz .LBB45_109
; %bb.108:
	buffer_load_dword v93, v97, s[0:3], 0 offen
	buffer_load_dword v94, v97, s[0:3], 0 offen offset:4
	ds_read_b64 v[98:99], v96
	s_waitcnt vmcnt(0) lgkmcnt(0)
	v_mul_f64 v[93:94], v[93:94], v[98:99]
	s_cbranch_execz .LBB45_110
	s_branch .LBB45_111
.LBB45_109:
                                        ; implicit-def: $vgpr93_vgpr94
.LBB45_110:
	ds_read_b64 v[93:94], v96
.LBB45_111:
	s_and_saveexec_b64 s[12:13], s[6:7]
	s_cbranch_execz .LBB45_115
; %bb.112:
	v_subrev_u32_e32 v98, 34, v0
	s_movk_i32 s49, 0x280
	s_mov_b64 s[6:7], 0
.LBB45_113:                             ; =>This Inner Loop Header: Depth=1
	v_mov_b32_e32 v101, s48
	buffer_load_dword v99, v101, s[0:3], 0 offen
	buffer_load_dword v100, v101, s[0:3], 0 offen offset:4
	v_mov_b32_e32 v101, s49
	ds_read_b64 v[101:102], v101
	v_add_u32_e32 v98, -1, v98
	s_add_i32 s49, s49, 8
	s_add_i32 s48, s48, 8
	v_cmp_eq_u32_e32 vcc, 0, v98
	s_or_b64 s[6:7], vcc, s[6:7]
	s_waitcnt vmcnt(0) lgkmcnt(0)
	v_fma_f64 v[93:94], v[99:100], v[101:102], v[93:94]
	s_andn2_b64 exec, exec, s[6:7]
	s_cbranch_execnz .LBB45_113
; %bb.114:
	s_or_b64 exec, exec, s[6:7]
.LBB45_115:
	s_or_b64 exec, exec, s[12:13]
	v_mov_b32_e32 v98, 0
	ds_read_b64 v[98:99], v98 offset:264
	s_waitcnt lgkmcnt(0)
	v_mul_f64 v[93:94], v[93:94], v[98:99]
	buffer_store_dword v94, off, s[0:3], 0 offset:268
	buffer_store_dword v93, off, s[0:3], 0 offset:264
.LBB45_116:
	;; [unrolled: 58-line block ×19, first 2 shown]
	s_or_b64 exec, exec, s[8:9]
	buffer_load_dword v93, off, s[0:3], 0 offset:120
	buffer_load_dword v94, off, s[0:3], 0 offset:124
	v_cmp_lt_u32_e64 s[4:5], 15, v0
	s_waitcnt vmcnt(0)
	ds_write_b64 v96, v[93:94]
	s_waitcnt lgkmcnt(0)
	; wave barrier
	s_and_saveexec_b64 s[8:9], s[4:5]
	s_cbranch_execz .LBB45_296
; %bb.287:
	s_andn2_b64 vcc, exec, s[10:11]
	s_cbranch_vccnz .LBB45_289
; %bb.288:
	buffer_load_dword v93, v97, s[0:3], 0 offen
	buffer_load_dword v94, v97, s[0:3], 0 offen offset:4
	ds_read_b64 v[98:99], v96
	s_waitcnt vmcnt(0) lgkmcnt(0)
	v_mul_f64 v[93:94], v[93:94], v[98:99]
	s_cbranch_execz .LBB45_290
	s_branch .LBB45_291
.LBB45_289:
                                        ; implicit-def: $vgpr93_vgpr94
.LBB45_290:
	ds_read_b64 v[93:94], v96
.LBB45_291:
	s_and_saveexec_b64 s[12:13], s[6:7]
	s_cbranch_execz .LBB45_295
; %bb.292:
	v_add_u32_e32 v98, -16, v0
	s_movk_i32 s30, 0x1f0
	s_mov_b64 s[6:7], 0
.LBB45_293:                             ; =>This Inner Loop Header: Depth=1
	v_mov_b32_e32 v101, s29
	buffer_load_dword v99, v101, s[0:3], 0 offen
	buffer_load_dword v100, v101, s[0:3], 0 offen offset:4
	v_mov_b32_e32 v101, s30
	ds_read_b64 v[101:102], v101
	v_add_u32_e32 v98, -1, v98
	s_add_i32 s30, s30, 8
	s_add_i32 s29, s29, 8
	v_cmp_eq_u32_e32 vcc, 0, v98
	s_or_b64 s[6:7], vcc, s[6:7]
	s_waitcnt vmcnt(0) lgkmcnt(0)
	v_fma_f64 v[93:94], v[99:100], v[101:102], v[93:94]
	s_andn2_b64 exec, exec, s[6:7]
	s_cbranch_execnz .LBB45_293
; %bb.294:
	s_or_b64 exec, exec, s[6:7]
.LBB45_295:
	s_or_b64 exec, exec, s[12:13]
	v_mov_b32_e32 v98, 0
	ds_read_b64 v[98:99], v98 offset:120
	s_waitcnt lgkmcnt(0)
	v_mul_f64 v[93:94], v[93:94], v[98:99]
	buffer_store_dword v94, off, s[0:3], 0 offset:124
	buffer_store_dword v93, off, s[0:3], 0 offset:120
.LBB45_296:
	s_or_b64 exec, exec, s[8:9]
	buffer_load_dword v93, off, s[0:3], 0 offset:112
	buffer_load_dword v94, off, s[0:3], 0 offset:116
	v_cmp_lt_u32_e64 s[6:7], 14, v0
	s_waitcnt vmcnt(0)
	ds_write_b64 v96, v[93:94]
	s_waitcnt lgkmcnt(0)
	; wave barrier
	s_and_saveexec_b64 s[8:9], s[6:7]
	s_cbranch_execz .LBB45_306
; %bb.297:
	s_andn2_b64 vcc, exec, s[10:11]
	s_cbranch_vccnz .LBB45_299
; %bb.298:
	buffer_load_dword v93, v97, s[0:3], 0 offen
	buffer_load_dword v94, v97, s[0:3], 0 offen offset:4
	ds_read_b64 v[98:99], v96
	s_waitcnt vmcnt(0) lgkmcnt(0)
	v_mul_f64 v[93:94], v[93:94], v[98:99]
	s_cbranch_execz .LBB45_300
	s_branch .LBB45_301
.LBB45_299:
                                        ; implicit-def: $vgpr93_vgpr94
.LBB45_300:
	ds_read_b64 v[93:94], v96
.LBB45_301:
	s_and_saveexec_b64 s[12:13], s[4:5]
	s_cbranch_execz .LBB45_305
; %bb.302:
	v_add_u32_e32 v98, -15, v0
	s_movk_i32 s29, 0x1e8
	s_mov_b64 s[4:5], 0
.LBB45_303:                             ; =>This Inner Loop Header: Depth=1
	v_mov_b32_e32 v101, s28
	buffer_load_dword v99, v101, s[0:3], 0 offen
	buffer_load_dword v100, v101, s[0:3], 0 offen offset:4
	v_mov_b32_e32 v101, s29
	ds_read_b64 v[101:102], v101
	v_add_u32_e32 v98, -1, v98
	s_add_i32 s29, s29, 8
	s_add_i32 s28, s28, 8
	v_cmp_eq_u32_e32 vcc, 0, v98
	s_or_b64 s[4:5], vcc, s[4:5]
	s_waitcnt vmcnt(0) lgkmcnt(0)
	v_fma_f64 v[93:94], v[99:100], v[101:102], v[93:94]
	s_andn2_b64 exec, exec, s[4:5]
	s_cbranch_execnz .LBB45_303
; %bb.304:
	s_or_b64 exec, exec, s[4:5]
.LBB45_305:
	s_or_b64 exec, exec, s[12:13]
	v_mov_b32_e32 v98, 0
	ds_read_b64 v[98:99], v98 offset:112
	s_waitcnt lgkmcnt(0)
	v_mul_f64 v[93:94], v[93:94], v[98:99]
	buffer_store_dword v94, off, s[0:3], 0 offset:116
	buffer_store_dword v93, off, s[0:3], 0 offset:112
.LBB45_306:
	;; [unrolled: 58-line block ×15, first 2 shown]
	s_or_b64 exec, exec, s[8:9]
	buffer_load_dword v93, off, s[0:3], 0
	buffer_load_dword v94, off, s[0:3], 0 offset:4
	v_cmp_ne_u32_e32 vcc, 0, v0
	s_waitcnt vmcnt(0)
	ds_write_b64 v96, v[93:94]
	s_waitcnt lgkmcnt(0)
	; wave barrier
	s_and_saveexec_b64 s[6:7], vcc
	s_cbranch_execz .LBB45_446
; %bb.437:
	s_andn2_b64 vcc, exec, s[10:11]
	s_cbranch_vccnz .LBB45_439
; %bb.438:
	buffer_load_dword v93, v97, s[0:3], 0 offen
	buffer_load_dword v94, v97, s[0:3], 0 offen offset:4
	ds_read_b64 v[98:99], v96
	s_waitcnt vmcnt(0) lgkmcnt(0)
	v_mul_f64 v[93:94], v[93:94], v[98:99]
	s_cbranch_execz .LBB45_440
	s_branch .LBB45_441
.LBB45_439:
                                        ; implicit-def: $vgpr93_vgpr94
.LBB45_440:
	ds_read_b64 v[93:94], v96
.LBB45_441:
	s_and_saveexec_b64 s[8:9], s[4:5]
	s_cbranch_execz .LBB45_445
; %bb.442:
	v_add_u32_e32 v98, -1, v0
	s_movk_i32 s12, 0x178
	s_mov_b64 s[4:5], 0
.LBB45_443:                             ; =>This Inner Loop Header: Depth=1
	v_mov_b32_e32 v101, s14
	buffer_load_dword v99, v101, s[0:3], 0 offen
	buffer_load_dword v100, v101, s[0:3], 0 offen offset:4
	v_mov_b32_e32 v101, s12
	ds_read_b64 v[101:102], v101
	v_add_u32_e32 v98, -1, v98
	s_add_i32 s12, s12, 8
	s_add_i32 s14, s14, 8
	v_cmp_eq_u32_e32 vcc, 0, v98
	s_or_b64 s[4:5], vcc, s[4:5]
	s_waitcnt vmcnt(0) lgkmcnt(0)
	v_fma_f64 v[93:94], v[99:100], v[101:102], v[93:94]
	s_andn2_b64 exec, exec, s[4:5]
	s_cbranch_execnz .LBB45_443
; %bb.444:
	s_or_b64 exec, exec, s[4:5]
.LBB45_445:
	s_or_b64 exec, exec, s[8:9]
	v_mov_b32_e32 v98, 0
	ds_read_b64 v[98:99], v98
	s_waitcnt lgkmcnt(0)
	v_mul_f64 v[93:94], v[93:94], v[98:99]
	buffer_store_dword v94, off, s[0:3], 0 offset:4
	buffer_store_dword v93, off, s[0:3], 0
.LBB45_446:
	s_or_b64 exec, exec, s[6:7]
	s_mov_b64 s[4:5], 0
.LBB45_447:
	s_and_b64 vcc, exec, s[4:5]
	s_cbranch_vccz .LBB45_889
; %bb.448:
	buffer_load_dword v93, off, s[0:3], 0 offset:8
	buffer_load_dword v94, off, s[0:3], 0 offset:12
	v_cmp_eq_u32_e64 s[6:7], 0, v0
	s_waitcnt vmcnt(0)
	ds_write_b64 v96, v[93:94]
	s_waitcnt lgkmcnt(0)
	; wave barrier
	s_and_saveexec_b64 s[4:5], s[6:7]
	s_cbranch_execz .LBB45_454
; %bb.449:
	s_and_b64 vcc, exec, s[10:11]
	s_cbranch_vccz .LBB45_451
; %bb.450:
	buffer_load_dword v93, v97, s[0:3], 0 offen
	buffer_load_dword v94, v97, s[0:3], 0 offen offset:4
	ds_read_b64 v[98:99], v96
	s_waitcnt vmcnt(0) lgkmcnt(0)
	v_mul_f64 v[93:94], v[93:94], v[98:99]
	s_cbranch_execz .LBB45_452
	s_branch .LBB45_453
.LBB45_451:
                                        ; implicit-def: $vgpr93_vgpr94
.LBB45_452:
	ds_read_b64 v[93:94], v96
.LBB45_453:
	v_mov_b32_e32 v98, 0
	ds_read_b64 v[98:99], v98 offset:8
	s_waitcnt lgkmcnt(0)
	v_mul_f64 v[93:94], v[93:94], v[98:99]
	buffer_store_dword v94, off, s[0:3], 0 offset:12
	buffer_store_dword v93, off, s[0:3], 0 offset:8
.LBB45_454:
	s_or_b64 exec, exec, s[4:5]
	buffer_load_dword v93, off, s[0:3], 0 offset:16
	buffer_load_dword v94, off, s[0:3], 0 offset:20
	v_cndmask_b32_e64 v98, 0, 1, s[10:11]
	v_cmp_gt_u32_e32 vcc, 2, v0
	v_cmp_ne_u32_e64 s[4:5], 1, v98
	s_waitcnt vmcnt(0)
	ds_write_b64 v96, v[93:94]
	s_waitcnt lgkmcnt(0)
	; wave barrier
	s_and_saveexec_b64 s[8:9], vcc
	s_cbranch_execz .LBB45_460
; %bb.455:
	s_and_b64 vcc, exec, s[4:5]
	s_cbranch_vccnz .LBB45_457
; %bb.456:
	buffer_load_dword v93, v97, s[0:3], 0 offen
	buffer_load_dword v94, v97, s[0:3], 0 offen offset:4
	ds_read_b64 v[98:99], v96
	s_waitcnt vmcnt(0) lgkmcnt(0)
	v_mul_f64 v[93:94], v[93:94], v[98:99]
	s_cbranch_execz .LBB45_458
	s_branch .LBB45_459
.LBB45_457:
                                        ; implicit-def: $vgpr93_vgpr94
.LBB45_458:
	ds_read_b64 v[93:94], v96
.LBB45_459:
	buffer_load_dword v102, off, s[0:3], 0 offset:8
	buffer_load_dword v103, off, s[0:3], 0 offset:12
	v_mov_b32_e32 v98, 0
	ds_read2_b64 v[98:101], v98 offset0:2 offset1:47
	s_waitcnt vmcnt(0) lgkmcnt(0)
	v_fma_f64 v[100:101], v[102:103], v[100:101], v[93:94]
	v_cndmask_b32_e64 v94, v94, v101, s[6:7]
	v_cndmask_b32_e64 v93, v93, v100, s[6:7]
	v_mul_f64 v[93:94], v[93:94], v[98:99]
	buffer_store_dword v94, off, s[0:3], 0 offset:20
	buffer_store_dword v93, off, s[0:3], 0 offset:16
.LBB45_460:
	s_or_b64 exec, exec, s[8:9]
	buffer_load_dword v93, off, s[0:3], 0 offset:24
	buffer_load_dword v94, off, s[0:3], 0 offset:28
	v_cmp_gt_u32_e32 vcc, 3, v0
	s_waitcnt vmcnt(0)
	ds_write_b64 v96, v[93:94]
	s_waitcnt lgkmcnt(0)
	; wave barrier
	s_and_saveexec_b64 s[8:9], vcc
	s_cbranch_execz .LBB45_468
; %bb.461:
	s_and_b64 vcc, exec, s[4:5]
	s_cbranch_vccnz .LBB45_463
; %bb.462:
	buffer_load_dword v93, v97, s[0:3], 0 offen
	buffer_load_dword v94, v97, s[0:3], 0 offen offset:4
	ds_read_b64 v[98:99], v96
	s_waitcnt vmcnt(0) lgkmcnt(0)
	v_mul_f64 v[93:94], v[93:94], v[98:99]
	s_cbranch_execz .LBB45_464
	s_branch .LBB45_465
.LBB45_463:
                                        ; implicit-def: $vgpr93_vgpr94
.LBB45_464:
	ds_read_b64 v[93:94], v96
.LBB45_465:
	v_cmp_ne_u32_e32 vcc, 2, v0
	s_and_saveexec_b64 s[10:11], vcc
	s_cbranch_execz .LBB45_467
; %bb.466:
	buffer_load_dword v98, v97, s[0:3], 0 offen offset:8
	buffer_load_dword v99, v97, s[0:3], 0 offen offset:12
	buffer_load_dword v100, off, s[0:3], 0 offset:16
	buffer_load_dword v101, off, s[0:3], 0 offset:20
	ds_read_b64 v[102:103], v96 offset:8
	v_mov_b32_e32 v104, 0
	ds_read_b64 v[104:105], v104 offset:384
	s_waitcnt vmcnt(2) lgkmcnt(1)
	v_fma_f64 v[93:94], v[98:99], v[102:103], v[93:94]
	s_waitcnt vmcnt(0) lgkmcnt(0)
	v_fma_f64 v[98:99], v[100:101], v[104:105], v[93:94]
	v_cndmask_b32_e64 v94, v94, v99, s[6:7]
	v_cndmask_b32_e64 v93, v93, v98, s[6:7]
.LBB45_467:
	s_or_b64 exec, exec, s[10:11]
	v_mov_b32_e32 v98, 0
	ds_read_b64 v[98:99], v98 offset:24
	s_waitcnt lgkmcnt(0)
	v_mul_f64 v[93:94], v[93:94], v[98:99]
	buffer_store_dword v94, off, s[0:3], 0 offset:28
	buffer_store_dword v93, off, s[0:3], 0 offset:24
.LBB45_468:
	s_or_b64 exec, exec, s[8:9]
	buffer_load_dword v93, off, s[0:3], 0 offset:32
	buffer_load_dword v94, off, s[0:3], 0 offset:36
	v_cmp_gt_u32_e32 vcc, 4, v0
	s_waitcnt vmcnt(0)
	ds_write_b64 v96, v[93:94]
	s_waitcnt lgkmcnt(0)
	; wave barrier
	s_and_saveexec_b64 s[6:7], vcc
	s_cbranch_execz .LBB45_478
; %bb.469:
	s_and_b64 vcc, exec, s[4:5]
	s_cbranch_vccnz .LBB45_471
; %bb.470:
	buffer_load_dword v93, v97, s[0:3], 0 offen
	buffer_load_dword v94, v97, s[0:3], 0 offen offset:4
	ds_read_b64 v[98:99], v96
	s_waitcnt vmcnt(0) lgkmcnt(0)
	v_mul_f64 v[93:94], v[93:94], v[98:99]
	s_cbranch_execz .LBB45_472
	s_branch .LBB45_473
.LBB45_471:
                                        ; implicit-def: $vgpr93_vgpr94
.LBB45_472:
	ds_read_b64 v[93:94], v96
.LBB45_473:
	v_cmp_ne_u32_e32 vcc, 3, v0
	s_and_saveexec_b64 s[8:9], vcc
	s_cbranch_execz .LBB45_477
; %bb.474:
	s_mov_b32 s10, 0
	v_add_u32_e32 v98, 0x178, v95
	v_add3_u32 v99, v95, s10, 8
	s_mov_b64 s[10:11], 0
	v_mov_b32_e32 v100, v0
.LBB45_475:                             ; =>This Inner Loop Header: Depth=1
	buffer_load_dword v101, v99, s[0:3], 0 offen
	buffer_load_dword v102, v99, s[0:3], 0 offen offset:4
	ds_read_b64 v[103:104], v98
	v_add_u32_e32 v100, 1, v100
	v_cmp_lt_u32_e32 vcc, 2, v100
	v_add_u32_e32 v98, 8, v98
	s_or_b64 s[10:11], vcc, s[10:11]
	v_add_u32_e32 v99, 8, v99
	s_waitcnt vmcnt(0) lgkmcnt(0)
	v_fma_f64 v[93:94], v[101:102], v[103:104], v[93:94]
	s_andn2_b64 exec, exec, s[10:11]
	s_cbranch_execnz .LBB45_475
; %bb.476:
	s_or_b64 exec, exec, s[10:11]
.LBB45_477:
	s_or_b64 exec, exec, s[8:9]
	v_mov_b32_e32 v98, 0
	ds_read_b64 v[98:99], v98 offset:32
	s_waitcnt lgkmcnt(0)
	v_mul_f64 v[93:94], v[93:94], v[98:99]
	buffer_store_dword v94, off, s[0:3], 0 offset:36
	buffer_store_dword v93, off, s[0:3], 0 offset:32
.LBB45_478:
	s_or_b64 exec, exec, s[6:7]
	buffer_load_dword v93, off, s[0:3], 0 offset:40
	buffer_load_dword v94, off, s[0:3], 0 offset:44
	v_cmp_gt_u32_e32 vcc, 5, v0
	s_waitcnt vmcnt(0)
	ds_write_b64 v96, v[93:94]
	s_waitcnt lgkmcnt(0)
	; wave barrier
	s_and_saveexec_b64 s[6:7], vcc
	s_cbranch_execz .LBB45_488
; %bb.479:
	s_and_b64 vcc, exec, s[4:5]
	s_cbranch_vccnz .LBB45_481
; %bb.480:
	buffer_load_dword v93, v97, s[0:3], 0 offen
	buffer_load_dword v94, v97, s[0:3], 0 offen offset:4
	ds_read_b64 v[98:99], v96
	s_waitcnt vmcnt(0) lgkmcnt(0)
	v_mul_f64 v[93:94], v[93:94], v[98:99]
	s_cbranch_execz .LBB45_482
	s_branch .LBB45_483
.LBB45_481:
                                        ; implicit-def: $vgpr93_vgpr94
.LBB45_482:
	ds_read_b64 v[93:94], v96
.LBB45_483:
	v_cmp_ne_u32_e32 vcc, 4, v0
	s_and_saveexec_b64 s[8:9], vcc
	s_cbranch_execz .LBB45_487
; %bb.484:
	s_mov_b32 s10, 0
	v_add_u32_e32 v98, 0x178, v95
	v_add3_u32 v99, v95, s10, 8
	s_mov_b64 s[10:11], 0
	v_mov_b32_e32 v100, v0
.LBB45_485:                             ; =>This Inner Loop Header: Depth=1
	buffer_load_dword v101, v99, s[0:3], 0 offen
	buffer_load_dword v102, v99, s[0:3], 0 offen offset:4
	ds_read_b64 v[103:104], v98
	v_add_u32_e32 v100, 1, v100
	v_cmp_lt_u32_e32 vcc, 3, v100
	v_add_u32_e32 v98, 8, v98
	s_or_b64 s[10:11], vcc, s[10:11]
	v_add_u32_e32 v99, 8, v99
	s_waitcnt vmcnt(0) lgkmcnt(0)
	v_fma_f64 v[93:94], v[101:102], v[103:104], v[93:94]
	s_andn2_b64 exec, exec, s[10:11]
	s_cbranch_execnz .LBB45_485
; %bb.486:
	s_or_b64 exec, exec, s[10:11]
.LBB45_487:
	s_or_b64 exec, exec, s[8:9]
	v_mov_b32_e32 v98, 0
	ds_read_b64 v[98:99], v98 offset:40
	s_waitcnt lgkmcnt(0)
	v_mul_f64 v[93:94], v[93:94], v[98:99]
	buffer_store_dword v94, off, s[0:3], 0 offset:44
	buffer_store_dword v93, off, s[0:3], 0 offset:40
.LBB45_488:
	;; [unrolled: 59-line block ×40, first 2 shown]
	s_or_b64 exec, exec, s[6:7]
	buffer_load_dword v93, off, s[0:3], 0 offset:352
	buffer_load_dword v94, off, s[0:3], 0 offset:356
	v_cmp_gt_u32_e64 s[6:7], 44, v0
	s_waitcnt vmcnt(0)
	ds_write_b64 v96, v[93:94]
	s_waitcnt lgkmcnt(0)
	; wave barrier
	s_and_saveexec_b64 s[8:9], s[6:7]
	s_cbranch_execz .LBB45_878
; %bb.869:
	s_and_b64 vcc, exec, s[4:5]
	s_cbranch_vccnz .LBB45_871
; %bb.870:
	buffer_load_dword v93, v97, s[0:3], 0 offen
	buffer_load_dword v94, v97, s[0:3], 0 offen offset:4
	ds_read_b64 v[98:99], v96
	s_waitcnt vmcnt(0) lgkmcnt(0)
	v_mul_f64 v[93:94], v[93:94], v[98:99]
	s_cbranch_execz .LBB45_872
	s_branch .LBB45_873
.LBB45_871:
                                        ; implicit-def: $vgpr93_vgpr94
.LBB45_872:
	ds_read_b64 v[93:94], v96
.LBB45_873:
	v_cmp_ne_u32_e32 vcc, 43, v0
	s_and_saveexec_b64 s[10:11], vcc
	s_cbranch_execz .LBB45_877
; %bb.874:
	s_mov_b32 s12, 0
	v_add_u32_e32 v98, 0x178, v95
	v_add3_u32 v99, v95, s12, 8
	s_mov_b64 s[12:13], 0
	v_mov_b32_e32 v100, v0
.LBB45_875:                             ; =>This Inner Loop Header: Depth=1
	buffer_load_dword v101, v99, s[0:3], 0 offen
	buffer_load_dword v102, v99, s[0:3], 0 offen offset:4
	ds_read_b64 v[103:104], v98
	v_add_u32_e32 v100, 1, v100
	v_cmp_lt_u32_e32 vcc, 42, v100
	v_add_u32_e32 v98, 8, v98
	s_or_b64 s[12:13], vcc, s[12:13]
	v_add_u32_e32 v99, 8, v99
	s_waitcnt vmcnt(0) lgkmcnt(0)
	v_fma_f64 v[93:94], v[101:102], v[103:104], v[93:94]
	s_andn2_b64 exec, exec, s[12:13]
	s_cbranch_execnz .LBB45_875
; %bb.876:
	s_or_b64 exec, exec, s[12:13]
.LBB45_877:
	s_or_b64 exec, exec, s[10:11]
	v_mov_b32_e32 v98, 0
	ds_read_b64 v[98:99], v98 offset:352
	s_waitcnt lgkmcnt(0)
	v_mul_f64 v[93:94], v[93:94], v[98:99]
	buffer_store_dword v94, off, s[0:3], 0 offset:356
	buffer_store_dword v93, off, s[0:3], 0 offset:352
.LBB45_878:
	s_or_b64 exec, exec, s[8:9]
	buffer_load_dword v93, off, s[0:3], 0 offset:360
	buffer_load_dword v94, off, s[0:3], 0 offset:364
	v_cmp_ne_u32_e32 vcc, 45, v0
	s_waitcnt vmcnt(0)
	ds_write_b64 v96, v[93:94]
	s_waitcnt lgkmcnt(0)
	; wave barrier
	s_and_saveexec_b64 s[8:9], vcc
	s_cbranch_execz .LBB45_888
; %bb.879:
	s_and_b64 vcc, exec, s[4:5]
	s_cbranch_vccnz .LBB45_881
; %bb.880:
	buffer_load_dword v93, v97, s[0:3], 0 offen
	buffer_load_dword v94, v97, s[0:3], 0 offen offset:4
	ds_read_b64 v[97:98], v96
	s_waitcnt vmcnt(0) lgkmcnt(0)
	v_mul_f64 v[93:94], v[93:94], v[97:98]
	s_cbranch_execz .LBB45_882
	s_branch .LBB45_883
.LBB45_881:
                                        ; implicit-def: $vgpr93_vgpr94
.LBB45_882:
	ds_read_b64 v[93:94], v96
.LBB45_883:
	s_and_saveexec_b64 s[4:5], s[6:7]
	s_cbranch_execz .LBB45_887
; %bb.884:
	s_mov_b32 s6, 0
	v_add_u32_e32 v96, 0x178, v95
	v_add3_u32 v95, v95, s6, 8
	s_mov_b64 s[6:7], 0
.LBB45_885:                             ; =>This Inner Loop Header: Depth=1
	buffer_load_dword v97, v95, s[0:3], 0 offen
	buffer_load_dword v98, v95, s[0:3], 0 offen offset:4
	ds_read_b64 v[99:100], v96
	v_add_u32_e32 v0, 1, v0
	v_cmp_lt_u32_e32 vcc, 43, v0
	v_add_u32_e32 v96, 8, v96
	s_or_b64 s[6:7], vcc, s[6:7]
	v_add_u32_e32 v95, 8, v95
	s_waitcnt vmcnt(0) lgkmcnt(0)
	v_fma_f64 v[93:94], v[97:98], v[99:100], v[93:94]
	s_andn2_b64 exec, exec, s[6:7]
	s_cbranch_execnz .LBB45_885
; %bb.886:
	s_or_b64 exec, exec, s[6:7]
.LBB45_887:
	s_or_b64 exec, exec, s[4:5]
	v_mov_b32_e32 v0, 0
	ds_read_b64 v[95:96], v0 offset:360
	s_waitcnt lgkmcnt(0)
	v_mul_f64 v[93:94], v[93:94], v[95:96]
	buffer_store_dword v94, off, s[0:3], 0 offset:364
	buffer_store_dword v93, off, s[0:3], 0 offset:360
.LBB45_888:
	s_or_b64 exec, exec, s[8:9]
.LBB45_889:
	buffer_load_dword v93, off, s[0:3], 0
	buffer_load_dword v94, off, s[0:3], 0 offset:4
	buffer_load_dword v95, off, s[0:3], 0 offset:8
	;; [unrolled: 1-line block ×31, first 2 shown]
	s_waitcnt vmcnt(30)
	global_store_dwordx2 v[89:90], v[93:94], off
	s_waitcnt vmcnt(29)
	global_store_dwordx2 v[91:92], v[95:96], off
	buffer_load_dword v89, off, s[0:3], 0 offset:128
	buffer_load_dword v90, off, s[0:3], 0 offset:132
	s_nop 0
	buffer_load_dword v91, off, s[0:3], 0 offset:136
	buffer_load_dword v92, off, s[0:3], 0 offset:140
	buffer_load_dword v93, off, s[0:3], 0 offset:144
	buffer_load_dword v94, off, s[0:3], 0 offset:148
	buffer_load_dword v95, off, s[0:3], 0 offset:152
	buffer_load_dword v96, off, s[0:3], 0 offset:156
	s_waitcnt vmcnt(36)
	global_store_dwordx2 v[1:2], v[97:98], off
	s_waitcnt vmcnt(35)
	global_store_dwordx2 v[7:8], v[99:100], off
	buffer_load_dword v0, off, s[0:3], 0 offset:160
	buffer_load_dword v1, off, s[0:3], 0 offset:164
	s_nop 0
	buffer_load_dword v7, off, s[0:3], 0 offset:168
	buffer_load_dword v8, off, s[0:3], 0 offset:172
	buffer_load_dword v97, off, s[0:3], 0 offset:176
	buffer_load_dword v98, off, s[0:3], 0 offset:180
	buffer_load_dword v99, off, s[0:3], 0 offset:184
	buffer_load_dword v100, off, s[0:3], 0 offset:188
	;; [unrolled: 13-line block ×4, first 2 shown]
	s_waitcnt vmcnt(48)
	global_store_dwordx2 v[9:10], v[109:110], off
	global_store_dwordx2 v[15:16], v[111:112], off
	;; [unrolled: 1-line block ×4, first 2 shown]
	s_waitcnt vmcnt(50)
	global_store_dwordx2 v[25:26], v[117:118], off
	s_waitcnt vmcnt(49)
	global_store_dwordx2 v[29:30], v[119:120], off
	;; [unrolled: 2-line block ×3, first 2 shown]
	buffer_load_dword v9, off, s[0:3], 0 offset:256
	buffer_load_dword v10, off, s[0:3], 0 offset:260
	;; [unrolled: 1-line block ×28, first 2 shown]
	s_waitcnt vmcnt(62)
	global_store_dwordx2 v[19:20], v[123:124], off
	global_store_dwordx2 v[23:24], v[89:90], off
	;; [unrolled: 1-line block ×5, first 2 shown]
	s_waitcnt vmcnt(62)
	global_store_dwordx2 v[37:38], v[0:1], off
	global_store_dwordx2 v[39:40], v[7:8], off
	;; [unrolled: 1-line block ×3, first 2 shown]
	s_waitcnt vmcnt(62)
	global_store_dwordx2 v[43:44], v[99:100], off
	s_waitcnt vmcnt(60)
	global_store_dwordx2 v[45:46], v[2:3], off
	;; [unrolled: 2-line block ×23, first 2 shown]
.LBB45_890:
	s_endpgm
	.section	.rodata,"a",@progbits
	.p2align	6, 0x0
	.amdhsa_kernel _ZN9rocsolver6v33100L18trti2_kernel_smallILi46EdPdEEv13rocblas_fill_17rocblas_diagonal_T1_iil
		.amdhsa_group_segment_fixed_size 736
		.amdhsa_private_segment_fixed_size 384
		.amdhsa_kernarg_size 32
		.amdhsa_user_sgpr_count 6
		.amdhsa_user_sgpr_private_segment_buffer 1
		.amdhsa_user_sgpr_dispatch_ptr 0
		.amdhsa_user_sgpr_queue_ptr 0
		.amdhsa_user_sgpr_kernarg_segment_ptr 1
		.amdhsa_user_sgpr_dispatch_id 0
		.amdhsa_user_sgpr_flat_scratch_init 0
		.amdhsa_user_sgpr_private_segment_size 0
		.amdhsa_uses_dynamic_stack 0
		.amdhsa_system_sgpr_private_segment_wavefront_offset 1
		.amdhsa_system_sgpr_workgroup_id_x 1
		.amdhsa_system_sgpr_workgroup_id_y 0
		.amdhsa_system_sgpr_workgroup_id_z 0
		.amdhsa_system_sgpr_workgroup_info 0
		.amdhsa_system_vgpr_workitem_id 0
		.amdhsa_next_free_vgpr 125
		.amdhsa_next_free_sgpr 59
		.amdhsa_reserve_vcc 1
		.amdhsa_reserve_flat_scratch 0
		.amdhsa_float_round_mode_32 0
		.amdhsa_float_round_mode_16_64 0
		.amdhsa_float_denorm_mode_32 3
		.amdhsa_float_denorm_mode_16_64 3
		.amdhsa_dx10_clamp 1
		.amdhsa_ieee_mode 1
		.amdhsa_fp16_overflow 0
		.amdhsa_exception_fp_ieee_invalid_op 0
		.amdhsa_exception_fp_denorm_src 0
		.amdhsa_exception_fp_ieee_div_zero 0
		.amdhsa_exception_fp_ieee_overflow 0
		.amdhsa_exception_fp_ieee_underflow 0
		.amdhsa_exception_fp_ieee_inexact 0
		.amdhsa_exception_int_div_zero 0
	.end_amdhsa_kernel
	.section	.text._ZN9rocsolver6v33100L18trti2_kernel_smallILi46EdPdEEv13rocblas_fill_17rocblas_diagonal_T1_iil,"axG",@progbits,_ZN9rocsolver6v33100L18trti2_kernel_smallILi46EdPdEEv13rocblas_fill_17rocblas_diagonal_T1_iil,comdat
.Lfunc_end45:
	.size	_ZN9rocsolver6v33100L18trti2_kernel_smallILi46EdPdEEv13rocblas_fill_17rocblas_diagonal_T1_iil, .Lfunc_end45-_ZN9rocsolver6v33100L18trti2_kernel_smallILi46EdPdEEv13rocblas_fill_17rocblas_diagonal_T1_iil
                                        ; -- End function
	.set _ZN9rocsolver6v33100L18trti2_kernel_smallILi46EdPdEEv13rocblas_fill_17rocblas_diagonal_T1_iil.num_vgpr, 125
	.set _ZN9rocsolver6v33100L18trti2_kernel_smallILi46EdPdEEv13rocblas_fill_17rocblas_diagonal_T1_iil.num_agpr, 0
	.set _ZN9rocsolver6v33100L18trti2_kernel_smallILi46EdPdEEv13rocblas_fill_17rocblas_diagonal_T1_iil.numbered_sgpr, 59
	.set _ZN9rocsolver6v33100L18trti2_kernel_smallILi46EdPdEEv13rocblas_fill_17rocblas_diagonal_T1_iil.num_named_barrier, 0
	.set _ZN9rocsolver6v33100L18trti2_kernel_smallILi46EdPdEEv13rocblas_fill_17rocblas_diagonal_T1_iil.private_seg_size, 384
	.set _ZN9rocsolver6v33100L18trti2_kernel_smallILi46EdPdEEv13rocblas_fill_17rocblas_diagonal_T1_iil.uses_vcc, 1
	.set _ZN9rocsolver6v33100L18trti2_kernel_smallILi46EdPdEEv13rocblas_fill_17rocblas_diagonal_T1_iil.uses_flat_scratch, 0
	.set _ZN9rocsolver6v33100L18trti2_kernel_smallILi46EdPdEEv13rocblas_fill_17rocblas_diagonal_T1_iil.has_dyn_sized_stack, 0
	.set _ZN9rocsolver6v33100L18trti2_kernel_smallILi46EdPdEEv13rocblas_fill_17rocblas_diagonal_T1_iil.has_recursion, 0
	.set _ZN9rocsolver6v33100L18trti2_kernel_smallILi46EdPdEEv13rocblas_fill_17rocblas_diagonal_T1_iil.has_indirect_call, 0
	.section	.AMDGPU.csdata,"",@progbits
; Kernel info:
; codeLenInByte = 27036
; TotalNumSgprs: 63
; NumVgprs: 125
; ScratchSize: 384
; MemoryBound: 0
; FloatMode: 240
; IeeeMode: 1
; LDSByteSize: 736 bytes/workgroup (compile time only)
; SGPRBlocks: 7
; VGPRBlocks: 31
; NumSGPRsForWavesPerEU: 63
; NumVGPRsForWavesPerEU: 125
; Occupancy: 2
; WaveLimiterHint : 0
; COMPUTE_PGM_RSRC2:SCRATCH_EN: 1
; COMPUTE_PGM_RSRC2:USER_SGPR: 6
; COMPUTE_PGM_RSRC2:TRAP_HANDLER: 0
; COMPUTE_PGM_RSRC2:TGID_X_EN: 1
; COMPUTE_PGM_RSRC2:TGID_Y_EN: 0
; COMPUTE_PGM_RSRC2:TGID_Z_EN: 0
; COMPUTE_PGM_RSRC2:TIDIG_COMP_CNT: 0
	.section	.text._ZN9rocsolver6v33100L18trti2_kernel_smallILi47EdPdEEv13rocblas_fill_17rocblas_diagonal_T1_iil,"axG",@progbits,_ZN9rocsolver6v33100L18trti2_kernel_smallILi47EdPdEEv13rocblas_fill_17rocblas_diagonal_T1_iil,comdat
	.globl	_ZN9rocsolver6v33100L18trti2_kernel_smallILi47EdPdEEv13rocblas_fill_17rocblas_diagonal_T1_iil ; -- Begin function _ZN9rocsolver6v33100L18trti2_kernel_smallILi47EdPdEEv13rocblas_fill_17rocblas_diagonal_T1_iil
	.p2align	8
	.type	_ZN9rocsolver6v33100L18trti2_kernel_smallILi47EdPdEEv13rocblas_fill_17rocblas_diagonal_T1_iil,@function
_ZN9rocsolver6v33100L18trti2_kernel_smallILi47EdPdEEv13rocblas_fill_17rocblas_diagonal_T1_iil: ; @_ZN9rocsolver6v33100L18trti2_kernel_smallILi47EdPdEEv13rocblas_fill_17rocblas_diagonal_T1_iil
; %bb.0:
	s_add_u32 s0, s0, s7
	s_addc_u32 s1, s1, 0
	v_cmp_gt_u32_e32 vcc, 47, v0
	s_and_saveexec_b64 s[8:9], vcc
	s_cbranch_execz .LBB46_910
; %bb.1:
	s_load_dwordx8 s[8:15], s[4:5], 0x0
	s_ashr_i32 s7, s6, 31
	v_lshlrev_b32_e32 v97, 3, v0
	s_waitcnt lgkmcnt(0)
	s_ashr_i32 s5, s12, 31
	s_mov_b32 s4, s12
	s_mul_hi_u32 s12, s14, s6
	s_mul_i32 s7, s14, s7
	s_add_i32 s7, s12, s7
	s_mul_i32 s12, s15, s6
	s_add_i32 s7, s7, s12
	s_mul_i32 s6, s14, s6
	s_lshl_b64 s[6:7], s[6:7], 3
	s_add_u32 s6, s10, s6
	s_addc_u32 s7, s11, s7
	s_lshl_b64 s[4:5], s[4:5], 3
	s_add_u32 s4, s6, s4
	s_addc_u32 s5, s7, s5
	s_add_i32 s6, s13, s13
	v_add_u32_e32 v1, s6, v0
	v_ashrrev_i32_e32 v2, 31, v1
	v_lshlrev_b64 v[2:3], 3, v[1:2]
	v_mov_b32_e32 v4, s5
	v_add_co_u32_e32 v5, vcc, s4, v2
	v_addc_co_u32_e32 v6, vcc, v4, v3, vcc
	v_add_u32_e32 v3, s13, v1
	v_ashrrev_i32_e32 v4, 31, v3
	v_lshlrev_b64 v[1:2], 3, v[3:4]
	v_mov_b32_e32 v4, s5
	v_add_co_u32_e32 v1, vcc, s4, v1
	v_add_u32_e32 v3, s13, v3
	v_addc_co_u32_e32 v2, vcc, v4, v2, vcc
	v_ashrrev_i32_e32 v4, 31, v3
	v_lshlrev_b64 v[7:8], 3, v[3:4]
	v_mov_b32_e32 v4, s5
	v_add_co_u32_e32 v9, vcc, s4, v7
	v_add_u32_e32 v7, s13, v3
	v_addc_co_u32_e32 v10, vcc, v4, v8, vcc
	;; [unrolled: 6-line block ×5, first 2 shown]
	v_ashrrev_i32_e32 v12, 31, v11
	v_lshlrev_b64 v[15:16], 3, v[11:12]
	v_add_u32_e32 v17, s13, v11
	v_mov_b32_e32 v12, s5
	v_add_co_u32_e32 v15, vcc, s4, v15
	v_ashrrev_i32_e32 v18, 31, v17
	v_addc_co_u32_e32 v16, vcc, v12, v16, vcc
	v_lshlrev_b64 v[11:12], 3, v[17:18]
	v_add_u32_e32 v19, s13, v17
	v_mov_b32_e32 v18, s5
	v_add_co_u32_e32 v11, vcc, s4, v11
	v_ashrrev_i32_e32 v20, 31, v19
	v_addc_co_u32_e32 v12, vcc, v18, v12, vcc
	;; [unrolled: 6-line block ×6, first 2 shown]
	v_lshlrev_b64 v[23:24], 3, v[19:20]
	v_add_u32_e32 v19, s13, v19
	v_add_co_u32_e32 v33, vcc, s4, v23
	v_ashrrev_i32_e32 v20, 31, v19
	v_addc_co_u32_e32 v34, vcc, v27, v24, vcc
	v_lshlrev_b64 v[23:24], 3, v[19:20]
	v_mov_b32_e32 v31, s5
	v_add_co_u32_e32 v37, vcc, s4, v23
	v_add_u32_e32 v23, s13, v19
	v_addc_co_u32_e32 v38, vcc, v27, v24, vcc
	v_ashrrev_i32_e32 v24, 31, v23
	v_lshlrev_b64 v[19:20], 3, v[23:24]
	v_mov_b32_e32 v35, s5
	v_add_co_u32_e32 v19, vcc, s4, v19
	v_addc_co_u32_e32 v20, vcc, v27, v20, vcc
	v_add_u32_e32 v27, s13, v23
	v_ashrrev_i32_e32 v28, 31, v27
	v_lshlrev_b64 v[23:24], 3, v[27:28]
	v_mov_b32_e32 v39, s5
	v_add_co_u32_e32 v23, vcc, s4, v23
	v_addc_co_u32_e32 v24, vcc, v31, v24, vcc
	v_add_u32_e32 v31, s13, v27
	;; [unrolled: 6-line block ×21, first 2 shown]
	v_ashrrev_i32_e32 v74, 31, v73
	v_lshlrev_b64 v[71:72], 3, v[73:74]
	s_ashr_i32 s7, s13, 31
	v_add_co_u32_e32 v71, vcc, s4, v71
	v_addc_co_u32_e32 v72, vcc, v75, v72, vcc
	v_add_u32_e32 v75, s13, v73
	v_ashrrev_i32_e32 v76, 31, v75
	v_lshlrev_b64 v[73:74], 3, v[75:76]
	s_mov_b32 s6, s13
	v_add_co_u32_e32 v73, vcc, s4, v73
	v_addc_co_u32_e32 v74, vcc, v77, v74, vcc
	v_add_u32_e32 v77, s13, v75
	v_mov_b32_e32 v75, s5
	v_add_co_u32_e32 v93, vcc, s4, v97
	v_addc_co_u32_e32 v94, vcc, 0, v75, vcc
	s_lshl_b64 s[6:7], s[6:7], 3
	v_mov_b32_e32 v75, s7
	v_add_co_u32_e32 v91, vcc, s6, v93
	global_load_dwordx2 v[95:96], v97, s[4:5]
	v_addc_co_u32_e32 v92, vcc, v94, v75, vcc
	global_load_dwordx2 v[98:99], v[91:92], off
	global_load_dwordx2 v[100:101], v[5:6], off
	;; [unrolled: 1-line block ×10, first 2 shown]
	v_ashrrev_i32_e32 v78, 31, v77
	v_lshlrev_b64 v[75:76], 3, v[77:78]
	v_mov_b32_e32 v79, s5
	v_add_co_u32_e32 v75, vcc, s4, v75
	v_addc_co_u32_e32 v76, vcc, v79, v76, vcc
	v_add_u32_e32 v79, s13, v77
	v_ashrrev_i32_e32 v80, 31, v79
	v_lshlrev_b64 v[77:78], 3, v[79:80]
	v_mov_b32_e32 v81, s5
	v_add_co_u32_e32 v77, vcc, s4, v77
	v_addc_co_u32_e32 v78, vcc, v81, v78, vcc
	v_add_u32_e32 v81, s13, v79
	;; [unrolled: 6-line block ×6, first 2 shown]
	v_ashrrev_i32_e32 v90, 31, v89
	v_lshlrev_b64 v[87:88], 3, v[89:90]
	v_add_u32_e32 v89, s13, v89
	v_mov_b32_e32 v110, s5
	v_add_co_u32_e32 v87, vcc, s4, v87
	v_ashrrev_i32_e32 v90, 31, v89
	v_addc_co_u32_e32 v88, vcc, v110, v88, vcc
	global_load_dwordx2 v[110:111], v[7:8], off
	v_lshlrev_b64 v[89:90], 3, v[89:90]
	v_mov_b32_e32 v120, s5
	v_add_co_u32_e32 v89, vcc, s4, v89
	v_addc_co_u32_e32 v90, vcc, v120, v90, vcc
	global_load_dwordx2 v[120:121], v[25:26], off
	global_load_dwordx2 v[122:123], v[89:90], off
	s_waitcnt vmcnt(13)
	buffer_store_dword v96, off, s[0:3], 0 offset:4
	buffer_store_dword v95, off, s[0:3], 0
	global_load_dwordx2 v[95:96], v[29:30], off
	s_waitcnt vmcnt(15)
	buffer_store_dword v99, off, s[0:3], 0 offset:12
	buffer_store_dword v98, off, s[0:3], 0 offset:8
	global_load_dwordx2 v[98:99], v[33:34], off
	s_waitcnt vmcnt(17)
	buffer_store_dword v101, off, s[0:3], 0 offset:20
	buffer_store_dword v100, off, s[0:3], 0 offset:16
	global_load_dwordx2 v[100:101], v[37:38], off
	s_waitcnt vmcnt(19)
	buffer_store_dword v103, off, s[0:3], 0 offset:28
	buffer_store_dword v102, off, s[0:3], 0 offset:24
	global_load_dwordx2 v[102:103], v[19:20], off
	s_waitcnt vmcnt(21)
	buffer_store_dword v105, off, s[0:3], 0 offset:36
	buffer_store_dword v104, off, s[0:3], 0 offset:32
	global_load_dwordx2 v[104:105], v[23:24], off
	s_waitcnt vmcnt(23)
	buffer_store_dword v107, off, s[0:3], 0 offset:44
	buffer_store_dword v106, off, s[0:3], 0 offset:40
	global_load_dwordx2 v[106:107], v[27:28], off
	s_waitcnt vmcnt(24)
	buffer_store_dword v109, off, s[0:3], 0 offset:52
	buffer_store_dword v108, off, s[0:3], 0 offset:48
	global_load_dwordx2 v[108:109], v[31:32], off
	s_waitcnt vmcnt(23)
	buffer_store_dword v111, off, s[0:3], 0 offset:60
	buffer_store_dword v110, off, s[0:3], 0 offset:56
	buffer_store_dword v113, off, s[0:3], 0 offset:68
	buffer_store_dword v112, off, s[0:3], 0 offset:64
	;; [unrolled: 1-line block ×6, first 2 shown]
	global_load_dwordx2 v[110:111], v[35:36], off
	global_load_dwordx2 v[112:113], v[39:40], off
	s_nop 0
	global_load_dwordx2 v[114:115], v[41:42], off
	global_load_dwordx2 v[116:117], v[43:44], off
	s_cmpk_lg_i32 s9, 0x84
	buffer_store_dword v118, off, s[0:3], 0 offset:88
	buffer_store_dword v119, off, s[0:3], 0 offset:92
	s_waitcnt vmcnt(36)
	buffer_store_dword v120, off, s[0:3], 0 offset:96
	buffer_store_dword v121, off, s[0:3], 0 offset:100
	global_load_dwordx2 v[118:119], v[45:46], off
	s_cselect_b64 s[10:11], -1, 0
	s_waitcnt vmcnt(35)
	buffer_store_dword v95, off, s[0:3], 0 offset:104
	global_load_dwordx2 v[120:121], v[47:48], off
	s_cmpk_eq_i32 s9, 0x84
	buffer_store_dword v96, off, s[0:3], 0 offset:108
	global_load_dwordx2 v[95:96], v[49:50], off
	s_waitcnt vmcnt(36)
	buffer_store_dword v99, off, s[0:3], 0 offset:116
	buffer_store_dword v98, off, s[0:3], 0 offset:112
	global_load_dwordx2 v[98:99], v[51:52], off
	s_waitcnt vmcnt(36)
	buffer_store_dword v100, off, s[0:3], 0 offset:120
	;; [unrolled: 4-line block ×7, first 2 shown]
	buffer_store_dword v110, off, s[0:3], 0 offset:160
	s_waitcnt vmcnt(31)
	buffer_store_dword v112, off, s[0:3], 0 offset:168
	buffer_store_dword v113, off, s[0:3], 0 offset:172
	s_waitcnt vmcnt(32)
	buffer_store_dword v114, off, s[0:3], 0 offset:176
	buffer_store_dword v115, off, s[0:3], 0 offset:180
	s_waitcnt vmcnt(33)
	buffer_store_dword v116, off, s[0:3], 0 offset:184
	buffer_store_dword v117, off, s[0:3], 0 offset:188
	s_waitcnt vmcnt(30)
	buffer_store_dword v118, off, s[0:3], 0 offset:192
	buffer_store_dword v119, off, s[0:3], 0 offset:196
	s_waitcnt vmcnt(30)
	buffer_store_dword v121, off, s[0:3], 0 offset:204
	buffer_store_dword v120, off, s[0:3], 0 offset:200
	s_waitcnt vmcnt(30)
	buffer_store_dword v96, off, s[0:3], 0 offset:212
	buffer_store_dword v95, off, s[0:3], 0 offset:208
	global_load_dwordx2 v[95:96], v[63:64], off
	s_nop 0
	global_load_dwordx2 v[110:111], v[65:66], off
	global_load_dwordx2 v[112:113], v[69:70], off
	global_load_dwordx2 v[114:115], v[73:74], off
	global_load_dwordx2 v[116:117], v[77:78], off
	global_load_dwordx2 v[118:119], v[81:82], off
	global_load_dwordx2 v[120:121], v[85:86], off
	s_waitcnt vmcnt(36)
	buffer_store_dword v98, off, s[0:3], 0 offset:216
	buffer_store_dword v99, off, s[0:3], 0 offset:220
	global_load_dwordx2 v[98:99], v[67:68], off
	s_waitcnt vmcnt(36)
	buffer_store_dword v100, off, s[0:3], 0 offset:224
	buffer_store_dword v101, off, s[0:3], 0 offset:228
	global_load_dwordx2 v[100:101], v[71:72], off
	;; [unrolled: 4-line block ×6, first 2 shown]
	s_waitcnt vmcnt(24)
	buffer_store_dword v95, off, s[0:3], 0 offset:264
	buffer_store_dword v96, off, s[0:3], 0 offset:268
	s_waitcnt vmcnt(25)
	buffer_store_dword v110, off, s[0:3], 0 offset:272
	buffer_store_dword v111, off, s[0:3], 0 offset:276
	;; [unrolled: 3-line block ×3, first 2 shown]
	buffer_store_dword v112, off, s[0:3], 0 offset:288
	buffer_store_dword v113, off, s[0:3], 0 offset:292
	s_waitcnt vmcnt(20)
	buffer_store_dword v101, off, s[0:3], 0 offset:300
	buffer_store_dword v100, off, s[0:3], 0 offset:296
	buffer_store_dword v115, off, s[0:3], 0 offset:308
	buffer_store_dword v114, off, s[0:3], 0 offset:304
	s_waitcnt vmcnt(21)
	buffer_store_dword v102, off, s[0:3], 0 offset:312
	buffer_store_dword v103, off, s[0:3], 0 offset:316
	;; [unrolled: 5-line block ×5, first 2 shown]
	buffer_store_dword v122, off, s[0:3], 0 offset:368
	v_mov_b32_e32 v95, 0
	v_mov_b32_e32 v96, 0xbff00000
	buffer_store_dword v123, off, s[0:3], 0 offset:372
	s_cbranch_scc1 .LBB46_3
; %bb.2:
	v_mov_b32_e32 v95, 0
	v_lshl_add_u32 v106, v0, 3, v95
	buffer_load_dword v95, v106, s[0:3], 0 offen
	buffer_load_dword v96, v106, s[0:3], 0 offen offset:4
	s_waitcnt vmcnt(0)
	v_div_scale_f64 v[98:99], s[4:5], v[95:96], v[95:96], 1.0
	v_rcp_f64_e32 v[100:101], v[98:99]
	v_fma_f64 v[102:103], -v[98:99], v[100:101], 1.0
	v_fma_f64 v[100:101], v[100:101], v[102:103], v[100:101]
	v_div_scale_f64 v[102:103], vcc, 1.0, v[95:96], 1.0
	v_fma_f64 v[104:105], -v[98:99], v[100:101], 1.0
	v_fma_f64 v[100:101], v[100:101], v[104:105], v[100:101]
	v_mul_f64 v[104:105], v[102:103], v[100:101]
	v_fma_f64 v[98:99], -v[98:99], v[104:105], v[102:103]
	v_div_fmas_f64 v[98:99], v[98:99], v[100:101], v[104:105]
	v_div_fixup_f64 v[95:96], v[98:99], v[95:96], 1.0
	buffer_store_dword v95, v106, s[0:3], 0 offen
	buffer_store_dword v96, v106, s[0:3], 0 offen offset:4
	v_xor_b32_e32 v96, 0x80000000, v96
.LBB46_3:
	s_cmpk_eq_i32 s8, 0x79
	v_add_u32_e32 v98, 0x180, v97
	v_mov_b32_e32 v99, v97
	s_mov_b64 s[4:5], -1
	ds_write_b64 v97, v[95:96]
	s_cbranch_scc1 .LBB46_457
; %bb.4:
	buffer_load_dword v95, off, s[0:3], 0 offset:360
	buffer_load_dword v96, off, s[0:3], 0 offset:364
	s_movk_i32 s12, 0x48
	s_movk_i32 s13, 0x50
	;; [unrolled: 1-line block ×36, first 2 shown]
	v_cmp_eq_u32_e64 s[4:5], 46, v0
	s_waitcnt vmcnt(0)
	ds_write_b64 v98, v[95:96]
	s_waitcnt lgkmcnt(0)
	; wave barrier
	s_and_saveexec_b64 s[6:7], s[4:5]
	s_cbranch_execz .LBB46_10
; %bb.5:
	s_and_b64 vcc, exec, s[10:11]
	s_cbranch_vccz .LBB46_7
; %bb.6:
	buffer_load_dword v95, v99, s[0:3], 0 offen
	buffer_load_dword v96, v99, s[0:3], 0 offen offset:4
	ds_read_b64 v[100:101], v98
	s_waitcnt vmcnt(0) lgkmcnt(0)
	v_mul_f64 v[95:96], v[95:96], v[100:101]
	s_cbranch_execz .LBB46_8
	s_branch .LBB46_9
.LBB46_7:
                                        ; implicit-def: $vgpr95_vgpr96
.LBB46_8:
	ds_read_b64 v[95:96], v98
.LBB46_9:
	v_mov_b32_e32 v100, 0
	ds_read_b64 v[100:101], v100 offset:360
	s_waitcnt lgkmcnt(0)
	v_mul_f64 v[95:96], v[95:96], v[100:101]
	buffer_store_dword v96, off, s[0:3], 0 offset:364
	buffer_store_dword v95, off, s[0:3], 0 offset:360
.LBB46_10:
	s_or_b64 exec, exec, s[6:7]
	buffer_load_dword v95, off, s[0:3], 0 offset:352
	buffer_load_dword v96, off, s[0:3], 0 offset:356
	s_or_b32 s14, 0, 8
	s_mov_b32 s15, 16
	s_mov_b32 s16, 24
	;; [unrolled: 1-line block ×9, first 2 shown]
	v_cmp_lt_u32_e64 s[6:7], 44, v0
	s_waitcnt vmcnt(0)
	ds_write_b64 v98, v[95:96]
	s_waitcnt lgkmcnt(0)
	; wave barrier
	s_and_saveexec_b64 s[8:9], s[6:7]
	s_cbranch_execz .LBB46_16
; %bb.11:
	s_andn2_b64 vcc, exec, s[10:11]
	s_cbranch_vccnz .LBB46_13
; %bb.12:
	buffer_load_dword v95, v99, s[0:3], 0 offen
	buffer_load_dword v96, v99, s[0:3], 0 offen offset:4
	ds_read_b64 v[100:101], v98
	s_waitcnt vmcnt(0) lgkmcnt(0)
	v_mul_f64 v[95:96], v[95:96], v[100:101]
	s_cbranch_execz .LBB46_14
	s_branch .LBB46_15
.LBB46_13:
                                        ; implicit-def: $vgpr95_vgpr96
.LBB46_14:
	ds_read_b64 v[95:96], v98
.LBB46_15:
	buffer_load_dword v104, off, s[0:3], 0 offset:360
	buffer_load_dword v105, off, s[0:3], 0 offset:364
	v_mov_b32_e32 v100, 0
	ds_read2_b64 v[100:103], v100 offset0:44 offset1:93
	s_waitcnt vmcnt(0) lgkmcnt(0)
	v_fma_f64 v[102:103], v[104:105], v[102:103], v[95:96]
	v_cndmask_b32_e64 v96, v96, v103, s[4:5]
	v_cndmask_b32_e64 v95, v95, v102, s[4:5]
	v_mul_f64 v[95:96], v[95:96], v[100:101]
	buffer_store_dword v96, off, s[0:3], 0 offset:356
	buffer_store_dword v95, off, s[0:3], 0 offset:352
.LBB46_16:
	s_or_b64 exec, exec, s[8:9]
	buffer_load_dword v95, off, s[0:3], 0 offset:344
	buffer_load_dword v96, off, s[0:3], 0 offset:348
	v_cmp_lt_u32_e64 s[4:5], 43, v0
	s_waitcnt vmcnt(0)
	ds_write_b64 v98, v[95:96]
	s_waitcnt lgkmcnt(0)
	; wave barrier
	s_and_saveexec_b64 s[8:9], s[4:5]
	s_cbranch_execz .LBB46_26
; %bb.17:
	s_andn2_b64 vcc, exec, s[10:11]
	s_cbranch_vccnz .LBB46_19
; %bb.18:
	buffer_load_dword v95, v99, s[0:3], 0 offen
	buffer_load_dword v96, v99, s[0:3], 0 offen offset:4
	ds_read_b64 v[100:101], v98
	s_waitcnt vmcnt(0) lgkmcnt(0)
	v_mul_f64 v[95:96], v[95:96], v[100:101]
	s_cbranch_execz .LBB46_20
	s_branch .LBB46_21
.LBB46_19:
                                        ; implicit-def: $vgpr95_vgpr96
.LBB46_20:
	ds_read_b64 v[95:96], v98
.LBB46_21:
	s_and_saveexec_b64 s[12:13], s[6:7]
	s_cbranch_execz .LBB46_25
; %bb.22:
	v_subrev_u32_e32 v100, 44, v0
	s_movk_i32 s59, 0x2e0
	s_mov_b64 s[6:7], 0
.LBB46_23:                              ; =>This Inner Loop Header: Depth=1
	v_mov_b32_e32 v102, s58
	buffer_load_dword v101, v102, s[0:3], 0 offen
	s_nop 0
	buffer_load_dword v102, v102, s[0:3], 0 offen offset:4
	v_mov_b32_e32 v103, s59
	ds_read_b64 v[103:104], v103
	v_add_u32_e32 v100, -1, v100
	s_add_i32 s59, s59, 8
	s_add_i32 s58, s58, 8
	v_cmp_eq_u32_e32 vcc, 0, v100
	s_or_b64 s[6:7], vcc, s[6:7]
	s_waitcnt vmcnt(0) lgkmcnt(0)
	v_fma_f64 v[95:96], v[101:102], v[103:104], v[95:96]
	s_andn2_b64 exec, exec, s[6:7]
	s_cbranch_execnz .LBB46_23
; %bb.24:
	s_or_b64 exec, exec, s[6:7]
.LBB46_25:
	s_or_b64 exec, exec, s[12:13]
	v_mov_b32_e32 v100, 0
	ds_read_b64 v[100:101], v100 offset:344
	s_waitcnt lgkmcnt(0)
	v_mul_f64 v[95:96], v[95:96], v[100:101]
	buffer_store_dword v96, off, s[0:3], 0 offset:348
	buffer_store_dword v95, off, s[0:3], 0 offset:344
.LBB46_26:
	s_or_b64 exec, exec, s[8:9]
	buffer_load_dword v95, off, s[0:3], 0 offset:336
	buffer_load_dword v96, off, s[0:3], 0 offset:340
	v_cmp_lt_u32_e64 s[6:7], 42, v0
	s_waitcnt vmcnt(0)
	ds_write_b64 v98, v[95:96]
	s_waitcnt lgkmcnt(0)
	; wave barrier
	s_and_saveexec_b64 s[8:9], s[6:7]
	s_cbranch_execz .LBB46_36
; %bb.27:
	s_andn2_b64 vcc, exec, s[10:11]
	s_cbranch_vccnz .LBB46_29
; %bb.28:
	buffer_load_dword v95, v99, s[0:3], 0 offen
	buffer_load_dword v96, v99, s[0:3], 0 offen offset:4
	ds_read_b64 v[100:101], v98
	s_waitcnt vmcnt(0) lgkmcnt(0)
	v_mul_f64 v[95:96], v[95:96], v[100:101]
	s_cbranch_execz .LBB46_30
	s_branch .LBB46_31
.LBB46_29:
                                        ; implicit-def: $vgpr95_vgpr96
.LBB46_30:
	ds_read_b64 v[95:96], v98
.LBB46_31:
	s_and_saveexec_b64 s[12:13], s[4:5]
	s_cbranch_execz .LBB46_35
; %bb.32:
	v_subrev_u32_e32 v100, 43, v0
	s_movk_i32 s58, 0x2d8
	s_mov_b64 s[4:5], 0
.LBB46_33:                              ; =>This Inner Loop Header: Depth=1
	v_mov_b32_e32 v102, s57
	buffer_load_dword v101, v102, s[0:3], 0 offen
	s_nop 0
	buffer_load_dword v102, v102, s[0:3], 0 offen offset:4
	v_mov_b32_e32 v103, s58
	ds_read_b64 v[103:104], v103
	v_add_u32_e32 v100, -1, v100
	s_add_i32 s58, s58, 8
	s_add_i32 s57, s57, 8
	v_cmp_eq_u32_e32 vcc, 0, v100
	s_or_b64 s[4:5], vcc, s[4:5]
	s_waitcnt vmcnt(0) lgkmcnt(0)
	v_fma_f64 v[95:96], v[101:102], v[103:104], v[95:96]
	s_andn2_b64 exec, exec, s[4:5]
	s_cbranch_execnz .LBB46_33
; %bb.34:
	s_or_b64 exec, exec, s[4:5]
.LBB46_35:
	s_or_b64 exec, exec, s[12:13]
	v_mov_b32_e32 v100, 0
	ds_read_b64 v[100:101], v100 offset:336
	s_waitcnt lgkmcnt(0)
	v_mul_f64 v[95:96], v[95:96], v[100:101]
	buffer_store_dword v96, off, s[0:3], 0 offset:340
	buffer_store_dword v95, off, s[0:3], 0 offset:336
.LBB46_36:
	;; [unrolled: 59-line block ×8, first 2 shown]
	s_or_b64 exec, exec, s[8:9]
	buffer_load_dword v95, off, s[0:3], 0 offset:280
	buffer_load_dword v96, off, s[0:3], 0 offset:284
	v_cmp_lt_u32_e64 s[4:5], 35, v0
	s_waitcnt vmcnt(0)
	ds_write_b64 v98, v[95:96]
	s_waitcnt lgkmcnt(0)
	; wave barrier
	s_and_saveexec_b64 s[8:9], s[4:5]
	s_cbranch_execz .LBB46_106
; %bb.97:
	s_andn2_b64 vcc, exec, s[10:11]
	s_cbranch_vccnz .LBB46_99
; %bb.98:
	buffer_load_dword v95, v99, s[0:3], 0 offen
	buffer_load_dword v96, v99, s[0:3], 0 offen offset:4
	ds_read_b64 v[100:101], v98
	s_waitcnt vmcnt(0) lgkmcnt(0)
	v_mul_f64 v[95:96], v[95:96], v[100:101]
	s_cbranch_execz .LBB46_100
	s_branch .LBB46_101
.LBB46_99:
                                        ; implicit-def: $vgpr95_vgpr96
.LBB46_100:
	ds_read_b64 v[95:96], v98
.LBB46_101:
	s_and_saveexec_b64 s[12:13], s[6:7]
	s_cbranch_execz .LBB46_105
; %bb.102:
	v_subrev_u32_e32 v100, 36, v0
	s_movk_i32 s51, 0x2a0
	s_mov_b64 s[6:7], 0
.LBB46_103:                             ; =>This Inner Loop Header: Depth=1
	v_mov_b32_e32 v103, s50
	buffer_load_dword v101, v103, s[0:3], 0 offen
	buffer_load_dword v102, v103, s[0:3], 0 offen offset:4
	v_mov_b32_e32 v103, s51
	ds_read_b64 v[103:104], v103
	v_add_u32_e32 v100, -1, v100
	s_add_i32 s51, s51, 8
	s_add_i32 s50, s50, 8
	v_cmp_eq_u32_e32 vcc, 0, v100
	s_or_b64 s[6:7], vcc, s[6:7]
	s_waitcnt vmcnt(0) lgkmcnt(0)
	v_fma_f64 v[95:96], v[101:102], v[103:104], v[95:96]
	s_andn2_b64 exec, exec, s[6:7]
	s_cbranch_execnz .LBB46_103
; %bb.104:
	s_or_b64 exec, exec, s[6:7]
.LBB46_105:
	s_or_b64 exec, exec, s[12:13]
	v_mov_b32_e32 v100, 0
	ds_read_b64 v[100:101], v100 offset:280
	s_waitcnt lgkmcnt(0)
	v_mul_f64 v[95:96], v[95:96], v[100:101]
	buffer_store_dword v96, off, s[0:3], 0 offset:284
	buffer_store_dword v95, off, s[0:3], 0 offset:280
.LBB46_106:
	s_or_b64 exec, exec, s[8:9]
	buffer_load_dword v95, off, s[0:3], 0 offset:272
	buffer_load_dword v96, off, s[0:3], 0 offset:276
	v_cmp_lt_u32_e64 s[6:7], 34, v0
	s_waitcnt vmcnt(0)
	ds_write_b64 v98, v[95:96]
	s_waitcnt lgkmcnt(0)
	; wave barrier
	s_and_saveexec_b64 s[8:9], s[6:7]
	s_cbranch_execz .LBB46_116
; %bb.107:
	s_andn2_b64 vcc, exec, s[10:11]
	s_cbranch_vccnz .LBB46_109
; %bb.108:
	buffer_load_dword v95, v99, s[0:3], 0 offen
	buffer_load_dword v96, v99, s[0:3], 0 offen offset:4
	ds_read_b64 v[100:101], v98
	s_waitcnt vmcnt(0) lgkmcnt(0)
	v_mul_f64 v[95:96], v[95:96], v[100:101]
	s_cbranch_execz .LBB46_110
	s_branch .LBB46_111
.LBB46_109:
                                        ; implicit-def: $vgpr95_vgpr96
.LBB46_110:
	ds_read_b64 v[95:96], v98
.LBB46_111:
	s_and_saveexec_b64 s[12:13], s[4:5]
	s_cbranch_execz .LBB46_115
; %bb.112:
	v_subrev_u32_e32 v100, 35, v0
	s_movk_i32 s50, 0x298
	s_mov_b64 s[4:5], 0
.LBB46_113:                             ; =>This Inner Loop Header: Depth=1
	v_mov_b32_e32 v103, s49
	buffer_load_dword v101, v103, s[0:3], 0 offen
	buffer_load_dword v102, v103, s[0:3], 0 offen offset:4
	v_mov_b32_e32 v103, s50
	ds_read_b64 v[103:104], v103
	v_add_u32_e32 v100, -1, v100
	s_add_i32 s50, s50, 8
	s_add_i32 s49, s49, 8
	v_cmp_eq_u32_e32 vcc, 0, v100
	s_or_b64 s[4:5], vcc, s[4:5]
	s_waitcnt vmcnt(0) lgkmcnt(0)
	v_fma_f64 v[95:96], v[101:102], v[103:104], v[95:96]
	s_andn2_b64 exec, exec, s[4:5]
	s_cbranch_execnz .LBB46_113
; %bb.114:
	s_or_b64 exec, exec, s[4:5]
.LBB46_115:
	s_or_b64 exec, exec, s[12:13]
	v_mov_b32_e32 v100, 0
	ds_read_b64 v[100:101], v100 offset:272
	s_waitcnt lgkmcnt(0)
	v_mul_f64 v[95:96], v[95:96], v[100:101]
	buffer_store_dword v96, off, s[0:3], 0 offset:276
	buffer_store_dword v95, off, s[0:3], 0 offset:272
.LBB46_116:
	;; [unrolled: 58-line block ×20, first 2 shown]
	s_or_b64 exec, exec, s[8:9]
	buffer_load_dword v95, off, s[0:3], 0 offset:120
	buffer_load_dword v96, off, s[0:3], 0 offset:124
	v_cmp_lt_u32_e64 s[4:5], 15, v0
	s_waitcnt vmcnt(0)
	ds_write_b64 v98, v[95:96]
	s_waitcnt lgkmcnt(0)
	; wave barrier
	s_and_saveexec_b64 s[8:9], s[4:5]
	s_cbranch_execz .LBB46_306
; %bb.297:
	s_andn2_b64 vcc, exec, s[10:11]
	s_cbranch_vccnz .LBB46_299
; %bb.298:
	buffer_load_dword v95, v99, s[0:3], 0 offen
	buffer_load_dword v96, v99, s[0:3], 0 offen offset:4
	ds_read_b64 v[100:101], v98
	s_waitcnt vmcnt(0) lgkmcnt(0)
	v_mul_f64 v[95:96], v[95:96], v[100:101]
	s_cbranch_execz .LBB46_300
	s_branch .LBB46_301
.LBB46_299:
                                        ; implicit-def: $vgpr95_vgpr96
.LBB46_300:
	ds_read_b64 v[95:96], v98
.LBB46_301:
	s_and_saveexec_b64 s[12:13], s[6:7]
	s_cbranch_execz .LBB46_305
; %bb.302:
	v_add_u32_e32 v100, -16, v0
	s_movk_i32 s30, 0x200
	s_mov_b64 s[6:7], 0
.LBB46_303:                             ; =>This Inner Loop Header: Depth=1
	v_mov_b32_e32 v103, s29
	buffer_load_dword v101, v103, s[0:3], 0 offen
	buffer_load_dword v102, v103, s[0:3], 0 offen offset:4
	v_mov_b32_e32 v103, s30
	ds_read_b64 v[103:104], v103
	v_add_u32_e32 v100, -1, v100
	s_add_i32 s30, s30, 8
	s_add_i32 s29, s29, 8
	v_cmp_eq_u32_e32 vcc, 0, v100
	s_or_b64 s[6:7], vcc, s[6:7]
	s_waitcnt vmcnt(0) lgkmcnt(0)
	v_fma_f64 v[95:96], v[101:102], v[103:104], v[95:96]
	s_andn2_b64 exec, exec, s[6:7]
	s_cbranch_execnz .LBB46_303
; %bb.304:
	s_or_b64 exec, exec, s[6:7]
.LBB46_305:
	s_or_b64 exec, exec, s[12:13]
	v_mov_b32_e32 v100, 0
	ds_read_b64 v[100:101], v100 offset:120
	s_waitcnt lgkmcnt(0)
	v_mul_f64 v[95:96], v[95:96], v[100:101]
	buffer_store_dword v96, off, s[0:3], 0 offset:124
	buffer_store_dword v95, off, s[0:3], 0 offset:120
.LBB46_306:
	s_or_b64 exec, exec, s[8:9]
	buffer_load_dword v95, off, s[0:3], 0 offset:112
	buffer_load_dword v96, off, s[0:3], 0 offset:116
	v_cmp_lt_u32_e64 s[6:7], 14, v0
	s_waitcnt vmcnt(0)
	ds_write_b64 v98, v[95:96]
	s_waitcnt lgkmcnt(0)
	; wave barrier
	s_and_saveexec_b64 s[8:9], s[6:7]
	s_cbranch_execz .LBB46_316
; %bb.307:
	s_andn2_b64 vcc, exec, s[10:11]
	s_cbranch_vccnz .LBB46_309
; %bb.308:
	buffer_load_dword v95, v99, s[0:3], 0 offen
	buffer_load_dword v96, v99, s[0:3], 0 offen offset:4
	ds_read_b64 v[100:101], v98
	s_waitcnt vmcnt(0) lgkmcnt(0)
	v_mul_f64 v[95:96], v[95:96], v[100:101]
	s_cbranch_execz .LBB46_310
	s_branch .LBB46_311
.LBB46_309:
                                        ; implicit-def: $vgpr95_vgpr96
.LBB46_310:
	ds_read_b64 v[95:96], v98
.LBB46_311:
	s_and_saveexec_b64 s[12:13], s[4:5]
	s_cbranch_execz .LBB46_315
; %bb.312:
	v_add_u32_e32 v100, -15, v0
	s_movk_i32 s29, 0x1f8
	s_mov_b64 s[4:5], 0
.LBB46_313:                             ; =>This Inner Loop Header: Depth=1
	v_mov_b32_e32 v103, s28
	buffer_load_dword v101, v103, s[0:3], 0 offen
	buffer_load_dword v102, v103, s[0:3], 0 offen offset:4
	v_mov_b32_e32 v103, s29
	ds_read_b64 v[103:104], v103
	v_add_u32_e32 v100, -1, v100
	s_add_i32 s29, s29, 8
	s_add_i32 s28, s28, 8
	v_cmp_eq_u32_e32 vcc, 0, v100
	s_or_b64 s[4:5], vcc, s[4:5]
	s_waitcnt vmcnt(0) lgkmcnt(0)
	v_fma_f64 v[95:96], v[101:102], v[103:104], v[95:96]
	s_andn2_b64 exec, exec, s[4:5]
	s_cbranch_execnz .LBB46_313
; %bb.314:
	s_or_b64 exec, exec, s[4:5]
.LBB46_315:
	s_or_b64 exec, exec, s[12:13]
	v_mov_b32_e32 v100, 0
	ds_read_b64 v[100:101], v100 offset:112
	s_waitcnt lgkmcnt(0)
	v_mul_f64 v[95:96], v[95:96], v[100:101]
	buffer_store_dword v96, off, s[0:3], 0 offset:116
	buffer_store_dword v95, off, s[0:3], 0 offset:112
.LBB46_316:
	;; [unrolled: 58-line block ×15, first 2 shown]
	s_or_b64 exec, exec, s[8:9]
	buffer_load_dword v95, off, s[0:3], 0
	buffer_load_dword v96, off, s[0:3], 0 offset:4
	v_cmp_ne_u32_e32 vcc, 0, v0
	s_waitcnt vmcnt(0)
	ds_write_b64 v98, v[95:96]
	s_waitcnt lgkmcnt(0)
	; wave barrier
	s_and_saveexec_b64 s[6:7], vcc
	s_cbranch_execz .LBB46_456
; %bb.447:
	s_andn2_b64 vcc, exec, s[10:11]
	s_cbranch_vccnz .LBB46_449
; %bb.448:
	buffer_load_dword v95, v99, s[0:3], 0 offen
	buffer_load_dword v96, v99, s[0:3], 0 offen offset:4
	ds_read_b64 v[100:101], v98
	s_waitcnt vmcnt(0) lgkmcnt(0)
	v_mul_f64 v[95:96], v[95:96], v[100:101]
	s_cbranch_execz .LBB46_450
	s_branch .LBB46_451
.LBB46_449:
                                        ; implicit-def: $vgpr95_vgpr96
.LBB46_450:
	ds_read_b64 v[95:96], v98
.LBB46_451:
	s_and_saveexec_b64 s[8:9], s[4:5]
	s_cbranch_execz .LBB46_455
; %bb.452:
	v_add_u32_e32 v100, -1, v0
	s_movk_i32 s12, 0x188
	s_mov_b64 s[4:5], 0
.LBB46_453:                             ; =>This Inner Loop Header: Depth=1
	v_mov_b32_e32 v103, s14
	buffer_load_dword v101, v103, s[0:3], 0 offen
	buffer_load_dword v102, v103, s[0:3], 0 offen offset:4
	v_mov_b32_e32 v103, s12
	ds_read_b64 v[103:104], v103
	v_add_u32_e32 v100, -1, v100
	s_add_i32 s12, s12, 8
	s_add_i32 s14, s14, 8
	v_cmp_eq_u32_e32 vcc, 0, v100
	s_or_b64 s[4:5], vcc, s[4:5]
	s_waitcnt vmcnt(0) lgkmcnt(0)
	v_fma_f64 v[95:96], v[101:102], v[103:104], v[95:96]
	s_andn2_b64 exec, exec, s[4:5]
	s_cbranch_execnz .LBB46_453
; %bb.454:
	s_or_b64 exec, exec, s[4:5]
.LBB46_455:
	s_or_b64 exec, exec, s[8:9]
	v_mov_b32_e32 v100, 0
	ds_read_b64 v[100:101], v100
	s_waitcnt lgkmcnt(0)
	v_mul_f64 v[95:96], v[95:96], v[100:101]
	buffer_store_dword v96, off, s[0:3], 0 offset:4
	buffer_store_dword v95, off, s[0:3], 0
.LBB46_456:
	s_or_b64 exec, exec, s[6:7]
	s_mov_b64 s[4:5], 0
.LBB46_457:
	s_and_b64 vcc, exec, s[4:5]
	s_cbranch_vccz .LBB46_909
; %bb.458:
	buffer_load_dword v95, off, s[0:3], 0 offset:8
	buffer_load_dword v96, off, s[0:3], 0 offset:12
	v_cmp_eq_u32_e64 s[6:7], 0, v0
	s_waitcnt vmcnt(0)
	ds_write_b64 v98, v[95:96]
	s_waitcnt lgkmcnt(0)
	; wave barrier
	s_and_saveexec_b64 s[4:5], s[6:7]
	s_cbranch_execz .LBB46_464
; %bb.459:
	s_and_b64 vcc, exec, s[10:11]
	s_cbranch_vccz .LBB46_461
; %bb.460:
	buffer_load_dword v95, v99, s[0:3], 0 offen
	buffer_load_dword v96, v99, s[0:3], 0 offen offset:4
	ds_read_b64 v[100:101], v98
	s_waitcnt vmcnt(0) lgkmcnt(0)
	v_mul_f64 v[95:96], v[95:96], v[100:101]
	s_cbranch_execz .LBB46_462
	s_branch .LBB46_463
.LBB46_461:
                                        ; implicit-def: $vgpr95_vgpr96
.LBB46_462:
	ds_read_b64 v[95:96], v98
.LBB46_463:
	v_mov_b32_e32 v100, 0
	ds_read_b64 v[100:101], v100 offset:8
	s_waitcnt lgkmcnt(0)
	v_mul_f64 v[95:96], v[95:96], v[100:101]
	buffer_store_dword v96, off, s[0:3], 0 offset:12
	buffer_store_dword v95, off, s[0:3], 0 offset:8
.LBB46_464:
	s_or_b64 exec, exec, s[4:5]
	buffer_load_dword v95, off, s[0:3], 0 offset:16
	buffer_load_dword v96, off, s[0:3], 0 offset:20
	v_cndmask_b32_e64 v100, 0, 1, s[10:11]
	v_cmp_gt_u32_e32 vcc, 2, v0
	v_cmp_ne_u32_e64 s[4:5], 1, v100
	s_waitcnt vmcnt(0)
	ds_write_b64 v98, v[95:96]
	s_waitcnt lgkmcnt(0)
	; wave barrier
	s_and_saveexec_b64 s[8:9], vcc
	s_cbranch_execz .LBB46_470
; %bb.465:
	s_and_b64 vcc, exec, s[4:5]
	s_cbranch_vccnz .LBB46_467
; %bb.466:
	buffer_load_dword v95, v99, s[0:3], 0 offen
	buffer_load_dword v96, v99, s[0:3], 0 offen offset:4
	ds_read_b64 v[100:101], v98
	s_waitcnt vmcnt(0) lgkmcnt(0)
	v_mul_f64 v[95:96], v[95:96], v[100:101]
	s_cbranch_execz .LBB46_468
	s_branch .LBB46_469
.LBB46_467:
                                        ; implicit-def: $vgpr95_vgpr96
.LBB46_468:
	ds_read_b64 v[95:96], v98
.LBB46_469:
	buffer_load_dword v104, off, s[0:3], 0 offset:8
	buffer_load_dword v105, off, s[0:3], 0 offset:12
	v_mov_b32_e32 v100, 0
	ds_read2_b64 v[100:103], v100 offset0:2 offset1:49
	s_waitcnt vmcnt(0) lgkmcnt(0)
	v_fma_f64 v[102:103], v[104:105], v[102:103], v[95:96]
	v_cndmask_b32_e64 v96, v96, v103, s[6:7]
	v_cndmask_b32_e64 v95, v95, v102, s[6:7]
	v_mul_f64 v[95:96], v[95:96], v[100:101]
	buffer_store_dword v96, off, s[0:3], 0 offset:20
	buffer_store_dword v95, off, s[0:3], 0 offset:16
.LBB46_470:
	s_or_b64 exec, exec, s[8:9]
	buffer_load_dword v95, off, s[0:3], 0 offset:24
	buffer_load_dword v96, off, s[0:3], 0 offset:28
	v_cmp_gt_u32_e32 vcc, 3, v0
	s_waitcnt vmcnt(0)
	ds_write_b64 v98, v[95:96]
	s_waitcnt lgkmcnt(0)
	; wave barrier
	s_and_saveexec_b64 s[8:9], vcc
	s_cbranch_execz .LBB46_478
; %bb.471:
	s_and_b64 vcc, exec, s[4:5]
	s_cbranch_vccnz .LBB46_473
; %bb.472:
	buffer_load_dword v95, v99, s[0:3], 0 offen
	buffer_load_dword v96, v99, s[0:3], 0 offen offset:4
	ds_read_b64 v[100:101], v98
	s_waitcnt vmcnt(0) lgkmcnt(0)
	v_mul_f64 v[95:96], v[95:96], v[100:101]
	s_cbranch_execz .LBB46_474
	s_branch .LBB46_475
.LBB46_473:
                                        ; implicit-def: $vgpr95_vgpr96
.LBB46_474:
	ds_read_b64 v[95:96], v98
.LBB46_475:
	v_cmp_ne_u32_e32 vcc, 2, v0
	s_and_saveexec_b64 s[10:11], vcc
	s_cbranch_execz .LBB46_477
; %bb.476:
	buffer_load_dword v100, v99, s[0:3], 0 offen offset:8
	buffer_load_dword v101, v99, s[0:3], 0 offen offset:12
	buffer_load_dword v102, off, s[0:3], 0 offset:16
	buffer_load_dword v103, off, s[0:3], 0 offset:20
	ds_read_b64 v[104:105], v98 offset:8
	v_mov_b32_e32 v106, 0
	ds_read_b64 v[106:107], v106 offset:400
	s_waitcnt vmcnt(2) lgkmcnt(1)
	v_fma_f64 v[95:96], v[100:101], v[104:105], v[95:96]
	s_waitcnt vmcnt(0) lgkmcnt(0)
	v_fma_f64 v[100:101], v[102:103], v[106:107], v[95:96]
	v_cndmask_b32_e64 v96, v96, v101, s[6:7]
	v_cndmask_b32_e64 v95, v95, v100, s[6:7]
.LBB46_477:
	s_or_b64 exec, exec, s[10:11]
	v_mov_b32_e32 v100, 0
	ds_read_b64 v[100:101], v100 offset:24
	s_waitcnt lgkmcnt(0)
	v_mul_f64 v[95:96], v[95:96], v[100:101]
	buffer_store_dword v96, off, s[0:3], 0 offset:28
	buffer_store_dword v95, off, s[0:3], 0 offset:24
.LBB46_478:
	s_or_b64 exec, exec, s[8:9]
	buffer_load_dword v95, off, s[0:3], 0 offset:32
	buffer_load_dword v96, off, s[0:3], 0 offset:36
	v_cmp_gt_u32_e32 vcc, 4, v0
	s_waitcnt vmcnt(0)
	ds_write_b64 v98, v[95:96]
	s_waitcnt lgkmcnt(0)
	; wave barrier
	s_and_saveexec_b64 s[6:7], vcc
	s_cbranch_execz .LBB46_488
; %bb.479:
	s_and_b64 vcc, exec, s[4:5]
	s_cbranch_vccnz .LBB46_481
; %bb.480:
	buffer_load_dword v95, v99, s[0:3], 0 offen
	buffer_load_dword v96, v99, s[0:3], 0 offen offset:4
	ds_read_b64 v[100:101], v98
	s_waitcnt vmcnt(0) lgkmcnt(0)
	v_mul_f64 v[95:96], v[95:96], v[100:101]
	s_cbranch_execz .LBB46_482
	s_branch .LBB46_483
.LBB46_481:
                                        ; implicit-def: $vgpr95_vgpr96
.LBB46_482:
	ds_read_b64 v[95:96], v98
.LBB46_483:
	v_cmp_ne_u32_e32 vcc, 3, v0
	s_and_saveexec_b64 s[8:9], vcc
	s_cbranch_execz .LBB46_487
; %bb.484:
	s_mov_b32 s10, 0
	v_add_u32_e32 v100, 0x188, v97
	v_add3_u32 v101, v97, s10, 8
	s_mov_b64 s[10:11], 0
	v_mov_b32_e32 v102, v0
.LBB46_485:                             ; =>This Inner Loop Header: Depth=1
	buffer_load_dword v103, v101, s[0:3], 0 offen
	buffer_load_dword v104, v101, s[0:3], 0 offen offset:4
	ds_read_b64 v[105:106], v100
	v_add_u32_e32 v102, 1, v102
	v_cmp_lt_u32_e32 vcc, 2, v102
	v_add_u32_e32 v100, 8, v100
	s_or_b64 s[10:11], vcc, s[10:11]
	v_add_u32_e32 v101, 8, v101
	s_waitcnt vmcnt(0) lgkmcnt(0)
	v_fma_f64 v[95:96], v[103:104], v[105:106], v[95:96]
	s_andn2_b64 exec, exec, s[10:11]
	s_cbranch_execnz .LBB46_485
; %bb.486:
	s_or_b64 exec, exec, s[10:11]
.LBB46_487:
	s_or_b64 exec, exec, s[8:9]
	v_mov_b32_e32 v100, 0
	ds_read_b64 v[100:101], v100 offset:32
	s_waitcnt lgkmcnt(0)
	v_mul_f64 v[95:96], v[95:96], v[100:101]
	buffer_store_dword v96, off, s[0:3], 0 offset:36
	buffer_store_dword v95, off, s[0:3], 0 offset:32
.LBB46_488:
	s_or_b64 exec, exec, s[6:7]
	buffer_load_dword v95, off, s[0:3], 0 offset:40
	buffer_load_dword v96, off, s[0:3], 0 offset:44
	v_cmp_gt_u32_e32 vcc, 5, v0
	s_waitcnt vmcnt(0)
	ds_write_b64 v98, v[95:96]
	s_waitcnt lgkmcnt(0)
	; wave barrier
	s_and_saveexec_b64 s[6:7], vcc
	s_cbranch_execz .LBB46_498
; %bb.489:
	s_and_b64 vcc, exec, s[4:5]
	s_cbranch_vccnz .LBB46_491
; %bb.490:
	buffer_load_dword v95, v99, s[0:3], 0 offen
	buffer_load_dword v96, v99, s[0:3], 0 offen offset:4
	ds_read_b64 v[100:101], v98
	s_waitcnt vmcnt(0) lgkmcnt(0)
	v_mul_f64 v[95:96], v[95:96], v[100:101]
	s_cbranch_execz .LBB46_492
	s_branch .LBB46_493
.LBB46_491:
                                        ; implicit-def: $vgpr95_vgpr96
.LBB46_492:
	ds_read_b64 v[95:96], v98
.LBB46_493:
	v_cmp_ne_u32_e32 vcc, 4, v0
	s_and_saveexec_b64 s[8:9], vcc
	s_cbranch_execz .LBB46_497
; %bb.494:
	s_mov_b32 s10, 0
	v_add_u32_e32 v100, 0x188, v97
	v_add3_u32 v101, v97, s10, 8
	s_mov_b64 s[10:11], 0
	v_mov_b32_e32 v102, v0
.LBB46_495:                             ; =>This Inner Loop Header: Depth=1
	buffer_load_dword v103, v101, s[0:3], 0 offen
	buffer_load_dword v104, v101, s[0:3], 0 offen offset:4
	ds_read_b64 v[105:106], v100
	v_add_u32_e32 v102, 1, v102
	v_cmp_lt_u32_e32 vcc, 3, v102
	v_add_u32_e32 v100, 8, v100
	s_or_b64 s[10:11], vcc, s[10:11]
	v_add_u32_e32 v101, 8, v101
	s_waitcnt vmcnt(0) lgkmcnt(0)
	v_fma_f64 v[95:96], v[103:104], v[105:106], v[95:96]
	s_andn2_b64 exec, exec, s[10:11]
	s_cbranch_execnz .LBB46_495
; %bb.496:
	s_or_b64 exec, exec, s[10:11]
.LBB46_497:
	s_or_b64 exec, exec, s[8:9]
	v_mov_b32_e32 v100, 0
	ds_read_b64 v[100:101], v100 offset:40
	s_waitcnt lgkmcnt(0)
	v_mul_f64 v[95:96], v[95:96], v[100:101]
	buffer_store_dword v96, off, s[0:3], 0 offset:44
	buffer_store_dword v95, off, s[0:3], 0 offset:40
.LBB46_498:
	s_or_b64 exec, exec, s[6:7]
	buffer_load_dword v95, off, s[0:3], 0 offset:48
	buffer_load_dword v96, off, s[0:3], 0 offset:52
	v_cmp_gt_u32_e32 vcc, 6, v0
	s_waitcnt vmcnt(0)
	ds_write_b64 v98, v[95:96]
	s_waitcnt lgkmcnt(0)
	; wave barrier
	s_and_saveexec_b64 s[6:7], vcc
	s_cbranch_execz .LBB46_508
; %bb.499:
	s_and_b64 vcc, exec, s[4:5]
	s_cbranch_vccnz .LBB46_501
; %bb.500:
	buffer_load_dword v95, v99, s[0:3], 0 offen
	buffer_load_dword v96, v99, s[0:3], 0 offen offset:4
	ds_read_b64 v[100:101], v98
	s_waitcnt vmcnt(0) lgkmcnt(0)
	v_mul_f64 v[95:96], v[95:96], v[100:101]
	s_cbranch_execz .LBB46_502
	s_branch .LBB46_503
.LBB46_501:
                                        ; implicit-def: $vgpr95_vgpr96
.LBB46_502:
	ds_read_b64 v[95:96], v98
.LBB46_503:
	v_cmp_ne_u32_e32 vcc, 5, v0
	s_and_saveexec_b64 s[8:9], vcc
	s_cbranch_execz .LBB46_507
; %bb.504:
	s_mov_b32 s10, 0
	v_add_u32_e32 v100, 0x188, v97
	v_add3_u32 v101, v97, s10, 8
	s_mov_b64 s[10:11], 0
	v_mov_b32_e32 v102, v0
.LBB46_505:                             ; =>This Inner Loop Header: Depth=1
	buffer_load_dword v103, v101, s[0:3], 0 offen
	buffer_load_dword v104, v101, s[0:3], 0 offen offset:4
	ds_read_b64 v[105:106], v100
	v_add_u32_e32 v102, 1, v102
	v_cmp_lt_u32_e32 vcc, 4, v102
	v_add_u32_e32 v100, 8, v100
	s_or_b64 s[10:11], vcc, s[10:11]
	v_add_u32_e32 v101, 8, v101
	s_waitcnt vmcnt(0) lgkmcnt(0)
	v_fma_f64 v[95:96], v[103:104], v[105:106], v[95:96]
	s_andn2_b64 exec, exec, s[10:11]
	s_cbranch_execnz .LBB46_505
; %bb.506:
	s_or_b64 exec, exec, s[10:11]
.LBB46_507:
	s_or_b64 exec, exec, s[8:9]
	v_mov_b32_e32 v100, 0
	ds_read_b64 v[100:101], v100 offset:48
	s_waitcnt lgkmcnt(0)
	v_mul_f64 v[95:96], v[95:96], v[100:101]
	buffer_store_dword v96, off, s[0:3], 0 offset:52
	buffer_store_dword v95, off, s[0:3], 0 offset:48
.LBB46_508:
	s_or_b64 exec, exec, s[6:7]
	buffer_load_dword v95, off, s[0:3], 0 offset:56
	buffer_load_dword v96, off, s[0:3], 0 offset:60
	v_cmp_gt_u32_e32 vcc, 7, v0
	s_waitcnt vmcnt(0)
	ds_write_b64 v98, v[95:96]
	s_waitcnt lgkmcnt(0)
	; wave barrier
	s_and_saveexec_b64 s[6:7], vcc
	s_cbranch_execz .LBB46_518
; %bb.509:
	s_and_b64 vcc, exec, s[4:5]
	s_cbranch_vccnz .LBB46_511
; %bb.510:
	buffer_load_dword v95, v99, s[0:3], 0 offen
	buffer_load_dword v96, v99, s[0:3], 0 offen offset:4
	ds_read_b64 v[100:101], v98
	s_waitcnt vmcnt(0) lgkmcnt(0)
	v_mul_f64 v[95:96], v[95:96], v[100:101]
	s_cbranch_execz .LBB46_512
	s_branch .LBB46_513
.LBB46_511:
                                        ; implicit-def: $vgpr95_vgpr96
.LBB46_512:
	ds_read_b64 v[95:96], v98
.LBB46_513:
	v_cmp_ne_u32_e32 vcc, 6, v0
	s_and_saveexec_b64 s[8:9], vcc
	s_cbranch_execz .LBB46_517
; %bb.514:
	s_mov_b32 s10, 0
	v_add_u32_e32 v100, 0x188, v97
	v_add3_u32 v101, v97, s10, 8
	s_mov_b64 s[10:11], 0
	v_mov_b32_e32 v102, v0
.LBB46_515:                             ; =>This Inner Loop Header: Depth=1
	buffer_load_dword v103, v101, s[0:3], 0 offen
	buffer_load_dword v104, v101, s[0:3], 0 offen offset:4
	ds_read_b64 v[105:106], v100
	v_add_u32_e32 v102, 1, v102
	v_cmp_lt_u32_e32 vcc, 5, v102
	v_add_u32_e32 v100, 8, v100
	s_or_b64 s[10:11], vcc, s[10:11]
	v_add_u32_e32 v101, 8, v101
	s_waitcnt vmcnt(0) lgkmcnt(0)
	v_fma_f64 v[95:96], v[103:104], v[105:106], v[95:96]
	s_andn2_b64 exec, exec, s[10:11]
	s_cbranch_execnz .LBB46_515
; %bb.516:
	s_or_b64 exec, exec, s[10:11]
.LBB46_517:
	s_or_b64 exec, exec, s[8:9]
	v_mov_b32_e32 v100, 0
	ds_read_b64 v[100:101], v100 offset:56
	s_waitcnt lgkmcnt(0)
	v_mul_f64 v[95:96], v[95:96], v[100:101]
	buffer_store_dword v96, off, s[0:3], 0 offset:60
	buffer_store_dword v95, off, s[0:3], 0 offset:56
.LBB46_518:
	s_or_b64 exec, exec, s[6:7]
	buffer_load_dword v95, off, s[0:3], 0 offset:64
	buffer_load_dword v96, off, s[0:3], 0 offset:68
	v_cmp_gt_u32_e32 vcc, 8, v0
	s_waitcnt vmcnt(0)
	ds_write_b64 v98, v[95:96]
	s_waitcnt lgkmcnt(0)
	; wave barrier
	s_and_saveexec_b64 s[6:7], vcc
	s_cbranch_execz .LBB46_528
; %bb.519:
	s_and_b64 vcc, exec, s[4:5]
	s_cbranch_vccnz .LBB46_521
; %bb.520:
	buffer_load_dword v95, v99, s[0:3], 0 offen
	buffer_load_dword v96, v99, s[0:3], 0 offen offset:4
	ds_read_b64 v[100:101], v98
	s_waitcnt vmcnt(0) lgkmcnt(0)
	v_mul_f64 v[95:96], v[95:96], v[100:101]
	s_cbranch_execz .LBB46_522
	s_branch .LBB46_523
.LBB46_521:
                                        ; implicit-def: $vgpr95_vgpr96
.LBB46_522:
	ds_read_b64 v[95:96], v98
.LBB46_523:
	v_cmp_ne_u32_e32 vcc, 7, v0
	s_and_saveexec_b64 s[8:9], vcc
	s_cbranch_execz .LBB46_527
; %bb.524:
	s_mov_b32 s10, 0
	v_add_u32_e32 v100, 0x188, v97
	v_add3_u32 v101, v97, s10, 8
	s_mov_b64 s[10:11], 0
	v_mov_b32_e32 v102, v0
.LBB46_525:                             ; =>This Inner Loop Header: Depth=1
	buffer_load_dword v103, v101, s[0:3], 0 offen
	buffer_load_dword v104, v101, s[0:3], 0 offen offset:4
	ds_read_b64 v[105:106], v100
	v_add_u32_e32 v102, 1, v102
	v_cmp_lt_u32_e32 vcc, 6, v102
	v_add_u32_e32 v100, 8, v100
	s_or_b64 s[10:11], vcc, s[10:11]
	v_add_u32_e32 v101, 8, v101
	s_waitcnt vmcnt(0) lgkmcnt(0)
	v_fma_f64 v[95:96], v[103:104], v[105:106], v[95:96]
	s_andn2_b64 exec, exec, s[10:11]
	s_cbranch_execnz .LBB46_525
; %bb.526:
	s_or_b64 exec, exec, s[10:11]
.LBB46_527:
	s_or_b64 exec, exec, s[8:9]
	v_mov_b32_e32 v100, 0
	ds_read_b64 v[100:101], v100 offset:64
	s_waitcnt lgkmcnt(0)
	v_mul_f64 v[95:96], v[95:96], v[100:101]
	buffer_store_dword v96, off, s[0:3], 0 offset:68
	buffer_store_dword v95, off, s[0:3], 0 offset:64
.LBB46_528:
	s_or_b64 exec, exec, s[6:7]
	buffer_load_dword v95, off, s[0:3], 0 offset:72
	buffer_load_dword v96, off, s[0:3], 0 offset:76
	v_cmp_gt_u32_e32 vcc, 9, v0
	s_waitcnt vmcnt(0)
	ds_write_b64 v98, v[95:96]
	s_waitcnt lgkmcnt(0)
	; wave barrier
	s_and_saveexec_b64 s[6:7], vcc
	s_cbranch_execz .LBB46_538
; %bb.529:
	s_and_b64 vcc, exec, s[4:5]
	s_cbranch_vccnz .LBB46_531
; %bb.530:
	buffer_load_dword v95, v99, s[0:3], 0 offen
	buffer_load_dword v96, v99, s[0:3], 0 offen offset:4
	ds_read_b64 v[100:101], v98
	s_waitcnt vmcnt(0) lgkmcnt(0)
	v_mul_f64 v[95:96], v[95:96], v[100:101]
	s_cbranch_execz .LBB46_532
	s_branch .LBB46_533
.LBB46_531:
                                        ; implicit-def: $vgpr95_vgpr96
.LBB46_532:
	ds_read_b64 v[95:96], v98
.LBB46_533:
	v_cmp_ne_u32_e32 vcc, 8, v0
	s_and_saveexec_b64 s[8:9], vcc
	s_cbranch_execz .LBB46_537
; %bb.534:
	s_mov_b32 s10, 0
	v_add_u32_e32 v100, 0x188, v97
	v_add3_u32 v101, v97, s10, 8
	s_mov_b64 s[10:11], 0
	v_mov_b32_e32 v102, v0
.LBB46_535:                             ; =>This Inner Loop Header: Depth=1
	buffer_load_dword v103, v101, s[0:3], 0 offen
	buffer_load_dword v104, v101, s[0:3], 0 offen offset:4
	ds_read_b64 v[105:106], v100
	v_add_u32_e32 v102, 1, v102
	v_cmp_lt_u32_e32 vcc, 7, v102
	v_add_u32_e32 v100, 8, v100
	s_or_b64 s[10:11], vcc, s[10:11]
	v_add_u32_e32 v101, 8, v101
	s_waitcnt vmcnt(0) lgkmcnt(0)
	v_fma_f64 v[95:96], v[103:104], v[105:106], v[95:96]
	s_andn2_b64 exec, exec, s[10:11]
	s_cbranch_execnz .LBB46_535
; %bb.536:
	s_or_b64 exec, exec, s[10:11]
.LBB46_537:
	s_or_b64 exec, exec, s[8:9]
	v_mov_b32_e32 v100, 0
	ds_read_b64 v[100:101], v100 offset:72
	s_waitcnt lgkmcnt(0)
	v_mul_f64 v[95:96], v[95:96], v[100:101]
	buffer_store_dword v96, off, s[0:3], 0 offset:76
	buffer_store_dword v95, off, s[0:3], 0 offset:72
.LBB46_538:
	s_or_b64 exec, exec, s[6:7]
	buffer_load_dword v95, off, s[0:3], 0 offset:80
	buffer_load_dword v96, off, s[0:3], 0 offset:84
	v_cmp_gt_u32_e32 vcc, 10, v0
	s_waitcnt vmcnt(0)
	ds_write_b64 v98, v[95:96]
	s_waitcnt lgkmcnt(0)
	; wave barrier
	s_and_saveexec_b64 s[6:7], vcc
	s_cbranch_execz .LBB46_548
; %bb.539:
	s_and_b64 vcc, exec, s[4:5]
	s_cbranch_vccnz .LBB46_541
; %bb.540:
	buffer_load_dword v95, v99, s[0:3], 0 offen
	buffer_load_dword v96, v99, s[0:3], 0 offen offset:4
	ds_read_b64 v[100:101], v98
	s_waitcnt vmcnt(0) lgkmcnt(0)
	v_mul_f64 v[95:96], v[95:96], v[100:101]
	s_cbranch_execz .LBB46_542
	s_branch .LBB46_543
.LBB46_541:
                                        ; implicit-def: $vgpr95_vgpr96
.LBB46_542:
	ds_read_b64 v[95:96], v98
.LBB46_543:
	v_cmp_ne_u32_e32 vcc, 9, v0
	s_and_saveexec_b64 s[8:9], vcc
	s_cbranch_execz .LBB46_547
; %bb.544:
	s_mov_b32 s10, 0
	v_add_u32_e32 v100, 0x188, v97
	v_add3_u32 v101, v97, s10, 8
	s_mov_b64 s[10:11], 0
	v_mov_b32_e32 v102, v0
.LBB46_545:                             ; =>This Inner Loop Header: Depth=1
	buffer_load_dword v103, v101, s[0:3], 0 offen
	buffer_load_dword v104, v101, s[0:3], 0 offen offset:4
	ds_read_b64 v[105:106], v100
	v_add_u32_e32 v102, 1, v102
	v_cmp_lt_u32_e32 vcc, 8, v102
	v_add_u32_e32 v100, 8, v100
	s_or_b64 s[10:11], vcc, s[10:11]
	v_add_u32_e32 v101, 8, v101
	s_waitcnt vmcnt(0) lgkmcnt(0)
	v_fma_f64 v[95:96], v[103:104], v[105:106], v[95:96]
	s_andn2_b64 exec, exec, s[10:11]
	s_cbranch_execnz .LBB46_545
; %bb.546:
	s_or_b64 exec, exec, s[10:11]
.LBB46_547:
	s_or_b64 exec, exec, s[8:9]
	v_mov_b32_e32 v100, 0
	ds_read_b64 v[100:101], v100 offset:80
	s_waitcnt lgkmcnt(0)
	v_mul_f64 v[95:96], v[95:96], v[100:101]
	buffer_store_dword v96, off, s[0:3], 0 offset:84
	buffer_store_dword v95, off, s[0:3], 0 offset:80
.LBB46_548:
	s_or_b64 exec, exec, s[6:7]
	buffer_load_dword v95, off, s[0:3], 0 offset:88
	buffer_load_dword v96, off, s[0:3], 0 offset:92
	v_cmp_gt_u32_e32 vcc, 11, v0
	s_waitcnt vmcnt(0)
	ds_write_b64 v98, v[95:96]
	s_waitcnt lgkmcnt(0)
	; wave barrier
	s_and_saveexec_b64 s[6:7], vcc
	s_cbranch_execz .LBB46_558
; %bb.549:
	s_and_b64 vcc, exec, s[4:5]
	s_cbranch_vccnz .LBB46_551
; %bb.550:
	buffer_load_dword v95, v99, s[0:3], 0 offen
	buffer_load_dword v96, v99, s[0:3], 0 offen offset:4
	ds_read_b64 v[100:101], v98
	s_waitcnt vmcnt(0) lgkmcnt(0)
	v_mul_f64 v[95:96], v[95:96], v[100:101]
	s_cbranch_execz .LBB46_552
	s_branch .LBB46_553
.LBB46_551:
                                        ; implicit-def: $vgpr95_vgpr96
.LBB46_552:
	ds_read_b64 v[95:96], v98
.LBB46_553:
	v_cmp_ne_u32_e32 vcc, 10, v0
	s_and_saveexec_b64 s[8:9], vcc
	s_cbranch_execz .LBB46_557
; %bb.554:
	s_mov_b32 s10, 0
	v_add_u32_e32 v100, 0x188, v97
	v_add3_u32 v101, v97, s10, 8
	s_mov_b64 s[10:11], 0
	v_mov_b32_e32 v102, v0
.LBB46_555:                             ; =>This Inner Loop Header: Depth=1
	buffer_load_dword v103, v101, s[0:3], 0 offen
	buffer_load_dword v104, v101, s[0:3], 0 offen offset:4
	ds_read_b64 v[105:106], v100
	v_add_u32_e32 v102, 1, v102
	v_cmp_lt_u32_e32 vcc, 9, v102
	v_add_u32_e32 v100, 8, v100
	s_or_b64 s[10:11], vcc, s[10:11]
	v_add_u32_e32 v101, 8, v101
	s_waitcnt vmcnt(0) lgkmcnt(0)
	v_fma_f64 v[95:96], v[103:104], v[105:106], v[95:96]
	s_andn2_b64 exec, exec, s[10:11]
	s_cbranch_execnz .LBB46_555
; %bb.556:
	s_or_b64 exec, exec, s[10:11]
.LBB46_557:
	s_or_b64 exec, exec, s[8:9]
	v_mov_b32_e32 v100, 0
	ds_read_b64 v[100:101], v100 offset:88
	s_waitcnt lgkmcnt(0)
	v_mul_f64 v[95:96], v[95:96], v[100:101]
	buffer_store_dword v96, off, s[0:3], 0 offset:92
	buffer_store_dword v95, off, s[0:3], 0 offset:88
.LBB46_558:
	s_or_b64 exec, exec, s[6:7]
	buffer_load_dword v95, off, s[0:3], 0 offset:96
	buffer_load_dword v96, off, s[0:3], 0 offset:100
	v_cmp_gt_u32_e32 vcc, 12, v0
	s_waitcnt vmcnt(0)
	ds_write_b64 v98, v[95:96]
	s_waitcnt lgkmcnt(0)
	; wave barrier
	s_and_saveexec_b64 s[6:7], vcc
	s_cbranch_execz .LBB46_568
; %bb.559:
	s_and_b64 vcc, exec, s[4:5]
	s_cbranch_vccnz .LBB46_561
; %bb.560:
	buffer_load_dword v95, v99, s[0:3], 0 offen
	buffer_load_dword v96, v99, s[0:3], 0 offen offset:4
	ds_read_b64 v[100:101], v98
	s_waitcnt vmcnt(0) lgkmcnt(0)
	v_mul_f64 v[95:96], v[95:96], v[100:101]
	s_cbranch_execz .LBB46_562
	s_branch .LBB46_563
.LBB46_561:
                                        ; implicit-def: $vgpr95_vgpr96
.LBB46_562:
	ds_read_b64 v[95:96], v98
.LBB46_563:
	v_cmp_ne_u32_e32 vcc, 11, v0
	s_and_saveexec_b64 s[8:9], vcc
	s_cbranch_execz .LBB46_567
; %bb.564:
	s_mov_b32 s10, 0
	v_add_u32_e32 v100, 0x188, v97
	v_add3_u32 v101, v97, s10, 8
	s_mov_b64 s[10:11], 0
	v_mov_b32_e32 v102, v0
.LBB46_565:                             ; =>This Inner Loop Header: Depth=1
	buffer_load_dword v103, v101, s[0:3], 0 offen
	buffer_load_dword v104, v101, s[0:3], 0 offen offset:4
	ds_read_b64 v[105:106], v100
	v_add_u32_e32 v102, 1, v102
	v_cmp_lt_u32_e32 vcc, 10, v102
	v_add_u32_e32 v100, 8, v100
	s_or_b64 s[10:11], vcc, s[10:11]
	v_add_u32_e32 v101, 8, v101
	s_waitcnt vmcnt(0) lgkmcnt(0)
	v_fma_f64 v[95:96], v[103:104], v[105:106], v[95:96]
	s_andn2_b64 exec, exec, s[10:11]
	s_cbranch_execnz .LBB46_565
; %bb.566:
	s_or_b64 exec, exec, s[10:11]
.LBB46_567:
	s_or_b64 exec, exec, s[8:9]
	v_mov_b32_e32 v100, 0
	ds_read_b64 v[100:101], v100 offset:96
	s_waitcnt lgkmcnt(0)
	v_mul_f64 v[95:96], v[95:96], v[100:101]
	buffer_store_dword v96, off, s[0:3], 0 offset:100
	buffer_store_dword v95, off, s[0:3], 0 offset:96
.LBB46_568:
	s_or_b64 exec, exec, s[6:7]
	buffer_load_dword v95, off, s[0:3], 0 offset:104
	buffer_load_dword v96, off, s[0:3], 0 offset:108
	v_cmp_gt_u32_e32 vcc, 13, v0
	s_waitcnt vmcnt(0)
	ds_write_b64 v98, v[95:96]
	s_waitcnt lgkmcnt(0)
	; wave barrier
	s_and_saveexec_b64 s[6:7], vcc
	s_cbranch_execz .LBB46_578
; %bb.569:
	s_and_b64 vcc, exec, s[4:5]
	s_cbranch_vccnz .LBB46_571
; %bb.570:
	buffer_load_dword v95, v99, s[0:3], 0 offen
	buffer_load_dword v96, v99, s[0:3], 0 offen offset:4
	ds_read_b64 v[100:101], v98
	s_waitcnt vmcnt(0) lgkmcnt(0)
	v_mul_f64 v[95:96], v[95:96], v[100:101]
	s_cbranch_execz .LBB46_572
	s_branch .LBB46_573
.LBB46_571:
                                        ; implicit-def: $vgpr95_vgpr96
.LBB46_572:
	ds_read_b64 v[95:96], v98
.LBB46_573:
	v_cmp_ne_u32_e32 vcc, 12, v0
	s_and_saveexec_b64 s[8:9], vcc
	s_cbranch_execz .LBB46_577
; %bb.574:
	s_mov_b32 s10, 0
	v_add_u32_e32 v100, 0x188, v97
	v_add3_u32 v101, v97, s10, 8
	s_mov_b64 s[10:11], 0
	v_mov_b32_e32 v102, v0
.LBB46_575:                             ; =>This Inner Loop Header: Depth=1
	buffer_load_dword v103, v101, s[0:3], 0 offen
	buffer_load_dword v104, v101, s[0:3], 0 offen offset:4
	ds_read_b64 v[105:106], v100
	v_add_u32_e32 v102, 1, v102
	v_cmp_lt_u32_e32 vcc, 11, v102
	v_add_u32_e32 v100, 8, v100
	s_or_b64 s[10:11], vcc, s[10:11]
	v_add_u32_e32 v101, 8, v101
	s_waitcnt vmcnt(0) lgkmcnt(0)
	v_fma_f64 v[95:96], v[103:104], v[105:106], v[95:96]
	s_andn2_b64 exec, exec, s[10:11]
	s_cbranch_execnz .LBB46_575
; %bb.576:
	s_or_b64 exec, exec, s[10:11]
.LBB46_577:
	s_or_b64 exec, exec, s[8:9]
	v_mov_b32_e32 v100, 0
	ds_read_b64 v[100:101], v100 offset:104
	s_waitcnt lgkmcnt(0)
	v_mul_f64 v[95:96], v[95:96], v[100:101]
	buffer_store_dword v96, off, s[0:3], 0 offset:108
	buffer_store_dword v95, off, s[0:3], 0 offset:104
.LBB46_578:
	s_or_b64 exec, exec, s[6:7]
	buffer_load_dword v95, off, s[0:3], 0 offset:112
	buffer_load_dword v96, off, s[0:3], 0 offset:116
	v_cmp_gt_u32_e32 vcc, 14, v0
	s_waitcnt vmcnt(0)
	ds_write_b64 v98, v[95:96]
	s_waitcnt lgkmcnt(0)
	; wave barrier
	s_and_saveexec_b64 s[6:7], vcc
	s_cbranch_execz .LBB46_588
; %bb.579:
	s_and_b64 vcc, exec, s[4:5]
	s_cbranch_vccnz .LBB46_581
; %bb.580:
	buffer_load_dword v95, v99, s[0:3], 0 offen
	buffer_load_dword v96, v99, s[0:3], 0 offen offset:4
	ds_read_b64 v[100:101], v98
	s_waitcnt vmcnt(0) lgkmcnt(0)
	v_mul_f64 v[95:96], v[95:96], v[100:101]
	s_cbranch_execz .LBB46_582
	s_branch .LBB46_583
.LBB46_581:
                                        ; implicit-def: $vgpr95_vgpr96
.LBB46_582:
	ds_read_b64 v[95:96], v98
.LBB46_583:
	v_cmp_ne_u32_e32 vcc, 13, v0
	s_and_saveexec_b64 s[8:9], vcc
	s_cbranch_execz .LBB46_587
; %bb.584:
	s_mov_b32 s10, 0
	v_add_u32_e32 v100, 0x188, v97
	v_add3_u32 v101, v97, s10, 8
	s_mov_b64 s[10:11], 0
	v_mov_b32_e32 v102, v0
.LBB46_585:                             ; =>This Inner Loop Header: Depth=1
	buffer_load_dword v103, v101, s[0:3], 0 offen
	buffer_load_dword v104, v101, s[0:3], 0 offen offset:4
	ds_read_b64 v[105:106], v100
	v_add_u32_e32 v102, 1, v102
	v_cmp_lt_u32_e32 vcc, 12, v102
	v_add_u32_e32 v100, 8, v100
	s_or_b64 s[10:11], vcc, s[10:11]
	v_add_u32_e32 v101, 8, v101
	s_waitcnt vmcnt(0) lgkmcnt(0)
	v_fma_f64 v[95:96], v[103:104], v[105:106], v[95:96]
	s_andn2_b64 exec, exec, s[10:11]
	s_cbranch_execnz .LBB46_585
; %bb.586:
	s_or_b64 exec, exec, s[10:11]
.LBB46_587:
	s_or_b64 exec, exec, s[8:9]
	v_mov_b32_e32 v100, 0
	ds_read_b64 v[100:101], v100 offset:112
	s_waitcnt lgkmcnt(0)
	v_mul_f64 v[95:96], v[95:96], v[100:101]
	buffer_store_dword v96, off, s[0:3], 0 offset:116
	buffer_store_dword v95, off, s[0:3], 0 offset:112
.LBB46_588:
	s_or_b64 exec, exec, s[6:7]
	buffer_load_dword v95, off, s[0:3], 0 offset:120
	buffer_load_dword v96, off, s[0:3], 0 offset:124
	v_cmp_gt_u32_e32 vcc, 15, v0
	s_waitcnt vmcnt(0)
	ds_write_b64 v98, v[95:96]
	s_waitcnt lgkmcnt(0)
	; wave barrier
	s_and_saveexec_b64 s[6:7], vcc
	s_cbranch_execz .LBB46_598
; %bb.589:
	s_and_b64 vcc, exec, s[4:5]
	s_cbranch_vccnz .LBB46_591
; %bb.590:
	buffer_load_dword v95, v99, s[0:3], 0 offen
	buffer_load_dword v96, v99, s[0:3], 0 offen offset:4
	ds_read_b64 v[100:101], v98
	s_waitcnt vmcnt(0) lgkmcnt(0)
	v_mul_f64 v[95:96], v[95:96], v[100:101]
	s_cbranch_execz .LBB46_592
	s_branch .LBB46_593
.LBB46_591:
                                        ; implicit-def: $vgpr95_vgpr96
.LBB46_592:
	ds_read_b64 v[95:96], v98
.LBB46_593:
	v_cmp_ne_u32_e32 vcc, 14, v0
	s_and_saveexec_b64 s[8:9], vcc
	s_cbranch_execz .LBB46_597
; %bb.594:
	s_mov_b32 s10, 0
	v_add_u32_e32 v100, 0x188, v97
	v_add3_u32 v101, v97, s10, 8
	s_mov_b64 s[10:11], 0
	v_mov_b32_e32 v102, v0
.LBB46_595:                             ; =>This Inner Loop Header: Depth=1
	buffer_load_dword v103, v101, s[0:3], 0 offen
	buffer_load_dword v104, v101, s[0:3], 0 offen offset:4
	ds_read_b64 v[105:106], v100
	v_add_u32_e32 v102, 1, v102
	v_cmp_lt_u32_e32 vcc, 13, v102
	v_add_u32_e32 v100, 8, v100
	s_or_b64 s[10:11], vcc, s[10:11]
	v_add_u32_e32 v101, 8, v101
	s_waitcnt vmcnt(0) lgkmcnt(0)
	v_fma_f64 v[95:96], v[103:104], v[105:106], v[95:96]
	s_andn2_b64 exec, exec, s[10:11]
	s_cbranch_execnz .LBB46_595
; %bb.596:
	s_or_b64 exec, exec, s[10:11]
.LBB46_597:
	s_or_b64 exec, exec, s[8:9]
	v_mov_b32_e32 v100, 0
	ds_read_b64 v[100:101], v100 offset:120
	s_waitcnt lgkmcnt(0)
	v_mul_f64 v[95:96], v[95:96], v[100:101]
	buffer_store_dword v96, off, s[0:3], 0 offset:124
	buffer_store_dword v95, off, s[0:3], 0 offset:120
.LBB46_598:
	s_or_b64 exec, exec, s[6:7]
	buffer_load_dword v95, off, s[0:3], 0 offset:128
	buffer_load_dword v96, off, s[0:3], 0 offset:132
	v_cmp_gt_u32_e32 vcc, 16, v0
	s_waitcnt vmcnt(0)
	ds_write_b64 v98, v[95:96]
	s_waitcnt lgkmcnt(0)
	; wave barrier
	s_and_saveexec_b64 s[6:7], vcc
	s_cbranch_execz .LBB46_608
; %bb.599:
	s_and_b64 vcc, exec, s[4:5]
	s_cbranch_vccnz .LBB46_601
; %bb.600:
	buffer_load_dword v95, v99, s[0:3], 0 offen
	buffer_load_dword v96, v99, s[0:3], 0 offen offset:4
	ds_read_b64 v[100:101], v98
	s_waitcnt vmcnt(0) lgkmcnt(0)
	v_mul_f64 v[95:96], v[95:96], v[100:101]
	s_cbranch_execz .LBB46_602
	s_branch .LBB46_603
.LBB46_601:
                                        ; implicit-def: $vgpr95_vgpr96
.LBB46_602:
	ds_read_b64 v[95:96], v98
.LBB46_603:
	v_cmp_ne_u32_e32 vcc, 15, v0
	s_and_saveexec_b64 s[8:9], vcc
	s_cbranch_execz .LBB46_607
; %bb.604:
	s_mov_b32 s10, 0
	v_add_u32_e32 v100, 0x188, v97
	v_add3_u32 v101, v97, s10, 8
	s_mov_b64 s[10:11], 0
	v_mov_b32_e32 v102, v0
.LBB46_605:                             ; =>This Inner Loop Header: Depth=1
	buffer_load_dword v103, v101, s[0:3], 0 offen
	buffer_load_dword v104, v101, s[0:3], 0 offen offset:4
	ds_read_b64 v[105:106], v100
	v_add_u32_e32 v102, 1, v102
	v_cmp_lt_u32_e32 vcc, 14, v102
	v_add_u32_e32 v100, 8, v100
	s_or_b64 s[10:11], vcc, s[10:11]
	v_add_u32_e32 v101, 8, v101
	s_waitcnt vmcnt(0) lgkmcnt(0)
	v_fma_f64 v[95:96], v[103:104], v[105:106], v[95:96]
	s_andn2_b64 exec, exec, s[10:11]
	s_cbranch_execnz .LBB46_605
; %bb.606:
	s_or_b64 exec, exec, s[10:11]
.LBB46_607:
	s_or_b64 exec, exec, s[8:9]
	v_mov_b32_e32 v100, 0
	ds_read_b64 v[100:101], v100 offset:128
	s_waitcnt lgkmcnt(0)
	v_mul_f64 v[95:96], v[95:96], v[100:101]
	buffer_store_dword v96, off, s[0:3], 0 offset:132
	buffer_store_dword v95, off, s[0:3], 0 offset:128
.LBB46_608:
	s_or_b64 exec, exec, s[6:7]
	buffer_load_dword v95, off, s[0:3], 0 offset:136
	buffer_load_dword v96, off, s[0:3], 0 offset:140
	v_cmp_gt_u32_e32 vcc, 17, v0
	s_waitcnt vmcnt(0)
	ds_write_b64 v98, v[95:96]
	s_waitcnt lgkmcnt(0)
	; wave barrier
	s_and_saveexec_b64 s[6:7], vcc
	s_cbranch_execz .LBB46_618
; %bb.609:
	s_and_b64 vcc, exec, s[4:5]
	s_cbranch_vccnz .LBB46_611
; %bb.610:
	buffer_load_dword v95, v99, s[0:3], 0 offen
	buffer_load_dword v96, v99, s[0:3], 0 offen offset:4
	ds_read_b64 v[100:101], v98
	s_waitcnt vmcnt(0) lgkmcnt(0)
	v_mul_f64 v[95:96], v[95:96], v[100:101]
	s_cbranch_execz .LBB46_612
	s_branch .LBB46_613
.LBB46_611:
                                        ; implicit-def: $vgpr95_vgpr96
.LBB46_612:
	ds_read_b64 v[95:96], v98
.LBB46_613:
	v_cmp_ne_u32_e32 vcc, 16, v0
	s_and_saveexec_b64 s[8:9], vcc
	s_cbranch_execz .LBB46_617
; %bb.614:
	s_mov_b32 s10, 0
	v_add_u32_e32 v100, 0x188, v97
	v_add3_u32 v101, v97, s10, 8
	s_mov_b64 s[10:11], 0
	v_mov_b32_e32 v102, v0
.LBB46_615:                             ; =>This Inner Loop Header: Depth=1
	buffer_load_dword v103, v101, s[0:3], 0 offen
	buffer_load_dword v104, v101, s[0:3], 0 offen offset:4
	ds_read_b64 v[105:106], v100
	v_add_u32_e32 v102, 1, v102
	v_cmp_lt_u32_e32 vcc, 15, v102
	v_add_u32_e32 v100, 8, v100
	s_or_b64 s[10:11], vcc, s[10:11]
	v_add_u32_e32 v101, 8, v101
	s_waitcnt vmcnt(0) lgkmcnt(0)
	v_fma_f64 v[95:96], v[103:104], v[105:106], v[95:96]
	s_andn2_b64 exec, exec, s[10:11]
	s_cbranch_execnz .LBB46_615
; %bb.616:
	s_or_b64 exec, exec, s[10:11]
.LBB46_617:
	s_or_b64 exec, exec, s[8:9]
	v_mov_b32_e32 v100, 0
	ds_read_b64 v[100:101], v100 offset:136
	s_waitcnt lgkmcnt(0)
	v_mul_f64 v[95:96], v[95:96], v[100:101]
	buffer_store_dword v96, off, s[0:3], 0 offset:140
	buffer_store_dword v95, off, s[0:3], 0 offset:136
.LBB46_618:
	s_or_b64 exec, exec, s[6:7]
	buffer_load_dword v95, off, s[0:3], 0 offset:144
	buffer_load_dword v96, off, s[0:3], 0 offset:148
	v_cmp_gt_u32_e32 vcc, 18, v0
	s_waitcnt vmcnt(0)
	ds_write_b64 v98, v[95:96]
	s_waitcnt lgkmcnt(0)
	; wave barrier
	s_and_saveexec_b64 s[6:7], vcc
	s_cbranch_execz .LBB46_628
; %bb.619:
	s_and_b64 vcc, exec, s[4:5]
	s_cbranch_vccnz .LBB46_621
; %bb.620:
	buffer_load_dword v95, v99, s[0:3], 0 offen
	buffer_load_dword v96, v99, s[0:3], 0 offen offset:4
	ds_read_b64 v[100:101], v98
	s_waitcnt vmcnt(0) lgkmcnt(0)
	v_mul_f64 v[95:96], v[95:96], v[100:101]
	s_cbranch_execz .LBB46_622
	s_branch .LBB46_623
.LBB46_621:
                                        ; implicit-def: $vgpr95_vgpr96
.LBB46_622:
	ds_read_b64 v[95:96], v98
.LBB46_623:
	v_cmp_ne_u32_e32 vcc, 17, v0
	s_and_saveexec_b64 s[8:9], vcc
	s_cbranch_execz .LBB46_627
; %bb.624:
	s_mov_b32 s10, 0
	v_add_u32_e32 v100, 0x188, v97
	v_add3_u32 v101, v97, s10, 8
	s_mov_b64 s[10:11], 0
	v_mov_b32_e32 v102, v0
.LBB46_625:                             ; =>This Inner Loop Header: Depth=1
	buffer_load_dword v103, v101, s[0:3], 0 offen
	buffer_load_dword v104, v101, s[0:3], 0 offen offset:4
	ds_read_b64 v[105:106], v100
	v_add_u32_e32 v102, 1, v102
	v_cmp_lt_u32_e32 vcc, 16, v102
	v_add_u32_e32 v100, 8, v100
	s_or_b64 s[10:11], vcc, s[10:11]
	v_add_u32_e32 v101, 8, v101
	s_waitcnt vmcnt(0) lgkmcnt(0)
	v_fma_f64 v[95:96], v[103:104], v[105:106], v[95:96]
	s_andn2_b64 exec, exec, s[10:11]
	s_cbranch_execnz .LBB46_625
; %bb.626:
	s_or_b64 exec, exec, s[10:11]
.LBB46_627:
	s_or_b64 exec, exec, s[8:9]
	v_mov_b32_e32 v100, 0
	ds_read_b64 v[100:101], v100 offset:144
	s_waitcnt lgkmcnt(0)
	v_mul_f64 v[95:96], v[95:96], v[100:101]
	buffer_store_dword v96, off, s[0:3], 0 offset:148
	buffer_store_dword v95, off, s[0:3], 0 offset:144
.LBB46_628:
	s_or_b64 exec, exec, s[6:7]
	buffer_load_dword v95, off, s[0:3], 0 offset:152
	buffer_load_dword v96, off, s[0:3], 0 offset:156
	v_cmp_gt_u32_e32 vcc, 19, v0
	s_waitcnt vmcnt(0)
	ds_write_b64 v98, v[95:96]
	s_waitcnt lgkmcnt(0)
	; wave barrier
	s_and_saveexec_b64 s[6:7], vcc
	s_cbranch_execz .LBB46_638
; %bb.629:
	s_and_b64 vcc, exec, s[4:5]
	s_cbranch_vccnz .LBB46_631
; %bb.630:
	buffer_load_dword v95, v99, s[0:3], 0 offen
	buffer_load_dword v96, v99, s[0:3], 0 offen offset:4
	ds_read_b64 v[100:101], v98
	s_waitcnt vmcnt(0) lgkmcnt(0)
	v_mul_f64 v[95:96], v[95:96], v[100:101]
	s_cbranch_execz .LBB46_632
	s_branch .LBB46_633
.LBB46_631:
                                        ; implicit-def: $vgpr95_vgpr96
.LBB46_632:
	ds_read_b64 v[95:96], v98
.LBB46_633:
	v_cmp_ne_u32_e32 vcc, 18, v0
	s_and_saveexec_b64 s[8:9], vcc
	s_cbranch_execz .LBB46_637
; %bb.634:
	s_mov_b32 s10, 0
	v_add_u32_e32 v100, 0x188, v97
	v_add3_u32 v101, v97, s10, 8
	s_mov_b64 s[10:11], 0
	v_mov_b32_e32 v102, v0
.LBB46_635:                             ; =>This Inner Loop Header: Depth=1
	buffer_load_dword v103, v101, s[0:3], 0 offen
	buffer_load_dword v104, v101, s[0:3], 0 offen offset:4
	ds_read_b64 v[105:106], v100
	v_add_u32_e32 v102, 1, v102
	v_cmp_lt_u32_e32 vcc, 17, v102
	v_add_u32_e32 v100, 8, v100
	s_or_b64 s[10:11], vcc, s[10:11]
	v_add_u32_e32 v101, 8, v101
	s_waitcnt vmcnt(0) lgkmcnt(0)
	v_fma_f64 v[95:96], v[103:104], v[105:106], v[95:96]
	s_andn2_b64 exec, exec, s[10:11]
	s_cbranch_execnz .LBB46_635
; %bb.636:
	s_or_b64 exec, exec, s[10:11]
.LBB46_637:
	s_or_b64 exec, exec, s[8:9]
	v_mov_b32_e32 v100, 0
	ds_read_b64 v[100:101], v100 offset:152
	s_waitcnt lgkmcnt(0)
	v_mul_f64 v[95:96], v[95:96], v[100:101]
	buffer_store_dword v96, off, s[0:3], 0 offset:156
	buffer_store_dword v95, off, s[0:3], 0 offset:152
.LBB46_638:
	s_or_b64 exec, exec, s[6:7]
	buffer_load_dword v95, off, s[0:3], 0 offset:160
	buffer_load_dword v96, off, s[0:3], 0 offset:164
	v_cmp_gt_u32_e32 vcc, 20, v0
	s_waitcnt vmcnt(0)
	ds_write_b64 v98, v[95:96]
	s_waitcnt lgkmcnt(0)
	; wave barrier
	s_and_saveexec_b64 s[6:7], vcc
	s_cbranch_execz .LBB46_648
; %bb.639:
	s_and_b64 vcc, exec, s[4:5]
	s_cbranch_vccnz .LBB46_641
; %bb.640:
	buffer_load_dword v95, v99, s[0:3], 0 offen
	buffer_load_dword v96, v99, s[0:3], 0 offen offset:4
	ds_read_b64 v[100:101], v98
	s_waitcnt vmcnt(0) lgkmcnt(0)
	v_mul_f64 v[95:96], v[95:96], v[100:101]
	s_cbranch_execz .LBB46_642
	s_branch .LBB46_643
.LBB46_641:
                                        ; implicit-def: $vgpr95_vgpr96
.LBB46_642:
	ds_read_b64 v[95:96], v98
.LBB46_643:
	v_cmp_ne_u32_e32 vcc, 19, v0
	s_and_saveexec_b64 s[8:9], vcc
	s_cbranch_execz .LBB46_647
; %bb.644:
	s_mov_b32 s10, 0
	v_add_u32_e32 v100, 0x188, v97
	v_add3_u32 v101, v97, s10, 8
	s_mov_b64 s[10:11], 0
	v_mov_b32_e32 v102, v0
.LBB46_645:                             ; =>This Inner Loop Header: Depth=1
	buffer_load_dword v103, v101, s[0:3], 0 offen
	buffer_load_dword v104, v101, s[0:3], 0 offen offset:4
	ds_read_b64 v[105:106], v100
	v_add_u32_e32 v102, 1, v102
	v_cmp_lt_u32_e32 vcc, 18, v102
	v_add_u32_e32 v100, 8, v100
	s_or_b64 s[10:11], vcc, s[10:11]
	v_add_u32_e32 v101, 8, v101
	s_waitcnt vmcnt(0) lgkmcnt(0)
	v_fma_f64 v[95:96], v[103:104], v[105:106], v[95:96]
	s_andn2_b64 exec, exec, s[10:11]
	s_cbranch_execnz .LBB46_645
; %bb.646:
	s_or_b64 exec, exec, s[10:11]
.LBB46_647:
	s_or_b64 exec, exec, s[8:9]
	v_mov_b32_e32 v100, 0
	ds_read_b64 v[100:101], v100 offset:160
	s_waitcnt lgkmcnt(0)
	v_mul_f64 v[95:96], v[95:96], v[100:101]
	buffer_store_dword v96, off, s[0:3], 0 offset:164
	buffer_store_dword v95, off, s[0:3], 0 offset:160
.LBB46_648:
	s_or_b64 exec, exec, s[6:7]
	buffer_load_dword v95, off, s[0:3], 0 offset:168
	buffer_load_dword v96, off, s[0:3], 0 offset:172
	v_cmp_gt_u32_e32 vcc, 21, v0
	s_waitcnt vmcnt(0)
	ds_write_b64 v98, v[95:96]
	s_waitcnt lgkmcnt(0)
	; wave barrier
	s_and_saveexec_b64 s[6:7], vcc
	s_cbranch_execz .LBB46_658
; %bb.649:
	s_and_b64 vcc, exec, s[4:5]
	s_cbranch_vccnz .LBB46_651
; %bb.650:
	buffer_load_dword v95, v99, s[0:3], 0 offen
	buffer_load_dword v96, v99, s[0:3], 0 offen offset:4
	ds_read_b64 v[100:101], v98
	s_waitcnt vmcnt(0) lgkmcnt(0)
	v_mul_f64 v[95:96], v[95:96], v[100:101]
	s_cbranch_execz .LBB46_652
	s_branch .LBB46_653
.LBB46_651:
                                        ; implicit-def: $vgpr95_vgpr96
.LBB46_652:
	ds_read_b64 v[95:96], v98
.LBB46_653:
	v_cmp_ne_u32_e32 vcc, 20, v0
	s_and_saveexec_b64 s[8:9], vcc
	s_cbranch_execz .LBB46_657
; %bb.654:
	s_mov_b32 s10, 0
	v_add_u32_e32 v100, 0x188, v97
	v_add3_u32 v101, v97, s10, 8
	s_mov_b64 s[10:11], 0
	v_mov_b32_e32 v102, v0
.LBB46_655:                             ; =>This Inner Loop Header: Depth=1
	buffer_load_dword v103, v101, s[0:3], 0 offen
	buffer_load_dword v104, v101, s[0:3], 0 offen offset:4
	ds_read_b64 v[105:106], v100
	v_add_u32_e32 v102, 1, v102
	v_cmp_lt_u32_e32 vcc, 19, v102
	v_add_u32_e32 v100, 8, v100
	s_or_b64 s[10:11], vcc, s[10:11]
	v_add_u32_e32 v101, 8, v101
	s_waitcnt vmcnt(0) lgkmcnt(0)
	v_fma_f64 v[95:96], v[103:104], v[105:106], v[95:96]
	s_andn2_b64 exec, exec, s[10:11]
	s_cbranch_execnz .LBB46_655
; %bb.656:
	s_or_b64 exec, exec, s[10:11]
.LBB46_657:
	s_or_b64 exec, exec, s[8:9]
	v_mov_b32_e32 v100, 0
	ds_read_b64 v[100:101], v100 offset:168
	s_waitcnt lgkmcnt(0)
	v_mul_f64 v[95:96], v[95:96], v[100:101]
	buffer_store_dword v96, off, s[0:3], 0 offset:172
	buffer_store_dword v95, off, s[0:3], 0 offset:168
.LBB46_658:
	s_or_b64 exec, exec, s[6:7]
	buffer_load_dword v95, off, s[0:3], 0 offset:176
	buffer_load_dword v96, off, s[0:3], 0 offset:180
	v_cmp_gt_u32_e32 vcc, 22, v0
	s_waitcnt vmcnt(0)
	ds_write_b64 v98, v[95:96]
	s_waitcnt lgkmcnt(0)
	; wave barrier
	s_and_saveexec_b64 s[6:7], vcc
	s_cbranch_execz .LBB46_668
; %bb.659:
	s_and_b64 vcc, exec, s[4:5]
	s_cbranch_vccnz .LBB46_661
; %bb.660:
	buffer_load_dword v95, v99, s[0:3], 0 offen
	buffer_load_dword v96, v99, s[0:3], 0 offen offset:4
	ds_read_b64 v[100:101], v98
	s_waitcnt vmcnt(0) lgkmcnt(0)
	v_mul_f64 v[95:96], v[95:96], v[100:101]
	s_cbranch_execz .LBB46_662
	s_branch .LBB46_663
.LBB46_661:
                                        ; implicit-def: $vgpr95_vgpr96
.LBB46_662:
	ds_read_b64 v[95:96], v98
.LBB46_663:
	v_cmp_ne_u32_e32 vcc, 21, v0
	s_and_saveexec_b64 s[8:9], vcc
	s_cbranch_execz .LBB46_667
; %bb.664:
	s_mov_b32 s10, 0
	v_add_u32_e32 v100, 0x188, v97
	v_add3_u32 v101, v97, s10, 8
	s_mov_b64 s[10:11], 0
	v_mov_b32_e32 v102, v0
.LBB46_665:                             ; =>This Inner Loop Header: Depth=1
	buffer_load_dword v103, v101, s[0:3], 0 offen
	buffer_load_dword v104, v101, s[0:3], 0 offen offset:4
	ds_read_b64 v[105:106], v100
	v_add_u32_e32 v102, 1, v102
	v_cmp_lt_u32_e32 vcc, 20, v102
	v_add_u32_e32 v100, 8, v100
	s_or_b64 s[10:11], vcc, s[10:11]
	v_add_u32_e32 v101, 8, v101
	s_waitcnt vmcnt(0) lgkmcnt(0)
	v_fma_f64 v[95:96], v[103:104], v[105:106], v[95:96]
	s_andn2_b64 exec, exec, s[10:11]
	s_cbranch_execnz .LBB46_665
; %bb.666:
	s_or_b64 exec, exec, s[10:11]
.LBB46_667:
	s_or_b64 exec, exec, s[8:9]
	v_mov_b32_e32 v100, 0
	ds_read_b64 v[100:101], v100 offset:176
	s_waitcnt lgkmcnt(0)
	v_mul_f64 v[95:96], v[95:96], v[100:101]
	buffer_store_dword v96, off, s[0:3], 0 offset:180
	buffer_store_dword v95, off, s[0:3], 0 offset:176
.LBB46_668:
	s_or_b64 exec, exec, s[6:7]
	buffer_load_dword v95, off, s[0:3], 0 offset:184
	buffer_load_dword v96, off, s[0:3], 0 offset:188
	v_cmp_gt_u32_e32 vcc, 23, v0
	s_waitcnt vmcnt(0)
	ds_write_b64 v98, v[95:96]
	s_waitcnt lgkmcnt(0)
	; wave barrier
	s_and_saveexec_b64 s[6:7], vcc
	s_cbranch_execz .LBB46_678
; %bb.669:
	s_and_b64 vcc, exec, s[4:5]
	s_cbranch_vccnz .LBB46_671
; %bb.670:
	buffer_load_dword v95, v99, s[0:3], 0 offen
	buffer_load_dword v96, v99, s[0:3], 0 offen offset:4
	ds_read_b64 v[100:101], v98
	s_waitcnt vmcnt(0) lgkmcnt(0)
	v_mul_f64 v[95:96], v[95:96], v[100:101]
	s_cbranch_execz .LBB46_672
	s_branch .LBB46_673
.LBB46_671:
                                        ; implicit-def: $vgpr95_vgpr96
.LBB46_672:
	ds_read_b64 v[95:96], v98
.LBB46_673:
	v_cmp_ne_u32_e32 vcc, 22, v0
	s_and_saveexec_b64 s[8:9], vcc
	s_cbranch_execz .LBB46_677
; %bb.674:
	s_mov_b32 s10, 0
	v_add_u32_e32 v100, 0x188, v97
	v_add3_u32 v101, v97, s10, 8
	s_mov_b64 s[10:11], 0
	v_mov_b32_e32 v102, v0
.LBB46_675:                             ; =>This Inner Loop Header: Depth=1
	buffer_load_dword v103, v101, s[0:3], 0 offen
	buffer_load_dword v104, v101, s[0:3], 0 offen offset:4
	ds_read_b64 v[105:106], v100
	v_add_u32_e32 v102, 1, v102
	v_cmp_lt_u32_e32 vcc, 21, v102
	v_add_u32_e32 v100, 8, v100
	s_or_b64 s[10:11], vcc, s[10:11]
	v_add_u32_e32 v101, 8, v101
	s_waitcnt vmcnt(0) lgkmcnt(0)
	v_fma_f64 v[95:96], v[103:104], v[105:106], v[95:96]
	s_andn2_b64 exec, exec, s[10:11]
	s_cbranch_execnz .LBB46_675
; %bb.676:
	s_or_b64 exec, exec, s[10:11]
.LBB46_677:
	s_or_b64 exec, exec, s[8:9]
	v_mov_b32_e32 v100, 0
	ds_read_b64 v[100:101], v100 offset:184
	s_waitcnt lgkmcnt(0)
	v_mul_f64 v[95:96], v[95:96], v[100:101]
	buffer_store_dword v96, off, s[0:3], 0 offset:188
	buffer_store_dword v95, off, s[0:3], 0 offset:184
.LBB46_678:
	s_or_b64 exec, exec, s[6:7]
	buffer_load_dword v95, off, s[0:3], 0 offset:192
	buffer_load_dword v96, off, s[0:3], 0 offset:196
	v_cmp_gt_u32_e32 vcc, 24, v0
	s_waitcnt vmcnt(0)
	ds_write_b64 v98, v[95:96]
	s_waitcnt lgkmcnt(0)
	; wave barrier
	s_and_saveexec_b64 s[6:7], vcc
	s_cbranch_execz .LBB46_688
; %bb.679:
	s_and_b64 vcc, exec, s[4:5]
	s_cbranch_vccnz .LBB46_681
; %bb.680:
	buffer_load_dword v95, v99, s[0:3], 0 offen
	buffer_load_dword v96, v99, s[0:3], 0 offen offset:4
	ds_read_b64 v[100:101], v98
	s_waitcnt vmcnt(0) lgkmcnt(0)
	v_mul_f64 v[95:96], v[95:96], v[100:101]
	s_cbranch_execz .LBB46_682
	s_branch .LBB46_683
.LBB46_681:
                                        ; implicit-def: $vgpr95_vgpr96
.LBB46_682:
	ds_read_b64 v[95:96], v98
.LBB46_683:
	v_cmp_ne_u32_e32 vcc, 23, v0
	s_and_saveexec_b64 s[8:9], vcc
	s_cbranch_execz .LBB46_687
; %bb.684:
	s_mov_b32 s10, 0
	v_add_u32_e32 v100, 0x188, v97
	v_add3_u32 v101, v97, s10, 8
	s_mov_b64 s[10:11], 0
	v_mov_b32_e32 v102, v0
.LBB46_685:                             ; =>This Inner Loop Header: Depth=1
	buffer_load_dword v103, v101, s[0:3], 0 offen
	buffer_load_dword v104, v101, s[0:3], 0 offen offset:4
	ds_read_b64 v[105:106], v100
	v_add_u32_e32 v102, 1, v102
	v_cmp_lt_u32_e32 vcc, 22, v102
	v_add_u32_e32 v100, 8, v100
	s_or_b64 s[10:11], vcc, s[10:11]
	v_add_u32_e32 v101, 8, v101
	s_waitcnt vmcnt(0) lgkmcnt(0)
	v_fma_f64 v[95:96], v[103:104], v[105:106], v[95:96]
	s_andn2_b64 exec, exec, s[10:11]
	s_cbranch_execnz .LBB46_685
; %bb.686:
	s_or_b64 exec, exec, s[10:11]
.LBB46_687:
	s_or_b64 exec, exec, s[8:9]
	v_mov_b32_e32 v100, 0
	ds_read_b64 v[100:101], v100 offset:192
	s_waitcnt lgkmcnt(0)
	v_mul_f64 v[95:96], v[95:96], v[100:101]
	buffer_store_dword v96, off, s[0:3], 0 offset:196
	buffer_store_dword v95, off, s[0:3], 0 offset:192
.LBB46_688:
	s_or_b64 exec, exec, s[6:7]
	buffer_load_dword v95, off, s[0:3], 0 offset:200
	buffer_load_dword v96, off, s[0:3], 0 offset:204
	v_cmp_gt_u32_e32 vcc, 25, v0
	s_waitcnt vmcnt(0)
	ds_write_b64 v98, v[95:96]
	s_waitcnt lgkmcnt(0)
	; wave barrier
	s_and_saveexec_b64 s[6:7], vcc
	s_cbranch_execz .LBB46_698
; %bb.689:
	s_and_b64 vcc, exec, s[4:5]
	s_cbranch_vccnz .LBB46_691
; %bb.690:
	buffer_load_dword v95, v99, s[0:3], 0 offen
	buffer_load_dword v96, v99, s[0:3], 0 offen offset:4
	ds_read_b64 v[100:101], v98
	s_waitcnt vmcnt(0) lgkmcnt(0)
	v_mul_f64 v[95:96], v[95:96], v[100:101]
	s_cbranch_execz .LBB46_692
	s_branch .LBB46_693
.LBB46_691:
                                        ; implicit-def: $vgpr95_vgpr96
.LBB46_692:
	ds_read_b64 v[95:96], v98
.LBB46_693:
	v_cmp_ne_u32_e32 vcc, 24, v0
	s_and_saveexec_b64 s[8:9], vcc
	s_cbranch_execz .LBB46_697
; %bb.694:
	s_mov_b32 s10, 0
	v_add_u32_e32 v100, 0x188, v97
	v_add3_u32 v101, v97, s10, 8
	s_mov_b64 s[10:11], 0
	v_mov_b32_e32 v102, v0
.LBB46_695:                             ; =>This Inner Loop Header: Depth=1
	buffer_load_dword v103, v101, s[0:3], 0 offen
	buffer_load_dword v104, v101, s[0:3], 0 offen offset:4
	ds_read_b64 v[105:106], v100
	v_add_u32_e32 v102, 1, v102
	v_cmp_lt_u32_e32 vcc, 23, v102
	v_add_u32_e32 v100, 8, v100
	s_or_b64 s[10:11], vcc, s[10:11]
	v_add_u32_e32 v101, 8, v101
	s_waitcnt vmcnt(0) lgkmcnt(0)
	v_fma_f64 v[95:96], v[103:104], v[105:106], v[95:96]
	s_andn2_b64 exec, exec, s[10:11]
	s_cbranch_execnz .LBB46_695
; %bb.696:
	s_or_b64 exec, exec, s[10:11]
.LBB46_697:
	s_or_b64 exec, exec, s[8:9]
	v_mov_b32_e32 v100, 0
	ds_read_b64 v[100:101], v100 offset:200
	s_waitcnt lgkmcnt(0)
	v_mul_f64 v[95:96], v[95:96], v[100:101]
	buffer_store_dword v96, off, s[0:3], 0 offset:204
	buffer_store_dword v95, off, s[0:3], 0 offset:200
.LBB46_698:
	s_or_b64 exec, exec, s[6:7]
	buffer_load_dword v95, off, s[0:3], 0 offset:208
	buffer_load_dword v96, off, s[0:3], 0 offset:212
	v_cmp_gt_u32_e32 vcc, 26, v0
	s_waitcnt vmcnt(0)
	ds_write_b64 v98, v[95:96]
	s_waitcnt lgkmcnt(0)
	; wave barrier
	s_and_saveexec_b64 s[6:7], vcc
	s_cbranch_execz .LBB46_708
; %bb.699:
	s_and_b64 vcc, exec, s[4:5]
	s_cbranch_vccnz .LBB46_701
; %bb.700:
	buffer_load_dword v95, v99, s[0:3], 0 offen
	buffer_load_dword v96, v99, s[0:3], 0 offen offset:4
	ds_read_b64 v[100:101], v98
	s_waitcnt vmcnt(0) lgkmcnt(0)
	v_mul_f64 v[95:96], v[95:96], v[100:101]
	s_cbranch_execz .LBB46_702
	s_branch .LBB46_703
.LBB46_701:
                                        ; implicit-def: $vgpr95_vgpr96
.LBB46_702:
	ds_read_b64 v[95:96], v98
.LBB46_703:
	v_cmp_ne_u32_e32 vcc, 25, v0
	s_and_saveexec_b64 s[8:9], vcc
	s_cbranch_execz .LBB46_707
; %bb.704:
	s_mov_b32 s10, 0
	v_add_u32_e32 v100, 0x188, v97
	v_add3_u32 v101, v97, s10, 8
	s_mov_b64 s[10:11], 0
	v_mov_b32_e32 v102, v0
.LBB46_705:                             ; =>This Inner Loop Header: Depth=1
	buffer_load_dword v103, v101, s[0:3], 0 offen
	buffer_load_dword v104, v101, s[0:3], 0 offen offset:4
	ds_read_b64 v[105:106], v100
	v_add_u32_e32 v102, 1, v102
	v_cmp_lt_u32_e32 vcc, 24, v102
	v_add_u32_e32 v100, 8, v100
	s_or_b64 s[10:11], vcc, s[10:11]
	v_add_u32_e32 v101, 8, v101
	s_waitcnt vmcnt(0) lgkmcnt(0)
	v_fma_f64 v[95:96], v[103:104], v[105:106], v[95:96]
	s_andn2_b64 exec, exec, s[10:11]
	s_cbranch_execnz .LBB46_705
; %bb.706:
	s_or_b64 exec, exec, s[10:11]
.LBB46_707:
	s_or_b64 exec, exec, s[8:9]
	v_mov_b32_e32 v100, 0
	ds_read_b64 v[100:101], v100 offset:208
	s_waitcnt lgkmcnt(0)
	v_mul_f64 v[95:96], v[95:96], v[100:101]
	buffer_store_dword v96, off, s[0:3], 0 offset:212
	buffer_store_dword v95, off, s[0:3], 0 offset:208
.LBB46_708:
	s_or_b64 exec, exec, s[6:7]
	buffer_load_dword v95, off, s[0:3], 0 offset:216
	buffer_load_dword v96, off, s[0:3], 0 offset:220
	v_cmp_gt_u32_e32 vcc, 27, v0
	s_waitcnt vmcnt(0)
	ds_write_b64 v98, v[95:96]
	s_waitcnt lgkmcnt(0)
	; wave barrier
	s_and_saveexec_b64 s[6:7], vcc
	s_cbranch_execz .LBB46_718
; %bb.709:
	s_and_b64 vcc, exec, s[4:5]
	s_cbranch_vccnz .LBB46_711
; %bb.710:
	buffer_load_dword v95, v99, s[0:3], 0 offen
	buffer_load_dword v96, v99, s[0:3], 0 offen offset:4
	ds_read_b64 v[100:101], v98
	s_waitcnt vmcnt(0) lgkmcnt(0)
	v_mul_f64 v[95:96], v[95:96], v[100:101]
	s_cbranch_execz .LBB46_712
	s_branch .LBB46_713
.LBB46_711:
                                        ; implicit-def: $vgpr95_vgpr96
.LBB46_712:
	ds_read_b64 v[95:96], v98
.LBB46_713:
	v_cmp_ne_u32_e32 vcc, 26, v0
	s_and_saveexec_b64 s[8:9], vcc
	s_cbranch_execz .LBB46_717
; %bb.714:
	s_mov_b32 s10, 0
	v_add_u32_e32 v100, 0x188, v97
	v_add3_u32 v101, v97, s10, 8
	s_mov_b64 s[10:11], 0
	v_mov_b32_e32 v102, v0
.LBB46_715:                             ; =>This Inner Loop Header: Depth=1
	buffer_load_dword v103, v101, s[0:3], 0 offen
	buffer_load_dword v104, v101, s[0:3], 0 offen offset:4
	ds_read_b64 v[105:106], v100
	v_add_u32_e32 v102, 1, v102
	v_cmp_lt_u32_e32 vcc, 25, v102
	v_add_u32_e32 v100, 8, v100
	s_or_b64 s[10:11], vcc, s[10:11]
	v_add_u32_e32 v101, 8, v101
	s_waitcnt vmcnt(0) lgkmcnt(0)
	v_fma_f64 v[95:96], v[103:104], v[105:106], v[95:96]
	s_andn2_b64 exec, exec, s[10:11]
	s_cbranch_execnz .LBB46_715
; %bb.716:
	s_or_b64 exec, exec, s[10:11]
.LBB46_717:
	s_or_b64 exec, exec, s[8:9]
	v_mov_b32_e32 v100, 0
	ds_read_b64 v[100:101], v100 offset:216
	s_waitcnt lgkmcnt(0)
	v_mul_f64 v[95:96], v[95:96], v[100:101]
	buffer_store_dword v96, off, s[0:3], 0 offset:220
	buffer_store_dword v95, off, s[0:3], 0 offset:216
.LBB46_718:
	s_or_b64 exec, exec, s[6:7]
	buffer_load_dword v95, off, s[0:3], 0 offset:224
	buffer_load_dword v96, off, s[0:3], 0 offset:228
	v_cmp_gt_u32_e32 vcc, 28, v0
	s_waitcnt vmcnt(0)
	ds_write_b64 v98, v[95:96]
	s_waitcnt lgkmcnt(0)
	; wave barrier
	s_and_saveexec_b64 s[6:7], vcc
	s_cbranch_execz .LBB46_728
; %bb.719:
	s_and_b64 vcc, exec, s[4:5]
	s_cbranch_vccnz .LBB46_721
; %bb.720:
	buffer_load_dword v95, v99, s[0:3], 0 offen
	buffer_load_dword v96, v99, s[0:3], 0 offen offset:4
	ds_read_b64 v[100:101], v98
	s_waitcnt vmcnt(0) lgkmcnt(0)
	v_mul_f64 v[95:96], v[95:96], v[100:101]
	s_cbranch_execz .LBB46_722
	s_branch .LBB46_723
.LBB46_721:
                                        ; implicit-def: $vgpr95_vgpr96
.LBB46_722:
	ds_read_b64 v[95:96], v98
.LBB46_723:
	v_cmp_ne_u32_e32 vcc, 27, v0
	s_and_saveexec_b64 s[8:9], vcc
	s_cbranch_execz .LBB46_727
; %bb.724:
	s_mov_b32 s10, 0
	v_add_u32_e32 v100, 0x188, v97
	v_add3_u32 v101, v97, s10, 8
	s_mov_b64 s[10:11], 0
	v_mov_b32_e32 v102, v0
.LBB46_725:                             ; =>This Inner Loop Header: Depth=1
	buffer_load_dword v103, v101, s[0:3], 0 offen
	buffer_load_dword v104, v101, s[0:3], 0 offen offset:4
	ds_read_b64 v[105:106], v100
	v_add_u32_e32 v102, 1, v102
	v_cmp_lt_u32_e32 vcc, 26, v102
	v_add_u32_e32 v100, 8, v100
	s_or_b64 s[10:11], vcc, s[10:11]
	v_add_u32_e32 v101, 8, v101
	s_waitcnt vmcnt(0) lgkmcnt(0)
	v_fma_f64 v[95:96], v[103:104], v[105:106], v[95:96]
	s_andn2_b64 exec, exec, s[10:11]
	s_cbranch_execnz .LBB46_725
; %bb.726:
	s_or_b64 exec, exec, s[10:11]
.LBB46_727:
	s_or_b64 exec, exec, s[8:9]
	v_mov_b32_e32 v100, 0
	ds_read_b64 v[100:101], v100 offset:224
	s_waitcnt lgkmcnt(0)
	v_mul_f64 v[95:96], v[95:96], v[100:101]
	buffer_store_dword v96, off, s[0:3], 0 offset:228
	buffer_store_dword v95, off, s[0:3], 0 offset:224
.LBB46_728:
	s_or_b64 exec, exec, s[6:7]
	buffer_load_dword v95, off, s[0:3], 0 offset:232
	buffer_load_dword v96, off, s[0:3], 0 offset:236
	v_cmp_gt_u32_e32 vcc, 29, v0
	s_waitcnt vmcnt(0)
	ds_write_b64 v98, v[95:96]
	s_waitcnt lgkmcnt(0)
	; wave barrier
	s_and_saveexec_b64 s[6:7], vcc
	s_cbranch_execz .LBB46_738
; %bb.729:
	s_and_b64 vcc, exec, s[4:5]
	s_cbranch_vccnz .LBB46_731
; %bb.730:
	buffer_load_dword v95, v99, s[0:3], 0 offen
	buffer_load_dword v96, v99, s[0:3], 0 offen offset:4
	ds_read_b64 v[100:101], v98
	s_waitcnt vmcnt(0) lgkmcnt(0)
	v_mul_f64 v[95:96], v[95:96], v[100:101]
	s_cbranch_execz .LBB46_732
	s_branch .LBB46_733
.LBB46_731:
                                        ; implicit-def: $vgpr95_vgpr96
.LBB46_732:
	ds_read_b64 v[95:96], v98
.LBB46_733:
	v_cmp_ne_u32_e32 vcc, 28, v0
	s_and_saveexec_b64 s[8:9], vcc
	s_cbranch_execz .LBB46_737
; %bb.734:
	s_mov_b32 s10, 0
	v_add_u32_e32 v100, 0x188, v97
	v_add3_u32 v101, v97, s10, 8
	s_mov_b64 s[10:11], 0
	v_mov_b32_e32 v102, v0
.LBB46_735:                             ; =>This Inner Loop Header: Depth=1
	buffer_load_dword v103, v101, s[0:3], 0 offen
	buffer_load_dword v104, v101, s[0:3], 0 offen offset:4
	ds_read_b64 v[105:106], v100
	v_add_u32_e32 v102, 1, v102
	v_cmp_lt_u32_e32 vcc, 27, v102
	v_add_u32_e32 v100, 8, v100
	s_or_b64 s[10:11], vcc, s[10:11]
	v_add_u32_e32 v101, 8, v101
	s_waitcnt vmcnt(0) lgkmcnt(0)
	v_fma_f64 v[95:96], v[103:104], v[105:106], v[95:96]
	s_andn2_b64 exec, exec, s[10:11]
	s_cbranch_execnz .LBB46_735
; %bb.736:
	s_or_b64 exec, exec, s[10:11]
.LBB46_737:
	s_or_b64 exec, exec, s[8:9]
	v_mov_b32_e32 v100, 0
	ds_read_b64 v[100:101], v100 offset:232
	s_waitcnt lgkmcnt(0)
	v_mul_f64 v[95:96], v[95:96], v[100:101]
	buffer_store_dword v96, off, s[0:3], 0 offset:236
	buffer_store_dword v95, off, s[0:3], 0 offset:232
.LBB46_738:
	s_or_b64 exec, exec, s[6:7]
	buffer_load_dword v95, off, s[0:3], 0 offset:240
	buffer_load_dword v96, off, s[0:3], 0 offset:244
	v_cmp_gt_u32_e32 vcc, 30, v0
	s_waitcnt vmcnt(0)
	ds_write_b64 v98, v[95:96]
	s_waitcnt lgkmcnt(0)
	; wave barrier
	s_and_saveexec_b64 s[6:7], vcc
	s_cbranch_execz .LBB46_748
; %bb.739:
	s_and_b64 vcc, exec, s[4:5]
	s_cbranch_vccnz .LBB46_741
; %bb.740:
	buffer_load_dword v95, v99, s[0:3], 0 offen
	buffer_load_dword v96, v99, s[0:3], 0 offen offset:4
	ds_read_b64 v[100:101], v98
	s_waitcnt vmcnt(0) lgkmcnt(0)
	v_mul_f64 v[95:96], v[95:96], v[100:101]
	s_cbranch_execz .LBB46_742
	s_branch .LBB46_743
.LBB46_741:
                                        ; implicit-def: $vgpr95_vgpr96
.LBB46_742:
	ds_read_b64 v[95:96], v98
.LBB46_743:
	v_cmp_ne_u32_e32 vcc, 29, v0
	s_and_saveexec_b64 s[8:9], vcc
	s_cbranch_execz .LBB46_747
; %bb.744:
	s_mov_b32 s10, 0
	v_add_u32_e32 v100, 0x188, v97
	v_add3_u32 v101, v97, s10, 8
	s_mov_b64 s[10:11], 0
	v_mov_b32_e32 v102, v0
.LBB46_745:                             ; =>This Inner Loop Header: Depth=1
	buffer_load_dword v103, v101, s[0:3], 0 offen
	buffer_load_dword v104, v101, s[0:3], 0 offen offset:4
	ds_read_b64 v[105:106], v100
	v_add_u32_e32 v102, 1, v102
	v_cmp_lt_u32_e32 vcc, 28, v102
	v_add_u32_e32 v100, 8, v100
	s_or_b64 s[10:11], vcc, s[10:11]
	v_add_u32_e32 v101, 8, v101
	s_waitcnt vmcnt(0) lgkmcnt(0)
	v_fma_f64 v[95:96], v[103:104], v[105:106], v[95:96]
	s_andn2_b64 exec, exec, s[10:11]
	s_cbranch_execnz .LBB46_745
; %bb.746:
	s_or_b64 exec, exec, s[10:11]
.LBB46_747:
	s_or_b64 exec, exec, s[8:9]
	v_mov_b32_e32 v100, 0
	ds_read_b64 v[100:101], v100 offset:240
	s_waitcnt lgkmcnt(0)
	v_mul_f64 v[95:96], v[95:96], v[100:101]
	buffer_store_dword v96, off, s[0:3], 0 offset:244
	buffer_store_dword v95, off, s[0:3], 0 offset:240
.LBB46_748:
	s_or_b64 exec, exec, s[6:7]
	buffer_load_dword v95, off, s[0:3], 0 offset:248
	buffer_load_dword v96, off, s[0:3], 0 offset:252
	v_cmp_gt_u32_e32 vcc, 31, v0
	s_waitcnt vmcnt(0)
	ds_write_b64 v98, v[95:96]
	s_waitcnt lgkmcnt(0)
	; wave barrier
	s_and_saveexec_b64 s[6:7], vcc
	s_cbranch_execz .LBB46_758
; %bb.749:
	s_and_b64 vcc, exec, s[4:5]
	s_cbranch_vccnz .LBB46_751
; %bb.750:
	buffer_load_dword v95, v99, s[0:3], 0 offen
	buffer_load_dword v96, v99, s[0:3], 0 offen offset:4
	ds_read_b64 v[100:101], v98
	s_waitcnt vmcnt(0) lgkmcnt(0)
	v_mul_f64 v[95:96], v[95:96], v[100:101]
	s_cbranch_execz .LBB46_752
	s_branch .LBB46_753
.LBB46_751:
                                        ; implicit-def: $vgpr95_vgpr96
.LBB46_752:
	ds_read_b64 v[95:96], v98
.LBB46_753:
	v_cmp_ne_u32_e32 vcc, 30, v0
	s_and_saveexec_b64 s[8:9], vcc
	s_cbranch_execz .LBB46_757
; %bb.754:
	s_mov_b32 s10, 0
	v_add_u32_e32 v100, 0x188, v97
	v_add3_u32 v101, v97, s10, 8
	s_mov_b64 s[10:11], 0
	v_mov_b32_e32 v102, v0
.LBB46_755:                             ; =>This Inner Loop Header: Depth=1
	buffer_load_dword v103, v101, s[0:3], 0 offen
	buffer_load_dword v104, v101, s[0:3], 0 offen offset:4
	ds_read_b64 v[105:106], v100
	v_add_u32_e32 v102, 1, v102
	v_cmp_lt_u32_e32 vcc, 29, v102
	v_add_u32_e32 v100, 8, v100
	s_or_b64 s[10:11], vcc, s[10:11]
	v_add_u32_e32 v101, 8, v101
	s_waitcnt vmcnt(0) lgkmcnt(0)
	v_fma_f64 v[95:96], v[103:104], v[105:106], v[95:96]
	s_andn2_b64 exec, exec, s[10:11]
	s_cbranch_execnz .LBB46_755
; %bb.756:
	s_or_b64 exec, exec, s[10:11]
.LBB46_757:
	s_or_b64 exec, exec, s[8:9]
	v_mov_b32_e32 v100, 0
	ds_read_b64 v[100:101], v100 offset:248
	s_waitcnt lgkmcnt(0)
	v_mul_f64 v[95:96], v[95:96], v[100:101]
	buffer_store_dword v96, off, s[0:3], 0 offset:252
	buffer_store_dword v95, off, s[0:3], 0 offset:248
.LBB46_758:
	s_or_b64 exec, exec, s[6:7]
	buffer_load_dword v95, off, s[0:3], 0 offset:256
	buffer_load_dword v96, off, s[0:3], 0 offset:260
	v_cmp_gt_u32_e32 vcc, 32, v0
	s_waitcnt vmcnt(0)
	ds_write_b64 v98, v[95:96]
	s_waitcnt lgkmcnt(0)
	; wave barrier
	s_and_saveexec_b64 s[6:7], vcc
	s_cbranch_execz .LBB46_768
; %bb.759:
	s_and_b64 vcc, exec, s[4:5]
	s_cbranch_vccnz .LBB46_761
; %bb.760:
	buffer_load_dword v95, v99, s[0:3], 0 offen
	buffer_load_dword v96, v99, s[0:3], 0 offen offset:4
	ds_read_b64 v[100:101], v98
	s_waitcnt vmcnt(0) lgkmcnt(0)
	v_mul_f64 v[95:96], v[95:96], v[100:101]
	s_cbranch_execz .LBB46_762
	s_branch .LBB46_763
.LBB46_761:
                                        ; implicit-def: $vgpr95_vgpr96
.LBB46_762:
	ds_read_b64 v[95:96], v98
.LBB46_763:
	v_cmp_ne_u32_e32 vcc, 31, v0
	s_and_saveexec_b64 s[8:9], vcc
	s_cbranch_execz .LBB46_767
; %bb.764:
	s_mov_b32 s10, 0
	v_add_u32_e32 v100, 0x188, v97
	v_add3_u32 v101, v97, s10, 8
	s_mov_b64 s[10:11], 0
	v_mov_b32_e32 v102, v0
.LBB46_765:                             ; =>This Inner Loop Header: Depth=1
	buffer_load_dword v103, v101, s[0:3], 0 offen
	buffer_load_dword v104, v101, s[0:3], 0 offen offset:4
	ds_read_b64 v[105:106], v100
	v_add_u32_e32 v102, 1, v102
	v_cmp_lt_u32_e32 vcc, 30, v102
	v_add_u32_e32 v100, 8, v100
	s_or_b64 s[10:11], vcc, s[10:11]
	v_add_u32_e32 v101, 8, v101
	s_waitcnt vmcnt(0) lgkmcnt(0)
	v_fma_f64 v[95:96], v[103:104], v[105:106], v[95:96]
	s_andn2_b64 exec, exec, s[10:11]
	s_cbranch_execnz .LBB46_765
; %bb.766:
	s_or_b64 exec, exec, s[10:11]
.LBB46_767:
	s_or_b64 exec, exec, s[8:9]
	v_mov_b32_e32 v100, 0
	ds_read_b64 v[100:101], v100 offset:256
	s_waitcnt lgkmcnt(0)
	v_mul_f64 v[95:96], v[95:96], v[100:101]
	buffer_store_dword v96, off, s[0:3], 0 offset:260
	buffer_store_dword v95, off, s[0:3], 0 offset:256
.LBB46_768:
	s_or_b64 exec, exec, s[6:7]
	buffer_load_dword v95, off, s[0:3], 0 offset:264
	buffer_load_dword v96, off, s[0:3], 0 offset:268
	v_cmp_gt_u32_e32 vcc, 33, v0
	s_waitcnt vmcnt(0)
	ds_write_b64 v98, v[95:96]
	s_waitcnt lgkmcnt(0)
	; wave barrier
	s_and_saveexec_b64 s[6:7], vcc
	s_cbranch_execz .LBB46_778
; %bb.769:
	s_and_b64 vcc, exec, s[4:5]
	s_cbranch_vccnz .LBB46_771
; %bb.770:
	buffer_load_dword v95, v99, s[0:3], 0 offen
	buffer_load_dword v96, v99, s[0:3], 0 offen offset:4
	ds_read_b64 v[100:101], v98
	s_waitcnt vmcnt(0) lgkmcnt(0)
	v_mul_f64 v[95:96], v[95:96], v[100:101]
	s_cbranch_execz .LBB46_772
	s_branch .LBB46_773
.LBB46_771:
                                        ; implicit-def: $vgpr95_vgpr96
.LBB46_772:
	ds_read_b64 v[95:96], v98
.LBB46_773:
	v_cmp_ne_u32_e32 vcc, 32, v0
	s_and_saveexec_b64 s[8:9], vcc
	s_cbranch_execz .LBB46_777
; %bb.774:
	s_mov_b32 s10, 0
	v_add_u32_e32 v100, 0x188, v97
	v_add3_u32 v101, v97, s10, 8
	s_mov_b64 s[10:11], 0
	v_mov_b32_e32 v102, v0
.LBB46_775:                             ; =>This Inner Loop Header: Depth=1
	buffer_load_dword v103, v101, s[0:3], 0 offen
	buffer_load_dword v104, v101, s[0:3], 0 offen offset:4
	ds_read_b64 v[105:106], v100
	v_add_u32_e32 v102, 1, v102
	v_cmp_lt_u32_e32 vcc, 31, v102
	v_add_u32_e32 v100, 8, v100
	s_or_b64 s[10:11], vcc, s[10:11]
	v_add_u32_e32 v101, 8, v101
	s_waitcnt vmcnt(0) lgkmcnt(0)
	v_fma_f64 v[95:96], v[103:104], v[105:106], v[95:96]
	s_andn2_b64 exec, exec, s[10:11]
	s_cbranch_execnz .LBB46_775
; %bb.776:
	s_or_b64 exec, exec, s[10:11]
.LBB46_777:
	s_or_b64 exec, exec, s[8:9]
	v_mov_b32_e32 v100, 0
	ds_read_b64 v[100:101], v100 offset:264
	s_waitcnt lgkmcnt(0)
	v_mul_f64 v[95:96], v[95:96], v[100:101]
	buffer_store_dword v96, off, s[0:3], 0 offset:268
	buffer_store_dword v95, off, s[0:3], 0 offset:264
.LBB46_778:
	s_or_b64 exec, exec, s[6:7]
	buffer_load_dword v95, off, s[0:3], 0 offset:272
	buffer_load_dword v96, off, s[0:3], 0 offset:276
	v_cmp_gt_u32_e32 vcc, 34, v0
	s_waitcnt vmcnt(0)
	ds_write_b64 v98, v[95:96]
	s_waitcnt lgkmcnt(0)
	; wave barrier
	s_and_saveexec_b64 s[6:7], vcc
	s_cbranch_execz .LBB46_788
; %bb.779:
	s_and_b64 vcc, exec, s[4:5]
	s_cbranch_vccnz .LBB46_781
; %bb.780:
	buffer_load_dword v95, v99, s[0:3], 0 offen
	buffer_load_dword v96, v99, s[0:3], 0 offen offset:4
	ds_read_b64 v[100:101], v98
	s_waitcnt vmcnt(0) lgkmcnt(0)
	v_mul_f64 v[95:96], v[95:96], v[100:101]
	s_cbranch_execz .LBB46_782
	s_branch .LBB46_783
.LBB46_781:
                                        ; implicit-def: $vgpr95_vgpr96
.LBB46_782:
	ds_read_b64 v[95:96], v98
.LBB46_783:
	v_cmp_ne_u32_e32 vcc, 33, v0
	s_and_saveexec_b64 s[8:9], vcc
	s_cbranch_execz .LBB46_787
; %bb.784:
	s_mov_b32 s10, 0
	v_add_u32_e32 v100, 0x188, v97
	v_add3_u32 v101, v97, s10, 8
	s_mov_b64 s[10:11], 0
	v_mov_b32_e32 v102, v0
.LBB46_785:                             ; =>This Inner Loop Header: Depth=1
	buffer_load_dword v103, v101, s[0:3], 0 offen
	buffer_load_dword v104, v101, s[0:3], 0 offen offset:4
	ds_read_b64 v[105:106], v100
	v_add_u32_e32 v102, 1, v102
	v_cmp_lt_u32_e32 vcc, 32, v102
	v_add_u32_e32 v100, 8, v100
	s_or_b64 s[10:11], vcc, s[10:11]
	v_add_u32_e32 v101, 8, v101
	s_waitcnt vmcnt(0) lgkmcnt(0)
	v_fma_f64 v[95:96], v[103:104], v[105:106], v[95:96]
	s_andn2_b64 exec, exec, s[10:11]
	s_cbranch_execnz .LBB46_785
; %bb.786:
	s_or_b64 exec, exec, s[10:11]
.LBB46_787:
	s_or_b64 exec, exec, s[8:9]
	v_mov_b32_e32 v100, 0
	ds_read_b64 v[100:101], v100 offset:272
	s_waitcnt lgkmcnt(0)
	v_mul_f64 v[95:96], v[95:96], v[100:101]
	buffer_store_dword v96, off, s[0:3], 0 offset:276
	buffer_store_dword v95, off, s[0:3], 0 offset:272
.LBB46_788:
	s_or_b64 exec, exec, s[6:7]
	buffer_load_dword v95, off, s[0:3], 0 offset:280
	buffer_load_dword v96, off, s[0:3], 0 offset:284
	v_cmp_gt_u32_e32 vcc, 35, v0
	s_waitcnt vmcnt(0)
	ds_write_b64 v98, v[95:96]
	s_waitcnt lgkmcnt(0)
	; wave barrier
	s_and_saveexec_b64 s[6:7], vcc
	s_cbranch_execz .LBB46_798
; %bb.789:
	s_and_b64 vcc, exec, s[4:5]
	s_cbranch_vccnz .LBB46_791
; %bb.790:
	buffer_load_dword v95, v99, s[0:3], 0 offen
	buffer_load_dword v96, v99, s[0:3], 0 offen offset:4
	ds_read_b64 v[100:101], v98
	s_waitcnt vmcnt(0) lgkmcnt(0)
	v_mul_f64 v[95:96], v[95:96], v[100:101]
	s_cbranch_execz .LBB46_792
	s_branch .LBB46_793
.LBB46_791:
                                        ; implicit-def: $vgpr95_vgpr96
.LBB46_792:
	ds_read_b64 v[95:96], v98
.LBB46_793:
	v_cmp_ne_u32_e32 vcc, 34, v0
	s_and_saveexec_b64 s[8:9], vcc
	s_cbranch_execz .LBB46_797
; %bb.794:
	s_mov_b32 s10, 0
	v_add_u32_e32 v100, 0x188, v97
	v_add3_u32 v101, v97, s10, 8
	s_mov_b64 s[10:11], 0
	v_mov_b32_e32 v102, v0
.LBB46_795:                             ; =>This Inner Loop Header: Depth=1
	buffer_load_dword v103, v101, s[0:3], 0 offen
	buffer_load_dword v104, v101, s[0:3], 0 offen offset:4
	ds_read_b64 v[105:106], v100
	v_add_u32_e32 v102, 1, v102
	v_cmp_lt_u32_e32 vcc, 33, v102
	v_add_u32_e32 v100, 8, v100
	s_or_b64 s[10:11], vcc, s[10:11]
	v_add_u32_e32 v101, 8, v101
	s_waitcnt vmcnt(0) lgkmcnt(0)
	v_fma_f64 v[95:96], v[103:104], v[105:106], v[95:96]
	s_andn2_b64 exec, exec, s[10:11]
	s_cbranch_execnz .LBB46_795
; %bb.796:
	s_or_b64 exec, exec, s[10:11]
.LBB46_797:
	s_or_b64 exec, exec, s[8:9]
	v_mov_b32_e32 v100, 0
	ds_read_b64 v[100:101], v100 offset:280
	s_waitcnt lgkmcnt(0)
	v_mul_f64 v[95:96], v[95:96], v[100:101]
	buffer_store_dword v96, off, s[0:3], 0 offset:284
	buffer_store_dword v95, off, s[0:3], 0 offset:280
.LBB46_798:
	s_or_b64 exec, exec, s[6:7]
	buffer_load_dword v95, off, s[0:3], 0 offset:288
	buffer_load_dword v96, off, s[0:3], 0 offset:292
	v_cmp_gt_u32_e32 vcc, 36, v0
	s_waitcnt vmcnt(0)
	ds_write_b64 v98, v[95:96]
	s_waitcnt lgkmcnt(0)
	; wave barrier
	s_and_saveexec_b64 s[6:7], vcc
	s_cbranch_execz .LBB46_808
; %bb.799:
	s_and_b64 vcc, exec, s[4:5]
	s_cbranch_vccnz .LBB46_801
; %bb.800:
	buffer_load_dword v95, v99, s[0:3], 0 offen
	buffer_load_dword v96, v99, s[0:3], 0 offen offset:4
	ds_read_b64 v[100:101], v98
	s_waitcnt vmcnt(0) lgkmcnt(0)
	v_mul_f64 v[95:96], v[95:96], v[100:101]
	s_cbranch_execz .LBB46_802
	s_branch .LBB46_803
.LBB46_801:
                                        ; implicit-def: $vgpr95_vgpr96
.LBB46_802:
	ds_read_b64 v[95:96], v98
.LBB46_803:
	v_cmp_ne_u32_e32 vcc, 35, v0
	s_and_saveexec_b64 s[8:9], vcc
	s_cbranch_execz .LBB46_807
; %bb.804:
	s_mov_b32 s10, 0
	v_add_u32_e32 v100, 0x188, v97
	v_add3_u32 v101, v97, s10, 8
	s_mov_b64 s[10:11], 0
	v_mov_b32_e32 v102, v0
.LBB46_805:                             ; =>This Inner Loop Header: Depth=1
	buffer_load_dword v103, v101, s[0:3], 0 offen
	buffer_load_dword v104, v101, s[0:3], 0 offen offset:4
	ds_read_b64 v[105:106], v100
	v_add_u32_e32 v102, 1, v102
	v_cmp_lt_u32_e32 vcc, 34, v102
	v_add_u32_e32 v100, 8, v100
	s_or_b64 s[10:11], vcc, s[10:11]
	v_add_u32_e32 v101, 8, v101
	s_waitcnt vmcnt(0) lgkmcnt(0)
	v_fma_f64 v[95:96], v[103:104], v[105:106], v[95:96]
	s_andn2_b64 exec, exec, s[10:11]
	s_cbranch_execnz .LBB46_805
; %bb.806:
	s_or_b64 exec, exec, s[10:11]
.LBB46_807:
	s_or_b64 exec, exec, s[8:9]
	v_mov_b32_e32 v100, 0
	ds_read_b64 v[100:101], v100 offset:288
	s_waitcnt lgkmcnt(0)
	v_mul_f64 v[95:96], v[95:96], v[100:101]
	buffer_store_dword v96, off, s[0:3], 0 offset:292
	buffer_store_dword v95, off, s[0:3], 0 offset:288
.LBB46_808:
	s_or_b64 exec, exec, s[6:7]
	buffer_load_dword v95, off, s[0:3], 0 offset:296
	buffer_load_dword v96, off, s[0:3], 0 offset:300
	v_cmp_gt_u32_e32 vcc, 37, v0
	s_waitcnt vmcnt(0)
	ds_write_b64 v98, v[95:96]
	s_waitcnt lgkmcnt(0)
	; wave barrier
	s_and_saveexec_b64 s[6:7], vcc
	s_cbranch_execz .LBB46_818
; %bb.809:
	s_and_b64 vcc, exec, s[4:5]
	s_cbranch_vccnz .LBB46_811
; %bb.810:
	buffer_load_dword v95, v99, s[0:3], 0 offen
	buffer_load_dword v96, v99, s[0:3], 0 offen offset:4
	ds_read_b64 v[100:101], v98
	s_waitcnt vmcnt(0) lgkmcnt(0)
	v_mul_f64 v[95:96], v[95:96], v[100:101]
	s_cbranch_execz .LBB46_812
	s_branch .LBB46_813
.LBB46_811:
                                        ; implicit-def: $vgpr95_vgpr96
.LBB46_812:
	ds_read_b64 v[95:96], v98
.LBB46_813:
	v_cmp_ne_u32_e32 vcc, 36, v0
	s_and_saveexec_b64 s[8:9], vcc
	s_cbranch_execz .LBB46_817
; %bb.814:
	s_mov_b32 s10, 0
	v_add_u32_e32 v100, 0x188, v97
	v_add3_u32 v101, v97, s10, 8
	s_mov_b64 s[10:11], 0
	v_mov_b32_e32 v102, v0
.LBB46_815:                             ; =>This Inner Loop Header: Depth=1
	buffer_load_dword v103, v101, s[0:3], 0 offen
	buffer_load_dword v104, v101, s[0:3], 0 offen offset:4
	ds_read_b64 v[105:106], v100
	v_add_u32_e32 v102, 1, v102
	v_cmp_lt_u32_e32 vcc, 35, v102
	v_add_u32_e32 v100, 8, v100
	s_or_b64 s[10:11], vcc, s[10:11]
	v_add_u32_e32 v101, 8, v101
	s_waitcnt vmcnt(0) lgkmcnt(0)
	v_fma_f64 v[95:96], v[103:104], v[105:106], v[95:96]
	s_andn2_b64 exec, exec, s[10:11]
	s_cbranch_execnz .LBB46_815
; %bb.816:
	s_or_b64 exec, exec, s[10:11]
.LBB46_817:
	s_or_b64 exec, exec, s[8:9]
	v_mov_b32_e32 v100, 0
	ds_read_b64 v[100:101], v100 offset:296
	s_waitcnt lgkmcnt(0)
	v_mul_f64 v[95:96], v[95:96], v[100:101]
	buffer_store_dword v96, off, s[0:3], 0 offset:300
	buffer_store_dword v95, off, s[0:3], 0 offset:296
.LBB46_818:
	s_or_b64 exec, exec, s[6:7]
	buffer_load_dword v95, off, s[0:3], 0 offset:304
	buffer_load_dword v96, off, s[0:3], 0 offset:308
	v_cmp_gt_u32_e32 vcc, 38, v0
	s_waitcnt vmcnt(0)
	ds_write_b64 v98, v[95:96]
	s_waitcnt lgkmcnt(0)
	; wave barrier
	s_and_saveexec_b64 s[6:7], vcc
	s_cbranch_execz .LBB46_828
; %bb.819:
	s_and_b64 vcc, exec, s[4:5]
	s_cbranch_vccnz .LBB46_821
; %bb.820:
	buffer_load_dword v95, v99, s[0:3], 0 offen
	buffer_load_dword v96, v99, s[0:3], 0 offen offset:4
	ds_read_b64 v[100:101], v98
	s_waitcnt vmcnt(0) lgkmcnt(0)
	v_mul_f64 v[95:96], v[95:96], v[100:101]
	s_cbranch_execz .LBB46_822
	s_branch .LBB46_823
.LBB46_821:
                                        ; implicit-def: $vgpr95_vgpr96
.LBB46_822:
	ds_read_b64 v[95:96], v98
.LBB46_823:
	v_cmp_ne_u32_e32 vcc, 37, v0
	s_and_saveexec_b64 s[8:9], vcc
	s_cbranch_execz .LBB46_827
; %bb.824:
	s_mov_b32 s10, 0
	v_add_u32_e32 v100, 0x188, v97
	v_add3_u32 v101, v97, s10, 8
	s_mov_b64 s[10:11], 0
	v_mov_b32_e32 v102, v0
.LBB46_825:                             ; =>This Inner Loop Header: Depth=1
	buffer_load_dword v103, v101, s[0:3], 0 offen
	buffer_load_dword v104, v101, s[0:3], 0 offen offset:4
	ds_read_b64 v[105:106], v100
	v_add_u32_e32 v102, 1, v102
	v_cmp_lt_u32_e32 vcc, 36, v102
	v_add_u32_e32 v100, 8, v100
	s_or_b64 s[10:11], vcc, s[10:11]
	v_add_u32_e32 v101, 8, v101
	s_waitcnt vmcnt(0) lgkmcnt(0)
	v_fma_f64 v[95:96], v[103:104], v[105:106], v[95:96]
	s_andn2_b64 exec, exec, s[10:11]
	s_cbranch_execnz .LBB46_825
; %bb.826:
	s_or_b64 exec, exec, s[10:11]
.LBB46_827:
	s_or_b64 exec, exec, s[8:9]
	v_mov_b32_e32 v100, 0
	ds_read_b64 v[100:101], v100 offset:304
	s_waitcnt lgkmcnt(0)
	v_mul_f64 v[95:96], v[95:96], v[100:101]
	buffer_store_dword v96, off, s[0:3], 0 offset:308
	buffer_store_dword v95, off, s[0:3], 0 offset:304
.LBB46_828:
	s_or_b64 exec, exec, s[6:7]
	buffer_load_dword v95, off, s[0:3], 0 offset:312
	buffer_load_dword v96, off, s[0:3], 0 offset:316
	v_cmp_gt_u32_e32 vcc, 39, v0
	s_waitcnt vmcnt(0)
	ds_write_b64 v98, v[95:96]
	s_waitcnt lgkmcnt(0)
	; wave barrier
	s_and_saveexec_b64 s[6:7], vcc
	s_cbranch_execz .LBB46_838
; %bb.829:
	s_and_b64 vcc, exec, s[4:5]
	s_cbranch_vccnz .LBB46_831
; %bb.830:
	buffer_load_dword v95, v99, s[0:3], 0 offen
	buffer_load_dword v96, v99, s[0:3], 0 offen offset:4
	ds_read_b64 v[100:101], v98
	s_waitcnt vmcnt(0) lgkmcnt(0)
	v_mul_f64 v[95:96], v[95:96], v[100:101]
	s_cbranch_execz .LBB46_832
	s_branch .LBB46_833
.LBB46_831:
                                        ; implicit-def: $vgpr95_vgpr96
.LBB46_832:
	ds_read_b64 v[95:96], v98
.LBB46_833:
	v_cmp_ne_u32_e32 vcc, 38, v0
	s_and_saveexec_b64 s[8:9], vcc
	s_cbranch_execz .LBB46_837
; %bb.834:
	s_mov_b32 s10, 0
	v_add_u32_e32 v100, 0x188, v97
	v_add3_u32 v101, v97, s10, 8
	s_mov_b64 s[10:11], 0
	v_mov_b32_e32 v102, v0
.LBB46_835:                             ; =>This Inner Loop Header: Depth=1
	buffer_load_dword v103, v101, s[0:3], 0 offen
	buffer_load_dword v104, v101, s[0:3], 0 offen offset:4
	ds_read_b64 v[105:106], v100
	v_add_u32_e32 v102, 1, v102
	v_cmp_lt_u32_e32 vcc, 37, v102
	v_add_u32_e32 v100, 8, v100
	s_or_b64 s[10:11], vcc, s[10:11]
	v_add_u32_e32 v101, 8, v101
	s_waitcnt vmcnt(0) lgkmcnt(0)
	v_fma_f64 v[95:96], v[103:104], v[105:106], v[95:96]
	s_andn2_b64 exec, exec, s[10:11]
	s_cbranch_execnz .LBB46_835
; %bb.836:
	s_or_b64 exec, exec, s[10:11]
.LBB46_837:
	s_or_b64 exec, exec, s[8:9]
	v_mov_b32_e32 v100, 0
	ds_read_b64 v[100:101], v100 offset:312
	s_waitcnt lgkmcnt(0)
	v_mul_f64 v[95:96], v[95:96], v[100:101]
	buffer_store_dword v96, off, s[0:3], 0 offset:316
	buffer_store_dword v95, off, s[0:3], 0 offset:312
.LBB46_838:
	s_or_b64 exec, exec, s[6:7]
	buffer_load_dword v95, off, s[0:3], 0 offset:320
	buffer_load_dword v96, off, s[0:3], 0 offset:324
	v_cmp_gt_u32_e32 vcc, 40, v0
	s_waitcnt vmcnt(0)
	ds_write_b64 v98, v[95:96]
	s_waitcnt lgkmcnt(0)
	; wave barrier
	s_and_saveexec_b64 s[6:7], vcc
	s_cbranch_execz .LBB46_848
; %bb.839:
	s_and_b64 vcc, exec, s[4:5]
	s_cbranch_vccnz .LBB46_841
; %bb.840:
	buffer_load_dword v95, v99, s[0:3], 0 offen
	buffer_load_dword v96, v99, s[0:3], 0 offen offset:4
	ds_read_b64 v[100:101], v98
	s_waitcnt vmcnt(0) lgkmcnt(0)
	v_mul_f64 v[95:96], v[95:96], v[100:101]
	s_cbranch_execz .LBB46_842
	s_branch .LBB46_843
.LBB46_841:
                                        ; implicit-def: $vgpr95_vgpr96
.LBB46_842:
	ds_read_b64 v[95:96], v98
.LBB46_843:
	v_cmp_ne_u32_e32 vcc, 39, v0
	s_and_saveexec_b64 s[8:9], vcc
	s_cbranch_execz .LBB46_847
; %bb.844:
	s_mov_b32 s10, 0
	v_add_u32_e32 v100, 0x188, v97
	v_add3_u32 v101, v97, s10, 8
	s_mov_b64 s[10:11], 0
	v_mov_b32_e32 v102, v0
.LBB46_845:                             ; =>This Inner Loop Header: Depth=1
	buffer_load_dword v103, v101, s[0:3], 0 offen
	buffer_load_dword v104, v101, s[0:3], 0 offen offset:4
	ds_read_b64 v[105:106], v100
	v_add_u32_e32 v102, 1, v102
	v_cmp_lt_u32_e32 vcc, 38, v102
	v_add_u32_e32 v100, 8, v100
	s_or_b64 s[10:11], vcc, s[10:11]
	v_add_u32_e32 v101, 8, v101
	s_waitcnt vmcnt(0) lgkmcnt(0)
	v_fma_f64 v[95:96], v[103:104], v[105:106], v[95:96]
	s_andn2_b64 exec, exec, s[10:11]
	s_cbranch_execnz .LBB46_845
; %bb.846:
	s_or_b64 exec, exec, s[10:11]
.LBB46_847:
	s_or_b64 exec, exec, s[8:9]
	v_mov_b32_e32 v100, 0
	ds_read_b64 v[100:101], v100 offset:320
	s_waitcnt lgkmcnt(0)
	v_mul_f64 v[95:96], v[95:96], v[100:101]
	buffer_store_dword v96, off, s[0:3], 0 offset:324
	buffer_store_dword v95, off, s[0:3], 0 offset:320
.LBB46_848:
	s_or_b64 exec, exec, s[6:7]
	buffer_load_dword v95, off, s[0:3], 0 offset:328
	buffer_load_dword v96, off, s[0:3], 0 offset:332
	v_cmp_gt_u32_e32 vcc, 41, v0
	s_waitcnt vmcnt(0)
	ds_write_b64 v98, v[95:96]
	s_waitcnt lgkmcnt(0)
	; wave barrier
	s_and_saveexec_b64 s[6:7], vcc
	s_cbranch_execz .LBB46_858
; %bb.849:
	s_and_b64 vcc, exec, s[4:5]
	s_cbranch_vccnz .LBB46_851
; %bb.850:
	buffer_load_dword v95, v99, s[0:3], 0 offen
	buffer_load_dword v96, v99, s[0:3], 0 offen offset:4
	ds_read_b64 v[100:101], v98
	s_waitcnt vmcnt(0) lgkmcnt(0)
	v_mul_f64 v[95:96], v[95:96], v[100:101]
	s_cbranch_execz .LBB46_852
	s_branch .LBB46_853
.LBB46_851:
                                        ; implicit-def: $vgpr95_vgpr96
.LBB46_852:
	ds_read_b64 v[95:96], v98
.LBB46_853:
	v_cmp_ne_u32_e32 vcc, 40, v0
	s_and_saveexec_b64 s[8:9], vcc
	s_cbranch_execz .LBB46_857
; %bb.854:
	s_mov_b32 s10, 0
	v_add_u32_e32 v100, 0x188, v97
	v_add3_u32 v101, v97, s10, 8
	s_mov_b64 s[10:11], 0
	v_mov_b32_e32 v102, v0
.LBB46_855:                             ; =>This Inner Loop Header: Depth=1
	buffer_load_dword v103, v101, s[0:3], 0 offen
	buffer_load_dword v104, v101, s[0:3], 0 offen offset:4
	ds_read_b64 v[105:106], v100
	v_add_u32_e32 v102, 1, v102
	v_cmp_lt_u32_e32 vcc, 39, v102
	v_add_u32_e32 v100, 8, v100
	s_or_b64 s[10:11], vcc, s[10:11]
	v_add_u32_e32 v101, 8, v101
	s_waitcnt vmcnt(0) lgkmcnt(0)
	v_fma_f64 v[95:96], v[103:104], v[105:106], v[95:96]
	s_andn2_b64 exec, exec, s[10:11]
	s_cbranch_execnz .LBB46_855
; %bb.856:
	s_or_b64 exec, exec, s[10:11]
.LBB46_857:
	s_or_b64 exec, exec, s[8:9]
	v_mov_b32_e32 v100, 0
	ds_read_b64 v[100:101], v100 offset:328
	s_waitcnt lgkmcnt(0)
	v_mul_f64 v[95:96], v[95:96], v[100:101]
	buffer_store_dword v96, off, s[0:3], 0 offset:332
	buffer_store_dword v95, off, s[0:3], 0 offset:328
.LBB46_858:
	s_or_b64 exec, exec, s[6:7]
	buffer_load_dword v95, off, s[0:3], 0 offset:336
	buffer_load_dword v96, off, s[0:3], 0 offset:340
	v_cmp_gt_u32_e32 vcc, 42, v0
	s_waitcnt vmcnt(0)
	ds_write_b64 v98, v[95:96]
	s_waitcnt lgkmcnt(0)
	; wave barrier
	s_and_saveexec_b64 s[6:7], vcc
	s_cbranch_execz .LBB46_868
; %bb.859:
	s_and_b64 vcc, exec, s[4:5]
	s_cbranch_vccnz .LBB46_861
; %bb.860:
	buffer_load_dword v95, v99, s[0:3], 0 offen
	buffer_load_dword v96, v99, s[0:3], 0 offen offset:4
	ds_read_b64 v[100:101], v98
	s_waitcnt vmcnt(0) lgkmcnt(0)
	v_mul_f64 v[95:96], v[95:96], v[100:101]
	s_cbranch_execz .LBB46_862
	s_branch .LBB46_863
.LBB46_861:
                                        ; implicit-def: $vgpr95_vgpr96
.LBB46_862:
	ds_read_b64 v[95:96], v98
.LBB46_863:
	v_cmp_ne_u32_e32 vcc, 41, v0
	s_and_saveexec_b64 s[8:9], vcc
	s_cbranch_execz .LBB46_867
; %bb.864:
	s_mov_b32 s10, 0
	v_add_u32_e32 v100, 0x188, v97
	v_add3_u32 v101, v97, s10, 8
	s_mov_b64 s[10:11], 0
	v_mov_b32_e32 v102, v0
.LBB46_865:                             ; =>This Inner Loop Header: Depth=1
	buffer_load_dword v103, v101, s[0:3], 0 offen
	buffer_load_dword v104, v101, s[0:3], 0 offen offset:4
	ds_read_b64 v[105:106], v100
	v_add_u32_e32 v102, 1, v102
	v_cmp_lt_u32_e32 vcc, 40, v102
	v_add_u32_e32 v100, 8, v100
	s_or_b64 s[10:11], vcc, s[10:11]
	v_add_u32_e32 v101, 8, v101
	s_waitcnt vmcnt(0) lgkmcnt(0)
	v_fma_f64 v[95:96], v[103:104], v[105:106], v[95:96]
	s_andn2_b64 exec, exec, s[10:11]
	s_cbranch_execnz .LBB46_865
; %bb.866:
	s_or_b64 exec, exec, s[10:11]
.LBB46_867:
	s_or_b64 exec, exec, s[8:9]
	v_mov_b32_e32 v100, 0
	ds_read_b64 v[100:101], v100 offset:336
	s_waitcnt lgkmcnt(0)
	v_mul_f64 v[95:96], v[95:96], v[100:101]
	buffer_store_dword v96, off, s[0:3], 0 offset:340
	buffer_store_dword v95, off, s[0:3], 0 offset:336
.LBB46_868:
	s_or_b64 exec, exec, s[6:7]
	buffer_load_dword v95, off, s[0:3], 0 offset:344
	buffer_load_dword v96, off, s[0:3], 0 offset:348
	v_cmp_gt_u32_e32 vcc, 43, v0
	s_waitcnt vmcnt(0)
	ds_write_b64 v98, v[95:96]
	s_waitcnt lgkmcnt(0)
	; wave barrier
	s_and_saveexec_b64 s[6:7], vcc
	s_cbranch_execz .LBB46_878
; %bb.869:
	s_and_b64 vcc, exec, s[4:5]
	s_cbranch_vccnz .LBB46_871
; %bb.870:
	buffer_load_dword v95, v99, s[0:3], 0 offen
	buffer_load_dword v96, v99, s[0:3], 0 offen offset:4
	ds_read_b64 v[100:101], v98
	s_waitcnt vmcnt(0) lgkmcnt(0)
	v_mul_f64 v[95:96], v[95:96], v[100:101]
	s_cbranch_execz .LBB46_872
	s_branch .LBB46_873
.LBB46_871:
                                        ; implicit-def: $vgpr95_vgpr96
.LBB46_872:
	ds_read_b64 v[95:96], v98
.LBB46_873:
	v_cmp_ne_u32_e32 vcc, 42, v0
	s_and_saveexec_b64 s[8:9], vcc
	s_cbranch_execz .LBB46_877
; %bb.874:
	s_mov_b32 s10, 0
	v_add_u32_e32 v100, 0x188, v97
	v_add3_u32 v101, v97, s10, 8
	s_mov_b64 s[10:11], 0
	v_mov_b32_e32 v102, v0
.LBB46_875:                             ; =>This Inner Loop Header: Depth=1
	buffer_load_dword v103, v101, s[0:3], 0 offen
	buffer_load_dword v104, v101, s[0:3], 0 offen offset:4
	ds_read_b64 v[105:106], v100
	v_add_u32_e32 v102, 1, v102
	v_cmp_lt_u32_e32 vcc, 41, v102
	v_add_u32_e32 v100, 8, v100
	s_or_b64 s[10:11], vcc, s[10:11]
	v_add_u32_e32 v101, 8, v101
	s_waitcnt vmcnt(0) lgkmcnt(0)
	v_fma_f64 v[95:96], v[103:104], v[105:106], v[95:96]
	s_andn2_b64 exec, exec, s[10:11]
	s_cbranch_execnz .LBB46_875
; %bb.876:
	s_or_b64 exec, exec, s[10:11]
.LBB46_877:
	s_or_b64 exec, exec, s[8:9]
	v_mov_b32_e32 v100, 0
	ds_read_b64 v[100:101], v100 offset:344
	s_waitcnt lgkmcnt(0)
	v_mul_f64 v[95:96], v[95:96], v[100:101]
	buffer_store_dword v96, off, s[0:3], 0 offset:348
	buffer_store_dword v95, off, s[0:3], 0 offset:344
.LBB46_878:
	s_or_b64 exec, exec, s[6:7]
	buffer_load_dword v95, off, s[0:3], 0 offset:352
	buffer_load_dword v96, off, s[0:3], 0 offset:356
	v_cmp_gt_u32_e32 vcc, 44, v0
	s_waitcnt vmcnt(0)
	ds_write_b64 v98, v[95:96]
	s_waitcnt lgkmcnt(0)
	; wave barrier
	s_and_saveexec_b64 s[6:7], vcc
	s_cbranch_execz .LBB46_888
; %bb.879:
	s_and_b64 vcc, exec, s[4:5]
	s_cbranch_vccnz .LBB46_881
; %bb.880:
	buffer_load_dword v95, v99, s[0:3], 0 offen
	buffer_load_dword v96, v99, s[0:3], 0 offen offset:4
	ds_read_b64 v[100:101], v98
	s_waitcnt vmcnt(0) lgkmcnt(0)
	v_mul_f64 v[95:96], v[95:96], v[100:101]
	s_cbranch_execz .LBB46_882
	s_branch .LBB46_883
.LBB46_881:
                                        ; implicit-def: $vgpr95_vgpr96
.LBB46_882:
	ds_read_b64 v[95:96], v98
.LBB46_883:
	v_cmp_ne_u32_e32 vcc, 43, v0
	s_and_saveexec_b64 s[8:9], vcc
	s_cbranch_execz .LBB46_887
; %bb.884:
	s_mov_b32 s10, 0
	v_add_u32_e32 v100, 0x188, v97
	v_add3_u32 v101, v97, s10, 8
	s_mov_b64 s[10:11], 0
	v_mov_b32_e32 v102, v0
.LBB46_885:                             ; =>This Inner Loop Header: Depth=1
	buffer_load_dword v103, v101, s[0:3], 0 offen
	buffer_load_dword v104, v101, s[0:3], 0 offen offset:4
	ds_read_b64 v[105:106], v100
	v_add_u32_e32 v102, 1, v102
	v_cmp_lt_u32_e32 vcc, 42, v102
	v_add_u32_e32 v100, 8, v100
	s_or_b64 s[10:11], vcc, s[10:11]
	v_add_u32_e32 v101, 8, v101
	s_waitcnt vmcnt(0) lgkmcnt(0)
	v_fma_f64 v[95:96], v[103:104], v[105:106], v[95:96]
	s_andn2_b64 exec, exec, s[10:11]
	s_cbranch_execnz .LBB46_885
; %bb.886:
	s_or_b64 exec, exec, s[10:11]
.LBB46_887:
	s_or_b64 exec, exec, s[8:9]
	v_mov_b32_e32 v100, 0
	ds_read_b64 v[100:101], v100 offset:352
	s_waitcnt lgkmcnt(0)
	v_mul_f64 v[95:96], v[95:96], v[100:101]
	buffer_store_dword v96, off, s[0:3], 0 offset:356
	buffer_store_dword v95, off, s[0:3], 0 offset:352
.LBB46_888:
	s_or_b64 exec, exec, s[6:7]
	buffer_load_dword v95, off, s[0:3], 0 offset:360
	buffer_load_dword v96, off, s[0:3], 0 offset:364
	v_cmp_gt_u32_e64 s[6:7], 45, v0
	s_waitcnt vmcnt(0)
	ds_write_b64 v98, v[95:96]
	s_waitcnt lgkmcnt(0)
	; wave barrier
	s_and_saveexec_b64 s[8:9], s[6:7]
	s_cbranch_execz .LBB46_898
; %bb.889:
	s_and_b64 vcc, exec, s[4:5]
	s_cbranch_vccnz .LBB46_891
; %bb.890:
	buffer_load_dword v95, v99, s[0:3], 0 offen
	buffer_load_dword v96, v99, s[0:3], 0 offen offset:4
	ds_read_b64 v[100:101], v98
	s_waitcnt vmcnt(0) lgkmcnt(0)
	v_mul_f64 v[95:96], v[95:96], v[100:101]
	s_cbranch_execz .LBB46_892
	s_branch .LBB46_893
.LBB46_891:
                                        ; implicit-def: $vgpr95_vgpr96
.LBB46_892:
	ds_read_b64 v[95:96], v98
.LBB46_893:
	v_cmp_ne_u32_e32 vcc, 44, v0
	s_and_saveexec_b64 s[10:11], vcc
	s_cbranch_execz .LBB46_897
; %bb.894:
	s_mov_b32 s12, 0
	v_add_u32_e32 v100, 0x188, v97
	v_add3_u32 v101, v97, s12, 8
	s_mov_b64 s[12:13], 0
	v_mov_b32_e32 v102, v0
.LBB46_895:                             ; =>This Inner Loop Header: Depth=1
	buffer_load_dword v103, v101, s[0:3], 0 offen
	buffer_load_dword v104, v101, s[0:3], 0 offen offset:4
	ds_read_b64 v[105:106], v100
	v_add_u32_e32 v102, 1, v102
	v_cmp_lt_u32_e32 vcc, 43, v102
	v_add_u32_e32 v100, 8, v100
	s_or_b64 s[12:13], vcc, s[12:13]
	v_add_u32_e32 v101, 8, v101
	s_waitcnt vmcnt(0) lgkmcnt(0)
	v_fma_f64 v[95:96], v[103:104], v[105:106], v[95:96]
	s_andn2_b64 exec, exec, s[12:13]
	s_cbranch_execnz .LBB46_895
; %bb.896:
	s_or_b64 exec, exec, s[12:13]
.LBB46_897:
	s_or_b64 exec, exec, s[10:11]
	v_mov_b32_e32 v100, 0
	ds_read_b64 v[100:101], v100 offset:360
	s_waitcnt lgkmcnt(0)
	v_mul_f64 v[95:96], v[95:96], v[100:101]
	buffer_store_dword v96, off, s[0:3], 0 offset:364
	buffer_store_dword v95, off, s[0:3], 0 offset:360
.LBB46_898:
	s_or_b64 exec, exec, s[8:9]
	buffer_load_dword v95, off, s[0:3], 0 offset:368
	buffer_load_dword v96, off, s[0:3], 0 offset:372
	v_cmp_ne_u32_e32 vcc, 46, v0
	s_waitcnt vmcnt(0)
	ds_write_b64 v98, v[95:96]
	s_waitcnt lgkmcnt(0)
	; wave barrier
	s_and_saveexec_b64 s[8:9], vcc
	s_cbranch_execz .LBB46_908
; %bb.899:
	s_and_b64 vcc, exec, s[4:5]
	s_cbranch_vccnz .LBB46_901
; %bb.900:
	buffer_load_dword v95, v99, s[0:3], 0 offen
	buffer_load_dword v96, v99, s[0:3], 0 offen offset:4
	ds_read_b64 v[99:100], v98
	s_waitcnt vmcnt(0) lgkmcnt(0)
	v_mul_f64 v[95:96], v[95:96], v[99:100]
	s_cbranch_execz .LBB46_902
	s_branch .LBB46_903
.LBB46_901:
                                        ; implicit-def: $vgpr95_vgpr96
.LBB46_902:
	ds_read_b64 v[95:96], v98
.LBB46_903:
	s_and_saveexec_b64 s[4:5], s[6:7]
	s_cbranch_execz .LBB46_907
; %bb.904:
	s_mov_b32 s6, 0
	v_add_u32_e32 v98, 0x188, v97
	v_add3_u32 v97, v97, s6, 8
	s_mov_b64 s[6:7], 0
.LBB46_905:                             ; =>This Inner Loop Header: Depth=1
	buffer_load_dword v99, v97, s[0:3], 0 offen
	buffer_load_dword v100, v97, s[0:3], 0 offen offset:4
	ds_read_b64 v[101:102], v98
	v_add_u32_e32 v0, 1, v0
	v_cmp_lt_u32_e32 vcc, 44, v0
	v_add_u32_e32 v98, 8, v98
	s_or_b64 s[6:7], vcc, s[6:7]
	v_add_u32_e32 v97, 8, v97
	s_waitcnt vmcnt(0) lgkmcnt(0)
	v_fma_f64 v[95:96], v[99:100], v[101:102], v[95:96]
	s_andn2_b64 exec, exec, s[6:7]
	s_cbranch_execnz .LBB46_905
; %bb.906:
	s_or_b64 exec, exec, s[6:7]
.LBB46_907:
	s_or_b64 exec, exec, s[4:5]
	v_mov_b32_e32 v0, 0
	ds_read_b64 v[97:98], v0 offset:368
	s_waitcnt lgkmcnt(0)
	v_mul_f64 v[95:96], v[95:96], v[97:98]
	buffer_store_dword v96, off, s[0:3], 0 offset:372
	buffer_store_dword v95, off, s[0:3], 0 offset:368
.LBB46_908:
	s_or_b64 exec, exec, s[8:9]
.LBB46_909:
	buffer_load_dword v95, off, s[0:3], 0
	buffer_load_dword v96, off, s[0:3], 0 offset:4
	buffer_load_dword v97, off, s[0:3], 0 offset:8
	;; [unrolled: 1-line block ×23, first 2 shown]
	s_waitcnt vmcnt(22)
	global_store_dwordx2 v[93:94], v[95:96], off
	buffer_load_dword v93, off, s[0:3], 0 offset:96
	s_nop 0
	buffer_load_dword v94, off, s[0:3], 0 offset:100
	buffer_load_dword v95, off, s[0:3], 0 offset:104
	;; [unrolled: 1-line block ×7, first 2 shown]
	s_waitcnt vmcnt(29)
	global_store_dwordx2 v[91:92], v[97:98], off
	s_waitcnt vmcnt(28)
	global_store_dwordx2 v[5:6], v[99:100], off
	buffer_load_dword v5, off, s[0:3], 0 offset:128
	s_nop 0
	buffer_load_dword v6, off, s[0:3], 0 offset:132
	buffer_load_dword v91, off, s[0:3], 0 offset:136
	buffer_load_dword v92, off, s[0:3], 0 offset:140
	buffer_load_dword v97, off, s[0:3], 0 offset:144
	buffer_load_dword v98, off, s[0:3], 0 offset:148
	buffer_load_dword v99, off, s[0:3], 0 offset:152
	buffer_load_dword v100, off, s[0:3], 0 offset:156
	s_waitcnt vmcnt(35)
	global_store_dwordx2 v[1:2], v[101:102], off
	s_waitcnt vmcnt(34)
	global_store_dwordx2 v[9:10], v[103:104], off
	buffer_load_dword v0, off, s[0:3], 0 offset:160
	buffer_load_dword v1, off, s[0:3], 0 offset:164
	s_nop 0
	buffer_load_dword v9, off, s[0:3], 0 offset:168
	buffer_load_dword v10, off, s[0:3], 0 offset:172
	buffer_load_dword v101, off, s[0:3], 0 offset:176
	buffer_load_dword v102, off, s[0:3], 0 offset:180
	buffer_load_dword v103, off, s[0:3], 0 offset:184
	buffer_load_dword v104, off, s[0:3], 0 offset:188
	s_waitcnt vmcnt(41)
	global_store_dwordx2 v[3:4], v[105:106], off
	s_waitcnt vmcnt(40)
	global_store_dwordx2 v[13:14], v[107:108], off
	buffer_load_dword v2, off, s[0:3], 0 offset:192
	buffer_load_dword v3, off, s[0:3], 0 offset:196
	s_nop 0
	buffer_load_dword v13, off, s[0:3], 0 offset:200
	buffer_load_dword v14, off, s[0:3], 0 offset:204
	buffer_load_dword v105, off, s[0:3], 0 offset:208
	buffer_load_dword v106, off, s[0:3], 0 offset:212
	buffer_load_dword v107, off, s[0:3], 0 offset:216
	buffer_load_dword v108, off, s[0:3], 0 offset:220
	;; [unrolled: 13-line block ×3, first 2 shown]
	s_nop 0
	global_store_dwordx2 v[11:12], v[113:114], off
	global_store_dwordx2 v[17:18], v[115:116], off
	;; [unrolled: 1-line block ×3, first 2 shown]
	s_waitcnt vmcnt(49)
	global_store_dwordx2 v[25:26], v[93:94], off
	s_waitcnt vmcnt(48)
	global_store_dwordx2 v[29:30], v[95:96], off
	;; [unrolled: 2-line block ×4, first 2 shown]
	buffer_load_dword v11, off, s[0:3], 0 offset:256
	buffer_load_dword v12, off, s[0:3], 0 offset:260
	buffer_load_dword v17, off, s[0:3], 0 offset:264
	buffer_load_dword v18, off, s[0:3], 0 offset:268
	buffer_load_dword v21, off, s[0:3], 0 offset:272
	buffer_load_dword v22, off, s[0:3], 0 offset:276
	buffer_load_dword v25, off, s[0:3], 0 offset:280
	buffer_load_dword v26, off, s[0:3], 0 offset:284
	buffer_load_dword v29, off, s[0:3], 0 offset:288
	buffer_load_dword v30, off, s[0:3], 0 offset:292
	buffer_load_dword v33, off, s[0:3], 0 offset:296
	buffer_load_dword v34, off, s[0:3], 0 offset:300
	buffer_load_dword v37, off, s[0:3], 0 offset:304
	buffer_load_dword v38, off, s[0:3], 0 offset:308
	buffer_load_dword v93, off, s[0:3], 0 offset:312
	buffer_load_dword v94, off, s[0:3], 0 offset:316
	buffer_load_dword v95, off, s[0:3], 0 offset:320
	buffer_load_dword v96, off, s[0:3], 0 offset:324
	buffer_load_dword v113, off, s[0:3], 0 offset:328
	buffer_load_dword v114, off, s[0:3], 0 offset:332
	buffer_load_dword v115, off, s[0:3], 0 offset:336
	buffer_load_dword v116, off, s[0:3], 0 offset:340
	buffer_load_dword v117, off, s[0:3], 0 offset:344
	buffer_load_dword v118, off, s[0:3], 0 offset:348
	buffer_load_dword v119, off, s[0:3], 0 offset:352
	buffer_load_dword v120, off, s[0:3], 0 offset:356
	buffer_load_dword v121, off, s[0:3], 0 offset:360
	buffer_load_dword v122, off, s[0:3], 0 offset:364
	buffer_load_dword v123, off, s[0:3], 0 offset:368
	buffer_load_dword v124, off, s[0:3], 0 offset:372
	s_waitcnt vmcnt(62)
	global_store_dwordx2 v[19:20], v[5:6], off
	global_store_dwordx2 v[23:24], v[91:92], off
	;; [unrolled: 1-line block ×5, first 2 shown]
	s_waitcnt vmcnt(62)
	global_store_dwordx2 v[39:40], v[9:10], off
	global_store_dwordx2 v[41:42], v[101:102], off
	;; [unrolled: 1-line block ×3, first 2 shown]
	s_waitcnt vmcnt(61)
	global_store_dwordx2 v[45:46], v[2:3], off
	s_waitcnt vmcnt(60)
	global_store_dwordx2 v[47:48], v[13:14], off
	;; [unrolled: 2-line block ×23, first 2 shown]
.LBB46_910:
	s_endpgm
	.section	.rodata,"a",@progbits
	.p2align	6, 0x0
	.amdhsa_kernel _ZN9rocsolver6v33100L18trti2_kernel_smallILi47EdPdEEv13rocblas_fill_17rocblas_diagonal_T1_iil
		.amdhsa_group_segment_fixed_size 760
		.amdhsa_private_segment_fixed_size 384
		.amdhsa_kernarg_size 32
		.amdhsa_user_sgpr_count 6
		.amdhsa_user_sgpr_private_segment_buffer 1
		.amdhsa_user_sgpr_dispatch_ptr 0
		.amdhsa_user_sgpr_queue_ptr 0
		.amdhsa_user_sgpr_kernarg_segment_ptr 1
		.amdhsa_user_sgpr_dispatch_id 0
		.amdhsa_user_sgpr_flat_scratch_init 0
		.amdhsa_user_sgpr_private_segment_size 0
		.amdhsa_uses_dynamic_stack 0
		.amdhsa_system_sgpr_private_segment_wavefront_offset 1
		.amdhsa_system_sgpr_workgroup_id_x 1
		.amdhsa_system_sgpr_workgroup_id_y 0
		.amdhsa_system_sgpr_workgroup_id_z 0
		.amdhsa_system_sgpr_workgroup_info 0
		.amdhsa_system_vgpr_workitem_id 0
		.amdhsa_next_free_vgpr 125
		.amdhsa_next_free_sgpr 60
		.amdhsa_reserve_vcc 1
		.amdhsa_reserve_flat_scratch 0
		.amdhsa_float_round_mode_32 0
		.amdhsa_float_round_mode_16_64 0
		.amdhsa_float_denorm_mode_32 3
		.amdhsa_float_denorm_mode_16_64 3
		.amdhsa_dx10_clamp 1
		.amdhsa_ieee_mode 1
		.amdhsa_fp16_overflow 0
		.amdhsa_exception_fp_ieee_invalid_op 0
		.amdhsa_exception_fp_denorm_src 0
		.amdhsa_exception_fp_ieee_div_zero 0
		.amdhsa_exception_fp_ieee_overflow 0
		.amdhsa_exception_fp_ieee_underflow 0
		.amdhsa_exception_fp_ieee_inexact 0
		.amdhsa_exception_int_div_zero 0
	.end_amdhsa_kernel
	.section	.text._ZN9rocsolver6v33100L18trti2_kernel_smallILi47EdPdEEv13rocblas_fill_17rocblas_diagonal_T1_iil,"axG",@progbits,_ZN9rocsolver6v33100L18trti2_kernel_smallILi47EdPdEEv13rocblas_fill_17rocblas_diagonal_T1_iil,comdat
.Lfunc_end46:
	.size	_ZN9rocsolver6v33100L18trti2_kernel_smallILi47EdPdEEv13rocblas_fill_17rocblas_diagonal_T1_iil, .Lfunc_end46-_ZN9rocsolver6v33100L18trti2_kernel_smallILi47EdPdEEv13rocblas_fill_17rocblas_diagonal_T1_iil
                                        ; -- End function
	.set _ZN9rocsolver6v33100L18trti2_kernel_smallILi47EdPdEEv13rocblas_fill_17rocblas_diagonal_T1_iil.num_vgpr, 125
	.set _ZN9rocsolver6v33100L18trti2_kernel_smallILi47EdPdEEv13rocblas_fill_17rocblas_diagonal_T1_iil.num_agpr, 0
	.set _ZN9rocsolver6v33100L18trti2_kernel_smallILi47EdPdEEv13rocblas_fill_17rocblas_diagonal_T1_iil.numbered_sgpr, 60
	.set _ZN9rocsolver6v33100L18trti2_kernel_smallILi47EdPdEEv13rocblas_fill_17rocblas_diagonal_T1_iil.num_named_barrier, 0
	.set _ZN9rocsolver6v33100L18trti2_kernel_smallILi47EdPdEEv13rocblas_fill_17rocblas_diagonal_T1_iil.private_seg_size, 384
	.set _ZN9rocsolver6v33100L18trti2_kernel_smallILi47EdPdEEv13rocblas_fill_17rocblas_diagonal_T1_iil.uses_vcc, 1
	.set _ZN9rocsolver6v33100L18trti2_kernel_smallILi47EdPdEEv13rocblas_fill_17rocblas_diagonal_T1_iil.uses_flat_scratch, 0
	.set _ZN9rocsolver6v33100L18trti2_kernel_smallILi47EdPdEEv13rocblas_fill_17rocblas_diagonal_T1_iil.has_dyn_sized_stack, 0
	.set _ZN9rocsolver6v33100L18trti2_kernel_smallILi47EdPdEEv13rocblas_fill_17rocblas_diagonal_T1_iil.has_recursion, 0
	.set _ZN9rocsolver6v33100L18trti2_kernel_smallILi47EdPdEEv13rocblas_fill_17rocblas_diagonal_T1_iil.has_indirect_call, 0
	.section	.AMDGPU.csdata,"",@progbits
; Kernel info:
; codeLenInByte = 27620
; TotalNumSgprs: 64
; NumVgprs: 125
; ScratchSize: 384
; MemoryBound: 0
; FloatMode: 240
; IeeeMode: 1
; LDSByteSize: 760 bytes/workgroup (compile time only)
; SGPRBlocks: 7
; VGPRBlocks: 31
; NumSGPRsForWavesPerEU: 64
; NumVGPRsForWavesPerEU: 125
; Occupancy: 2
; WaveLimiterHint : 0
; COMPUTE_PGM_RSRC2:SCRATCH_EN: 1
; COMPUTE_PGM_RSRC2:USER_SGPR: 6
; COMPUTE_PGM_RSRC2:TRAP_HANDLER: 0
; COMPUTE_PGM_RSRC2:TGID_X_EN: 1
; COMPUTE_PGM_RSRC2:TGID_Y_EN: 0
; COMPUTE_PGM_RSRC2:TGID_Z_EN: 0
; COMPUTE_PGM_RSRC2:TIDIG_COMP_CNT: 0
	.section	.text._ZN9rocsolver6v33100L18trti2_kernel_smallILi48EdPdEEv13rocblas_fill_17rocblas_diagonal_T1_iil,"axG",@progbits,_ZN9rocsolver6v33100L18trti2_kernel_smallILi48EdPdEEv13rocblas_fill_17rocblas_diagonal_T1_iil,comdat
	.globl	_ZN9rocsolver6v33100L18trti2_kernel_smallILi48EdPdEEv13rocblas_fill_17rocblas_diagonal_T1_iil ; -- Begin function _ZN9rocsolver6v33100L18trti2_kernel_smallILi48EdPdEEv13rocblas_fill_17rocblas_diagonal_T1_iil
	.p2align	8
	.type	_ZN9rocsolver6v33100L18trti2_kernel_smallILi48EdPdEEv13rocblas_fill_17rocblas_diagonal_T1_iil,@function
_ZN9rocsolver6v33100L18trti2_kernel_smallILi48EdPdEEv13rocblas_fill_17rocblas_diagonal_T1_iil: ; @_ZN9rocsolver6v33100L18trti2_kernel_smallILi48EdPdEEv13rocblas_fill_17rocblas_diagonal_T1_iil
; %bb.0:
	s_add_u32 s0, s0, s7
	s_addc_u32 s1, s1, 0
	v_cmp_gt_u32_e32 vcc, 48, v0
	s_and_saveexec_b64 s[8:9], vcc
	s_cbranch_execz .LBB47_930
; %bb.1:
	s_load_dwordx8 s[8:15], s[4:5], 0x0
	s_ashr_i32 s7, s6, 31
	v_lshlrev_b32_e32 v99, 3, v0
	s_waitcnt lgkmcnt(0)
	s_ashr_i32 s5, s12, 31
	s_mov_b32 s4, s12
	s_mul_hi_u32 s12, s14, s6
	s_mul_i32 s7, s14, s7
	s_add_i32 s7, s12, s7
	s_mul_i32 s12, s15, s6
	s_add_i32 s7, s7, s12
	s_mul_i32 s6, s14, s6
	s_lshl_b64 s[6:7], s[6:7], 3
	s_add_u32 s6, s10, s6
	s_addc_u32 s7, s11, s7
	s_lshl_b64 s[4:5], s[4:5], 3
	s_add_u32 s4, s6, s4
	s_addc_u32 s5, s7, s5
	s_add_i32 s6, s13, s13
	v_add_u32_e32 v1, s6, v0
	v_ashrrev_i32_e32 v2, 31, v1
	v_lshlrev_b64 v[3:4], 3, v[1:2]
	v_add_u32_e32 v5, s13, v1
	v_mov_b32_e32 v2, s5
	v_add_co_u32_e32 v3, vcc, s4, v3
	v_ashrrev_i32_e32 v6, 31, v5
	v_addc_co_u32_e32 v4, vcc, v2, v4, vcc
	v_lshlrev_b64 v[1:2], 3, v[5:6]
	v_mov_b32_e32 v6, s5
	v_add_co_u32_e32 v1, vcc, s4, v1
	v_add_u32_e32 v5, s13, v5
	v_addc_co_u32_e32 v2, vcc, v6, v2, vcc
	v_ashrrev_i32_e32 v6, 31, v5
	v_lshlrev_b64 v[6:7], 3, v[5:6]
	v_mov_b32_e32 v8, s5
	v_add_co_u32_e32 v9, vcc, s4, v6
	v_addc_co_u32_e32 v10, vcc, v8, v7, vcc
	v_add_u32_e32 v7, s13, v5
	v_ashrrev_i32_e32 v8, 31, v7
	v_lshlrev_b64 v[5:6], 3, v[7:8]
	v_mov_b32_e32 v8, s5
	v_add_co_u32_e32 v5, vcc, s4, v5
	v_add_u32_e32 v7, s13, v7
	v_addc_co_u32_e32 v6, vcc, v8, v6, vcc
	v_ashrrev_i32_e32 v8, 31, v7
	v_lshlrev_b64 v[11:12], 3, v[7:8]
	v_mov_b32_e32 v8, s5
	v_add_co_u32_e32 v13, vcc, s4, v11
	v_add_u32_e32 v11, s13, v7
	v_addc_co_u32_e32 v14, vcc, v8, v12, vcc
	;; [unrolled: 6-line block ×3, first 2 shown]
	v_ashrrev_i32_e32 v12, 31, v11
	v_lshlrev_b64 v[15:16], 3, v[11:12]
	v_add_u32_e32 v17, s13, v11
	v_mov_b32_e32 v12, s5
	v_add_co_u32_e32 v15, vcc, s4, v15
	v_ashrrev_i32_e32 v18, 31, v17
	v_addc_co_u32_e32 v16, vcc, v12, v16, vcc
	v_lshlrev_b64 v[11:12], 3, v[17:18]
	v_add_u32_e32 v19, s13, v17
	v_mov_b32_e32 v18, s5
	v_add_co_u32_e32 v11, vcc, s4, v11
	v_ashrrev_i32_e32 v20, 31, v19
	v_addc_co_u32_e32 v12, vcc, v18, v12, vcc
	v_lshlrev_b64 v[17:18], 3, v[19:20]
	v_mov_b32_e32 v21, s5
	v_add_co_u32_e32 v17, vcc, s4, v17
	v_addc_co_u32_e32 v18, vcc, v21, v18, vcc
	v_add_u32_e32 v21, s13, v19
	v_ashrrev_i32_e32 v22, 31, v21
	v_lshlrev_b64 v[19:20], 3, v[21:22]
	v_add_u32_e32 v21, s13, v21
	v_mov_b32_e32 v23, s5
	v_add_co_u32_e32 v19, vcc, s4, v19
	v_ashrrev_i32_e32 v22, 31, v21
	v_addc_co_u32_e32 v20, vcc, v23, v20, vcc
	v_lshlrev_b64 v[23:24], 3, v[21:22]
	v_add_u32_e32 v21, s13, v21
	v_mov_b32_e32 v25, s5
	v_add_co_u32_e32 v23, vcc, s4, v23
	v_ashrrev_i32_e32 v22, 31, v21
	v_addc_co_u32_e32 v24, vcc, v25, v24, vcc
	;; [unrolled: 6-line block ×4, first 2 shown]
	v_lshlrev_b64 v[25:26], 3, v[21:22]
	v_add_u32_e32 v21, s13, v21
	v_add_co_u32_e32 v35, vcc, s4, v25
	v_ashrrev_i32_e32 v22, 31, v21
	v_addc_co_u32_e32 v36, vcc, v29, v26, vcc
	v_lshlrev_b64 v[25:26], 3, v[21:22]
	v_mov_b32_e32 v33, s5
	v_add_co_u32_e32 v39, vcc, s4, v25
	v_add_u32_e32 v25, s13, v21
	v_addc_co_u32_e32 v40, vcc, v29, v26, vcc
	v_ashrrev_i32_e32 v26, 31, v25
	v_lshlrev_b64 v[21:22], 3, v[25:26]
	v_mov_b32_e32 v37, s5
	v_add_co_u32_e32 v21, vcc, s4, v21
	v_addc_co_u32_e32 v22, vcc, v29, v22, vcc
	v_add_u32_e32 v29, s13, v25
	v_ashrrev_i32_e32 v30, 31, v29
	v_lshlrev_b64 v[25:26], 3, v[29:30]
	v_mov_b32_e32 v41, s5
	v_add_co_u32_e32 v25, vcc, s4, v25
	v_addc_co_u32_e32 v26, vcc, v33, v26, vcc
	v_add_u32_e32 v33, s13, v29
	;; [unrolled: 6-line block ×20, first 2 shown]
	v_ashrrev_i32_e32 v74, 31, v73
	v_lshlrev_b64 v[71:72], 3, v[73:74]
	s_ashr_i32 s7, s13, 31
	v_add_co_u32_e32 v71, vcc, s4, v71
	v_addc_co_u32_e32 v72, vcc, v75, v72, vcc
	v_add_u32_e32 v75, s13, v73
	v_ashrrev_i32_e32 v76, 31, v75
	v_lshlrev_b64 v[73:74], 3, v[75:76]
	s_mov_b32 s6, s13
	v_add_co_u32_e32 v73, vcc, s4, v73
	v_addc_co_u32_e32 v74, vcc, v77, v74, vcc
	v_add_u32_e32 v77, s13, v75
	v_ashrrev_i32_e32 v78, 31, v77
	v_lshlrev_b64 v[75:76], 3, v[77:78]
	v_mov_b32_e32 v78, s5
	v_add_co_u32_e32 v95, vcc, s4, v99
	v_addc_co_u32_e32 v96, vcc, 0, v78, vcc
	s_lshl_b64 s[6:7], s[6:7], 3
	global_load_dwordx2 v[97:98], v99, s[4:5]
	global_load_dwordx2 v[102:103], v[3:4], off
	global_load_dwordx2 v[108:109], v[5:6], off
	global_load_dwordx2 v[104:105], v[1:2], off
	v_mov_b32_e32 v78, s7
	v_add_co_u32_e32 v93, vcc, s6, v95
	v_addc_co_u32_e32 v94, vcc, v96, v78, vcc
	global_load_dwordx2 v[100:101], v[93:94], off
	global_load_dwordx2 v[114:115], v[15:16], off
	global_load_dwordx2 v[118:119], v[17:18], off
	global_load_dwordx2 v[106:107], v[9:10], off
	global_load_dwordx2 v[110:111], v[13:14], off
	global_load_dwordx2 v[116:117], v[11:12], off
	global_load_dwordx2 v[112:113], v[7:8], off
	v_mov_b32_e32 v79, s5
	v_add_co_u32_e32 v75, vcc, s4, v75
	v_addc_co_u32_e32 v76, vcc, v79, v76, vcc
	v_add_u32_e32 v79, s13, v77
	v_ashrrev_i32_e32 v80, 31, v79
	v_lshlrev_b64 v[77:78], 3, v[79:80]
	v_mov_b32_e32 v81, s5
	v_add_co_u32_e32 v77, vcc, s4, v77
	v_addc_co_u32_e32 v78, vcc, v81, v78, vcc
	v_add_u32_e32 v81, s13, v79
	v_ashrrev_i32_e32 v82, 31, v81
	v_lshlrev_b64 v[79:80], 3, v[81:82]
	;; [unrolled: 6-line block ×7, first 2 shown]
	v_add_u32_e32 v91, s13, v91
	v_ashrrev_i32_e32 v92, 31, v91
	v_mov_b32_e32 v120, s5
	v_add_co_u32_e32 v89, vcc, s4, v89
	v_lshlrev_b64 v[91:92], 3, v[91:92]
	v_addc_co_u32_e32 v90, vcc, v120, v90, vcc
	v_add_co_u32_e32 v91, vcc, s4, v91
	v_addc_co_u32_e32 v92, vcc, v120, v92, vcc
	global_load_dwordx2 v[120:121], v[91:92], off
	s_waitcnt vmcnt(11)
	buffer_store_dword v98, off, s[0:3], 0 offset:4
	buffer_store_dword v97, off, s[0:3], 0
	s_waitcnt vmcnt(9)
	buffer_store_dword v101, off, s[0:3], 0 offset:12
	global_load_dwordx2 v[97:98], v[19:20], off
	global_load_dwordx2 v[122:123], v[27:28], off
	s_cmpk_lg_i32 s9, 0x84
	buffer_store_dword v100, off, s[0:3], 0 offset:8
	global_load_dwordx2 v[100:101], v[23:24], off
	s_cselect_b64 s[10:11], -1, 0
	buffer_store_dword v103, off, s[0:3], 0 offset:20
	buffer_store_dword v102, off, s[0:3], 0 offset:16
	global_load_dwordx2 v[102:103], v[31:32], off
	s_nop 0
	buffer_store_dword v105, off, s[0:3], 0 offset:28
	buffer_store_dword v104, off, s[0:3], 0 offset:24
	global_load_dwordx2 v[104:105], v[35:36], off
	s_waitcnt vmcnt(17)
	buffer_store_dword v107, off, s[0:3], 0 offset:36
	buffer_store_dword v106, off, s[0:3], 0 offset:32
	global_load_dwordx2 v[106:107], v[39:40], off
	s_nop 0
	buffer_store_dword v109, off, s[0:3], 0 offset:44
	buffer_store_dword v108, off, s[0:3], 0 offset:40
	global_load_dwordx2 v[108:109], v[21:22], off
	s_waitcnt vmcnt(22)
	buffer_store_dword v111, off, s[0:3], 0 offset:52
	buffer_store_dword v110, off, s[0:3], 0 offset:48
	global_load_dwordx2 v[110:111], v[25:26], off
	s_waitcnt vmcnt(23)
	buffer_store_dword v113, off, s[0:3], 0 offset:60
	buffer_store_dword v112, off, s[0:3], 0 offset:56
	global_load_dwordx2 v[112:113], v[29:30], off
	s_nop 0
	buffer_store_dword v115, off, s[0:3], 0 offset:68
	buffer_store_dword v114, off, s[0:3], 0 offset:64
	global_load_dwordx2 v[114:115], v[33:34], off
	s_nop 0
	;; [unrolled: 4-line block ×3, first 2 shown]
	buffer_store_dword v118, off, s[0:3], 0 offset:80
	buffer_store_dword v119, off, s[0:3], 0 offset:84
	global_load_dwordx2 v[118:119], v[41:42], off
	s_waitcnt vmcnt(30)
	buffer_store_dword v97, off, s[0:3], 0 offset:88
	buffer_store_dword v98, off, s[0:3], 0 offset:92
	s_waitcnt vmcnt(29)
	buffer_store_dword v100, off, s[0:3], 0 offset:96
	buffer_store_dword v101, off, s[0:3], 0 offset:100
	;; [unrolled: 1-line block ×4, first 2 shown]
	s_waitcnt vmcnt(30)
	buffer_store_dword v103, off, s[0:3], 0 offset:116
	buffer_store_dword v102, off, s[0:3], 0 offset:112
	global_load_dwordx2 v[97:98], v[43:44], off
	global_load_dwordx2 v[100:101], v[45:46], off
	s_nop 0
	global_load_dwordx2 v[102:103], v[47:48], off
	global_load_dwordx2 v[122:123], v[53:54], off
	s_cmpk_eq_i32 s9, 0x84
	s_waitcnt vmcnt(33)
	buffer_store_dword v104, off, s[0:3], 0 offset:120
	buffer_store_dword v105, off, s[0:3], 0 offset:124
	global_load_dwordx2 v[104:105], v[49:50], off
	s_waitcnt vmcnt(33)
	buffer_store_dword v106, off, s[0:3], 0 offset:128
	buffer_store_dword v107, off, s[0:3], 0 offset:132
	global_load_dwordx2 v[106:107], v[51:52], off
	;; [unrolled: 4-line block ×8, first 2 shown]
	s_waitcnt vmcnt(27)
	buffer_store_dword v97, off, s[0:3], 0 offset:184
	buffer_store_dword v98, off, s[0:3], 0 offset:188
	s_waitcnt vmcnt(28)
	buffer_store_dword v100, off, s[0:3], 0 offset:192
	buffer_store_dword v101, off, s[0:3], 0 offset:196
	;; [unrolled: 3-line block ×5, first 2 shown]
	buffer_store_dword v122, off, s[0:3], 0 offset:224
	buffer_store_dword v123, off, s[0:3], 0 offset:228
	s_waitcnt vmcnt(27)
	buffer_store_dword v108, off, s[0:3], 0 offset:232
	global_load_dwordx2 v[97:98], v[67:68], off
	global_load_dwordx2 v[100:101], v[69:70], off
	;; [unrolled: 1-line block ×6, first 2 shown]
	s_nop 0
	buffer_store_dword v109, off, s[0:3], 0 offset:236
	global_load_dwordx2 v[108:109], v[77:78], off
	s_waitcnt vmcnt(33)
	buffer_store_dword v110, off, s[0:3], 0 offset:240
	buffer_store_dword v111, off, s[0:3], 0 offset:244
	global_load_dwordx2 v[110:111], v[79:80], off
	s_waitcnt vmcnt(33)
	buffer_store_dword v113, off, s[0:3], 0 offset:252
	;; [unrolled: 4-line block ×6, first 2 shown]
	buffer_store_dword v98, off, s[0:3], 0 offset:284
	s_waitcnt vmcnt(23)
	buffer_store_dword v100, off, s[0:3], 0 offset:288
	buffer_store_dword v101, off, s[0:3], 0 offset:292
	s_waitcnt vmcnt(24)
	buffer_store_dword v103, off, s[0:3], 0 offset:300
	;; [unrolled: 3-line block ×9, first 2 shown]
	buffer_store_dword v116, off, s[0:3], 0 offset:352
	buffer_store_dword v122, off, s[0:3], 0 offset:360
	;; [unrolled: 1-line block ×3, first 2 shown]
	s_waitcnt vmcnt(22)
	buffer_store_dword v118, off, s[0:3], 0 offset:368
	buffer_store_dword v119, off, s[0:3], 0 offset:372
	buffer_store_dword v120, off, s[0:3], 0 offset:376
	v_mov_b32_e32 v97, 0
	v_mov_b32_e32 v98, 0xbff00000
	buffer_store_dword v121, off, s[0:3], 0 offset:380
	s_cbranch_scc1 .LBB47_3
; %bb.2:
	v_mov_b32_e32 v97, 0
	v_lshl_add_u32 v108, v0, 3, v97
	buffer_load_dword v97, v108, s[0:3], 0 offen
	buffer_load_dword v98, v108, s[0:3], 0 offen offset:4
	s_waitcnt vmcnt(0)
	v_div_scale_f64 v[100:101], s[4:5], v[97:98], v[97:98], 1.0
	v_rcp_f64_e32 v[102:103], v[100:101]
	v_fma_f64 v[104:105], -v[100:101], v[102:103], 1.0
	v_fma_f64 v[102:103], v[102:103], v[104:105], v[102:103]
	v_div_scale_f64 v[104:105], vcc, 1.0, v[97:98], 1.0
	v_fma_f64 v[106:107], -v[100:101], v[102:103], 1.0
	v_fma_f64 v[102:103], v[102:103], v[106:107], v[102:103]
	v_mul_f64 v[106:107], v[104:105], v[102:103]
	v_fma_f64 v[100:101], -v[100:101], v[106:107], v[104:105]
	v_div_fmas_f64 v[100:101], v[100:101], v[102:103], v[106:107]
	v_div_fixup_f64 v[97:98], v[100:101], v[97:98], 1.0
	buffer_store_dword v97, v108, s[0:3], 0 offen
	buffer_store_dword v98, v108, s[0:3], 0 offen offset:4
	v_xor_b32_e32 v98, 0x80000000, v98
.LBB47_3:
	s_cmpk_eq_i32 s8, 0x79
	v_add_u32_e32 v100, 0x180, v99
	v_mov_b32_e32 v101, v99
	s_mov_b64 s[4:5], -1
	ds_write_b64 v99, v[97:98]
	s_cbranch_scc1 .LBB47_467
; %bb.4:
	buffer_load_dword v97, off, s[0:3], 0 offset:368
	buffer_load_dword v98, off, s[0:3], 0 offset:372
	s_movk_i32 s12, 0x48
	s_movk_i32 s13, 0x50
	;; [unrolled: 1-line block ×37, first 2 shown]
	v_cmp_eq_u32_e64 s[4:5], 47, v0
	s_waitcnt vmcnt(0)
	ds_write_b64 v100, v[97:98]
	s_waitcnt lgkmcnt(0)
	; wave barrier
	s_and_saveexec_b64 s[6:7], s[4:5]
	s_cbranch_execz .LBB47_10
; %bb.5:
	s_and_b64 vcc, exec, s[10:11]
	s_cbranch_vccz .LBB47_7
; %bb.6:
	buffer_load_dword v97, v101, s[0:3], 0 offen
	buffer_load_dword v98, v101, s[0:3], 0 offen offset:4
	ds_read_b64 v[102:103], v100
	s_waitcnt vmcnt(0) lgkmcnt(0)
	v_mul_f64 v[97:98], v[97:98], v[102:103]
	s_cbranch_execz .LBB47_8
	s_branch .LBB47_9
.LBB47_7:
                                        ; implicit-def: $vgpr97_vgpr98
.LBB47_8:
	ds_read_b64 v[97:98], v100
.LBB47_9:
	v_mov_b32_e32 v102, 0
	ds_read_b64 v[102:103], v102 offset:368
	s_waitcnt lgkmcnt(0)
	v_mul_f64 v[97:98], v[97:98], v[102:103]
	buffer_store_dword v98, off, s[0:3], 0 offset:372
	buffer_store_dword v97, off, s[0:3], 0 offset:368
.LBB47_10:
	s_or_b64 exec, exec, s[6:7]
	buffer_load_dword v97, off, s[0:3], 0 offset:360
	buffer_load_dword v98, off, s[0:3], 0 offset:364
	s_or_b32 s14, 0, 8
	s_mov_b32 s15, 16
	s_mov_b32 s16, 24
	;; [unrolled: 1-line block ×9, first 2 shown]
	v_cmp_lt_u32_e64 s[6:7], 45, v0
	s_waitcnt vmcnt(0)
	ds_write_b64 v100, v[97:98]
	s_waitcnt lgkmcnt(0)
	; wave barrier
	s_and_saveexec_b64 s[8:9], s[6:7]
	s_cbranch_execz .LBB47_16
; %bb.11:
	s_andn2_b64 vcc, exec, s[10:11]
	s_cbranch_vccnz .LBB47_13
; %bb.12:
	buffer_load_dword v97, v101, s[0:3], 0 offen
	buffer_load_dword v98, v101, s[0:3], 0 offen offset:4
	ds_read_b64 v[102:103], v100
	s_waitcnt vmcnt(0) lgkmcnt(0)
	v_mul_f64 v[97:98], v[97:98], v[102:103]
	s_cbranch_execz .LBB47_14
	s_branch .LBB47_15
.LBB47_13:
                                        ; implicit-def: $vgpr97_vgpr98
.LBB47_14:
	ds_read_b64 v[97:98], v100
.LBB47_15:
	buffer_load_dword v106, off, s[0:3], 0 offset:368
	buffer_load_dword v107, off, s[0:3], 0 offset:372
	v_mov_b32_e32 v102, 0
	ds_read2_b64 v[102:105], v102 offset0:45 offset1:94
	s_waitcnt vmcnt(0) lgkmcnt(0)
	v_fma_f64 v[104:105], v[106:107], v[104:105], v[97:98]
	v_cndmask_b32_e64 v98, v98, v105, s[4:5]
	v_cndmask_b32_e64 v97, v97, v104, s[4:5]
	v_mul_f64 v[97:98], v[97:98], v[102:103]
	buffer_store_dword v98, off, s[0:3], 0 offset:364
	buffer_store_dword v97, off, s[0:3], 0 offset:360
.LBB47_16:
	s_or_b64 exec, exec, s[8:9]
	buffer_load_dword v97, off, s[0:3], 0 offset:352
	buffer_load_dword v98, off, s[0:3], 0 offset:356
	v_cmp_lt_u32_e64 s[4:5], 44, v0
	s_waitcnt vmcnt(0)
	ds_write_b64 v100, v[97:98]
	s_waitcnt lgkmcnt(0)
	; wave barrier
	s_and_saveexec_b64 s[8:9], s[4:5]
	s_cbranch_execz .LBB47_26
; %bb.17:
	s_andn2_b64 vcc, exec, s[10:11]
	s_cbranch_vccnz .LBB47_19
; %bb.18:
	buffer_load_dword v97, v101, s[0:3], 0 offen
	buffer_load_dword v98, v101, s[0:3], 0 offen offset:4
	ds_read_b64 v[102:103], v100
	s_waitcnt vmcnt(0) lgkmcnt(0)
	v_mul_f64 v[97:98], v[97:98], v[102:103]
	s_cbranch_execz .LBB47_20
	s_branch .LBB47_21
.LBB47_19:
                                        ; implicit-def: $vgpr97_vgpr98
.LBB47_20:
	ds_read_b64 v[97:98], v100
.LBB47_21:
	s_and_saveexec_b64 s[12:13], s[6:7]
	s_cbranch_execz .LBB47_25
; %bb.22:
	v_subrev_u32_e32 v102, 45, v0
	s_movk_i32 s60, 0x2e8
	s_mov_b64 s[6:7], 0
.LBB47_23:                              ; =>This Inner Loop Header: Depth=1
	v_mov_b32_e32 v104, s59
	buffer_load_dword v103, v104, s[0:3], 0 offen
	s_nop 0
	buffer_load_dword v104, v104, s[0:3], 0 offen offset:4
	v_mov_b32_e32 v105, s60
	ds_read_b64 v[105:106], v105
	v_add_u32_e32 v102, -1, v102
	s_add_i32 s60, s60, 8
	s_add_i32 s59, s59, 8
	v_cmp_eq_u32_e32 vcc, 0, v102
	s_or_b64 s[6:7], vcc, s[6:7]
	s_waitcnt vmcnt(0) lgkmcnt(0)
	v_fma_f64 v[97:98], v[103:104], v[105:106], v[97:98]
	s_andn2_b64 exec, exec, s[6:7]
	s_cbranch_execnz .LBB47_23
; %bb.24:
	s_or_b64 exec, exec, s[6:7]
.LBB47_25:
	s_or_b64 exec, exec, s[12:13]
	v_mov_b32_e32 v102, 0
	ds_read_b64 v[102:103], v102 offset:352
	s_waitcnt lgkmcnt(0)
	v_mul_f64 v[97:98], v[97:98], v[102:103]
	buffer_store_dword v98, off, s[0:3], 0 offset:356
	buffer_store_dword v97, off, s[0:3], 0 offset:352
.LBB47_26:
	s_or_b64 exec, exec, s[8:9]
	buffer_load_dword v97, off, s[0:3], 0 offset:344
	buffer_load_dword v98, off, s[0:3], 0 offset:348
	v_cmp_lt_u32_e64 s[6:7], 43, v0
	s_waitcnt vmcnt(0)
	ds_write_b64 v100, v[97:98]
	s_waitcnt lgkmcnt(0)
	; wave barrier
	s_and_saveexec_b64 s[8:9], s[6:7]
	s_cbranch_execz .LBB47_36
; %bb.27:
	s_andn2_b64 vcc, exec, s[10:11]
	s_cbranch_vccnz .LBB47_29
; %bb.28:
	buffer_load_dword v97, v101, s[0:3], 0 offen
	buffer_load_dword v98, v101, s[0:3], 0 offen offset:4
	ds_read_b64 v[102:103], v100
	s_waitcnt vmcnt(0) lgkmcnt(0)
	v_mul_f64 v[97:98], v[97:98], v[102:103]
	s_cbranch_execz .LBB47_30
	s_branch .LBB47_31
.LBB47_29:
                                        ; implicit-def: $vgpr97_vgpr98
.LBB47_30:
	ds_read_b64 v[97:98], v100
.LBB47_31:
	s_and_saveexec_b64 s[12:13], s[4:5]
	s_cbranch_execz .LBB47_35
; %bb.32:
	v_subrev_u32_e32 v102, 44, v0
	s_movk_i32 s59, 0x2e0
	s_mov_b64 s[4:5], 0
.LBB47_33:                              ; =>This Inner Loop Header: Depth=1
	v_mov_b32_e32 v104, s58
	buffer_load_dword v103, v104, s[0:3], 0 offen
	s_nop 0
	buffer_load_dword v104, v104, s[0:3], 0 offen offset:4
	v_mov_b32_e32 v105, s59
	ds_read_b64 v[105:106], v105
	v_add_u32_e32 v102, -1, v102
	s_add_i32 s59, s59, 8
	s_add_i32 s58, s58, 8
	v_cmp_eq_u32_e32 vcc, 0, v102
	s_or_b64 s[4:5], vcc, s[4:5]
	s_waitcnt vmcnt(0) lgkmcnt(0)
	v_fma_f64 v[97:98], v[103:104], v[105:106], v[97:98]
	s_andn2_b64 exec, exec, s[4:5]
	s_cbranch_execnz .LBB47_33
; %bb.34:
	s_or_b64 exec, exec, s[4:5]
.LBB47_35:
	s_or_b64 exec, exec, s[12:13]
	v_mov_b32_e32 v102, 0
	ds_read_b64 v[102:103], v102 offset:344
	s_waitcnt lgkmcnt(0)
	v_mul_f64 v[97:98], v[97:98], v[102:103]
	buffer_store_dword v98, off, s[0:3], 0 offset:348
	buffer_store_dword v97, off, s[0:3], 0 offset:344
.LBB47_36:
	s_or_b64 exec, exec, s[8:9]
	buffer_load_dword v97, off, s[0:3], 0 offset:336
	buffer_load_dword v98, off, s[0:3], 0 offset:340
	v_cmp_lt_u32_e64 s[4:5], 42, v0
	s_waitcnt vmcnt(0)
	ds_write_b64 v100, v[97:98]
	s_waitcnt lgkmcnt(0)
	; wave barrier
	s_and_saveexec_b64 s[8:9], s[4:5]
	s_cbranch_execz .LBB47_46
; %bb.37:
	s_andn2_b64 vcc, exec, s[10:11]
	s_cbranch_vccnz .LBB47_39
; %bb.38:
	buffer_load_dword v97, v101, s[0:3], 0 offen
	buffer_load_dword v98, v101, s[0:3], 0 offen offset:4
	ds_read_b64 v[102:103], v100
	s_waitcnt vmcnt(0) lgkmcnt(0)
	v_mul_f64 v[97:98], v[97:98], v[102:103]
	s_cbranch_execz .LBB47_40
	s_branch .LBB47_41
.LBB47_39:
                                        ; implicit-def: $vgpr97_vgpr98
.LBB47_40:
	ds_read_b64 v[97:98], v100
.LBB47_41:
	s_and_saveexec_b64 s[12:13], s[6:7]
	s_cbranch_execz .LBB47_45
; %bb.42:
	v_subrev_u32_e32 v102, 43, v0
	s_movk_i32 s58, 0x2d8
	s_mov_b64 s[6:7], 0
.LBB47_43:                              ; =>This Inner Loop Header: Depth=1
	v_mov_b32_e32 v104, s57
	buffer_load_dword v103, v104, s[0:3], 0 offen
	s_nop 0
	buffer_load_dword v104, v104, s[0:3], 0 offen offset:4
	v_mov_b32_e32 v105, s58
	ds_read_b64 v[105:106], v105
	v_add_u32_e32 v102, -1, v102
	s_add_i32 s58, s58, 8
	s_add_i32 s57, s57, 8
	v_cmp_eq_u32_e32 vcc, 0, v102
	s_or_b64 s[6:7], vcc, s[6:7]
	s_waitcnt vmcnt(0) lgkmcnt(0)
	v_fma_f64 v[97:98], v[103:104], v[105:106], v[97:98]
	s_andn2_b64 exec, exec, s[6:7]
	s_cbranch_execnz .LBB47_43
; %bb.44:
	s_or_b64 exec, exec, s[6:7]
.LBB47_45:
	s_or_b64 exec, exec, s[12:13]
	v_mov_b32_e32 v102, 0
	ds_read_b64 v[102:103], v102 offset:336
	s_waitcnt lgkmcnt(0)
	v_mul_f64 v[97:98], v[97:98], v[102:103]
	buffer_store_dword v98, off, s[0:3], 0 offset:340
	buffer_store_dword v97, off, s[0:3], 0 offset:336
.LBB47_46:
	s_or_b64 exec, exec, s[8:9]
	buffer_load_dword v97, off, s[0:3], 0 offset:328
	buffer_load_dword v98, off, s[0:3], 0 offset:332
	v_cmp_lt_u32_e64 s[6:7], 41, v0
	s_waitcnt vmcnt(0)
	ds_write_b64 v100, v[97:98]
	s_waitcnt lgkmcnt(0)
	; wave barrier
	s_and_saveexec_b64 s[8:9], s[6:7]
	s_cbranch_execz .LBB47_56
; %bb.47:
	s_andn2_b64 vcc, exec, s[10:11]
	s_cbranch_vccnz .LBB47_49
; %bb.48:
	buffer_load_dword v97, v101, s[0:3], 0 offen
	buffer_load_dword v98, v101, s[0:3], 0 offen offset:4
	ds_read_b64 v[102:103], v100
	s_waitcnt vmcnt(0) lgkmcnt(0)
	v_mul_f64 v[97:98], v[97:98], v[102:103]
	s_cbranch_execz .LBB47_50
	s_branch .LBB47_51
.LBB47_49:
                                        ; implicit-def: $vgpr97_vgpr98
.LBB47_50:
	ds_read_b64 v[97:98], v100
.LBB47_51:
	s_and_saveexec_b64 s[12:13], s[4:5]
	s_cbranch_execz .LBB47_55
; %bb.52:
	v_subrev_u32_e32 v102, 42, v0
	s_movk_i32 s57, 0x2d0
	s_mov_b64 s[4:5], 0
.LBB47_53:                              ; =>This Inner Loop Header: Depth=1
	v_mov_b32_e32 v104, s56
	buffer_load_dword v103, v104, s[0:3], 0 offen
	s_nop 0
	buffer_load_dword v104, v104, s[0:3], 0 offen offset:4
	v_mov_b32_e32 v105, s57
	ds_read_b64 v[105:106], v105
	v_add_u32_e32 v102, -1, v102
	s_add_i32 s57, s57, 8
	s_add_i32 s56, s56, 8
	v_cmp_eq_u32_e32 vcc, 0, v102
	s_or_b64 s[4:5], vcc, s[4:5]
	s_waitcnt vmcnt(0) lgkmcnt(0)
	v_fma_f64 v[97:98], v[103:104], v[105:106], v[97:98]
	s_andn2_b64 exec, exec, s[4:5]
	s_cbranch_execnz .LBB47_53
; %bb.54:
	s_or_b64 exec, exec, s[4:5]
.LBB47_55:
	s_or_b64 exec, exec, s[12:13]
	v_mov_b32_e32 v102, 0
	ds_read_b64 v[102:103], v102 offset:328
	s_waitcnt lgkmcnt(0)
	v_mul_f64 v[97:98], v[97:98], v[102:103]
	buffer_store_dword v98, off, s[0:3], 0 offset:332
	buffer_store_dword v97, off, s[0:3], 0 offset:328
.LBB47_56:
	s_or_b64 exec, exec, s[8:9]
	buffer_load_dword v97, off, s[0:3], 0 offset:320
	buffer_load_dword v98, off, s[0:3], 0 offset:324
	v_cmp_lt_u32_e64 s[4:5], 40, v0
	s_waitcnt vmcnt(0)
	ds_write_b64 v100, v[97:98]
	s_waitcnt lgkmcnt(0)
	; wave barrier
	s_and_saveexec_b64 s[8:9], s[4:5]
	s_cbranch_execz .LBB47_66
; %bb.57:
	s_andn2_b64 vcc, exec, s[10:11]
	s_cbranch_vccnz .LBB47_59
; %bb.58:
	buffer_load_dword v97, v101, s[0:3], 0 offen
	buffer_load_dword v98, v101, s[0:3], 0 offen offset:4
	ds_read_b64 v[102:103], v100
	s_waitcnt vmcnt(0) lgkmcnt(0)
	v_mul_f64 v[97:98], v[97:98], v[102:103]
	s_cbranch_execz .LBB47_60
	s_branch .LBB47_61
.LBB47_59:
                                        ; implicit-def: $vgpr97_vgpr98
.LBB47_60:
	ds_read_b64 v[97:98], v100
.LBB47_61:
	s_and_saveexec_b64 s[12:13], s[6:7]
	s_cbranch_execz .LBB47_65
; %bb.62:
	v_subrev_u32_e32 v102, 41, v0
	s_movk_i32 s56, 0x2c8
	s_mov_b64 s[6:7], 0
.LBB47_63:                              ; =>This Inner Loop Header: Depth=1
	v_mov_b32_e32 v104, s55
	buffer_load_dword v103, v104, s[0:3], 0 offen
	s_nop 0
	buffer_load_dword v104, v104, s[0:3], 0 offen offset:4
	v_mov_b32_e32 v105, s56
	ds_read_b64 v[105:106], v105
	v_add_u32_e32 v102, -1, v102
	s_add_i32 s56, s56, 8
	s_add_i32 s55, s55, 8
	v_cmp_eq_u32_e32 vcc, 0, v102
	s_or_b64 s[6:7], vcc, s[6:7]
	s_waitcnt vmcnt(0) lgkmcnt(0)
	v_fma_f64 v[97:98], v[103:104], v[105:106], v[97:98]
	s_andn2_b64 exec, exec, s[6:7]
	s_cbranch_execnz .LBB47_63
; %bb.64:
	s_or_b64 exec, exec, s[6:7]
.LBB47_65:
	s_or_b64 exec, exec, s[12:13]
	v_mov_b32_e32 v102, 0
	ds_read_b64 v[102:103], v102 offset:320
	s_waitcnt lgkmcnt(0)
	v_mul_f64 v[97:98], v[97:98], v[102:103]
	buffer_store_dword v98, off, s[0:3], 0 offset:324
	buffer_store_dword v97, off, s[0:3], 0 offset:320
.LBB47_66:
	s_or_b64 exec, exec, s[8:9]
	buffer_load_dword v97, off, s[0:3], 0 offset:312
	buffer_load_dword v98, off, s[0:3], 0 offset:316
	v_cmp_lt_u32_e64 s[6:7], 39, v0
	s_waitcnt vmcnt(0)
	ds_write_b64 v100, v[97:98]
	s_waitcnt lgkmcnt(0)
	; wave barrier
	s_and_saveexec_b64 s[8:9], s[6:7]
	s_cbranch_execz .LBB47_76
; %bb.67:
	s_andn2_b64 vcc, exec, s[10:11]
	s_cbranch_vccnz .LBB47_69
; %bb.68:
	buffer_load_dword v97, v101, s[0:3], 0 offen
	buffer_load_dword v98, v101, s[0:3], 0 offen offset:4
	ds_read_b64 v[102:103], v100
	s_waitcnt vmcnt(0) lgkmcnt(0)
	v_mul_f64 v[97:98], v[97:98], v[102:103]
	s_cbranch_execz .LBB47_70
	s_branch .LBB47_71
.LBB47_69:
                                        ; implicit-def: $vgpr97_vgpr98
.LBB47_70:
	ds_read_b64 v[97:98], v100
.LBB47_71:
	s_and_saveexec_b64 s[12:13], s[4:5]
	s_cbranch_execz .LBB47_75
; %bb.72:
	v_subrev_u32_e32 v102, 40, v0
	s_movk_i32 s55, 0x2c0
	s_mov_b64 s[4:5], 0
.LBB47_73:                              ; =>This Inner Loop Header: Depth=1
	v_mov_b32_e32 v104, s54
	buffer_load_dword v103, v104, s[0:3], 0 offen
	s_nop 0
	buffer_load_dword v104, v104, s[0:3], 0 offen offset:4
	v_mov_b32_e32 v105, s55
	ds_read_b64 v[105:106], v105
	v_add_u32_e32 v102, -1, v102
	s_add_i32 s55, s55, 8
	s_add_i32 s54, s54, 8
	v_cmp_eq_u32_e32 vcc, 0, v102
	s_or_b64 s[4:5], vcc, s[4:5]
	s_waitcnt vmcnt(0) lgkmcnt(0)
	v_fma_f64 v[97:98], v[103:104], v[105:106], v[97:98]
	s_andn2_b64 exec, exec, s[4:5]
	s_cbranch_execnz .LBB47_73
; %bb.74:
	s_or_b64 exec, exec, s[4:5]
.LBB47_75:
	s_or_b64 exec, exec, s[12:13]
	v_mov_b32_e32 v102, 0
	ds_read_b64 v[102:103], v102 offset:312
	s_waitcnt lgkmcnt(0)
	v_mul_f64 v[97:98], v[97:98], v[102:103]
	buffer_store_dword v98, off, s[0:3], 0 offset:316
	buffer_store_dword v97, off, s[0:3], 0 offset:312
.LBB47_76:
	s_or_b64 exec, exec, s[8:9]
	buffer_load_dword v97, off, s[0:3], 0 offset:304
	buffer_load_dword v98, off, s[0:3], 0 offset:308
	v_cmp_lt_u32_e64 s[4:5], 38, v0
	s_waitcnt vmcnt(0)
	ds_write_b64 v100, v[97:98]
	s_waitcnt lgkmcnt(0)
	; wave barrier
	s_and_saveexec_b64 s[8:9], s[4:5]
	s_cbranch_execz .LBB47_86
; %bb.77:
	s_andn2_b64 vcc, exec, s[10:11]
	s_cbranch_vccnz .LBB47_79
; %bb.78:
	buffer_load_dword v97, v101, s[0:3], 0 offen
	buffer_load_dword v98, v101, s[0:3], 0 offen offset:4
	ds_read_b64 v[102:103], v100
	s_waitcnt vmcnt(0) lgkmcnt(0)
	v_mul_f64 v[97:98], v[97:98], v[102:103]
	s_cbranch_execz .LBB47_80
	s_branch .LBB47_81
.LBB47_79:
                                        ; implicit-def: $vgpr97_vgpr98
.LBB47_80:
	ds_read_b64 v[97:98], v100
.LBB47_81:
	s_and_saveexec_b64 s[12:13], s[6:7]
	s_cbranch_execz .LBB47_85
; %bb.82:
	v_subrev_u32_e32 v102, 39, v0
	s_movk_i32 s54, 0x2b8
	s_mov_b64 s[6:7], 0
.LBB47_83:                              ; =>This Inner Loop Header: Depth=1
	v_mov_b32_e32 v104, s53
	buffer_load_dword v103, v104, s[0:3], 0 offen
	s_nop 0
	buffer_load_dword v104, v104, s[0:3], 0 offen offset:4
	v_mov_b32_e32 v105, s54
	ds_read_b64 v[105:106], v105
	v_add_u32_e32 v102, -1, v102
	s_add_i32 s54, s54, 8
	s_add_i32 s53, s53, 8
	v_cmp_eq_u32_e32 vcc, 0, v102
	s_or_b64 s[6:7], vcc, s[6:7]
	s_waitcnt vmcnt(0) lgkmcnt(0)
	v_fma_f64 v[97:98], v[103:104], v[105:106], v[97:98]
	s_andn2_b64 exec, exec, s[6:7]
	s_cbranch_execnz .LBB47_83
; %bb.84:
	s_or_b64 exec, exec, s[6:7]
.LBB47_85:
	s_or_b64 exec, exec, s[12:13]
	v_mov_b32_e32 v102, 0
	ds_read_b64 v[102:103], v102 offset:304
	s_waitcnt lgkmcnt(0)
	v_mul_f64 v[97:98], v[97:98], v[102:103]
	buffer_store_dword v98, off, s[0:3], 0 offset:308
	buffer_store_dword v97, off, s[0:3], 0 offset:304
.LBB47_86:
	s_or_b64 exec, exec, s[8:9]
	buffer_load_dword v97, off, s[0:3], 0 offset:296
	buffer_load_dword v98, off, s[0:3], 0 offset:300
	v_cmp_lt_u32_e64 s[6:7], 37, v0
	s_waitcnt vmcnt(0)
	ds_write_b64 v100, v[97:98]
	s_waitcnt lgkmcnt(0)
	; wave barrier
	s_and_saveexec_b64 s[8:9], s[6:7]
	s_cbranch_execz .LBB47_96
; %bb.87:
	s_andn2_b64 vcc, exec, s[10:11]
	s_cbranch_vccnz .LBB47_89
; %bb.88:
	buffer_load_dword v97, v101, s[0:3], 0 offen
	buffer_load_dword v98, v101, s[0:3], 0 offen offset:4
	ds_read_b64 v[102:103], v100
	s_waitcnt vmcnt(0) lgkmcnt(0)
	v_mul_f64 v[97:98], v[97:98], v[102:103]
	s_cbranch_execz .LBB47_90
	s_branch .LBB47_91
.LBB47_89:
                                        ; implicit-def: $vgpr97_vgpr98
.LBB47_90:
	ds_read_b64 v[97:98], v100
.LBB47_91:
	s_and_saveexec_b64 s[12:13], s[4:5]
	s_cbranch_execz .LBB47_95
; %bb.92:
	v_subrev_u32_e32 v102, 38, v0
	s_movk_i32 s53, 0x2b0
	s_mov_b64 s[4:5], 0
.LBB47_93:                              ; =>This Inner Loop Header: Depth=1
	v_mov_b32_e32 v104, s52
	buffer_load_dword v103, v104, s[0:3], 0 offen
	s_nop 0
	buffer_load_dword v104, v104, s[0:3], 0 offen offset:4
	v_mov_b32_e32 v105, s53
	ds_read_b64 v[105:106], v105
	v_add_u32_e32 v102, -1, v102
	s_add_i32 s53, s53, 8
	s_add_i32 s52, s52, 8
	v_cmp_eq_u32_e32 vcc, 0, v102
	s_or_b64 s[4:5], vcc, s[4:5]
	s_waitcnt vmcnt(0) lgkmcnt(0)
	v_fma_f64 v[97:98], v[103:104], v[105:106], v[97:98]
	s_andn2_b64 exec, exec, s[4:5]
	s_cbranch_execnz .LBB47_93
; %bb.94:
	s_or_b64 exec, exec, s[4:5]
.LBB47_95:
	s_or_b64 exec, exec, s[12:13]
	v_mov_b32_e32 v102, 0
	ds_read_b64 v[102:103], v102 offset:296
	s_waitcnt lgkmcnt(0)
	v_mul_f64 v[97:98], v[97:98], v[102:103]
	buffer_store_dword v98, off, s[0:3], 0 offset:300
	buffer_store_dword v97, off, s[0:3], 0 offset:296
.LBB47_96:
	s_or_b64 exec, exec, s[8:9]
	buffer_load_dword v97, off, s[0:3], 0 offset:288
	buffer_load_dword v98, off, s[0:3], 0 offset:292
	v_cmp_lt_u32_e64 s[8:9], 36, v0
	s_waitcnt vmcnt(0)
	ds_write_b64 v100, v[97:98]
	s_waitcnt lgkmcnt(0)
	; wave barrier
	s_and_saveexec_b64 s[4:5], s[8:9]
	s_cbranch_execz .LBB47_106
; %bb.97:
	s_andn2_b64 vcc, exec, s[10:11]
	s_cbranch_vccnz .LBB47_99
; %bb.98:
	buffer_load_dword v97, v101, s[0:3], 0 offen
	buffer_load_dword v98, v101, s[0:3], 0 offen offset:4
	ds_read_b64 v[102:103], v100
	s_waitcnt vmcnt(0) lgkmcnt(0)
	v_mul_f64 v[97:98], v[97:98], v[102:103]
	s_cbranch_execz .LBB47_100
	s_branch .LBB47_101
.LBB47_99:
                                        ; implicit-def: $vgpr97_vgpr98
.LBB47_100:
	ds_read_b64 v[97:98], v100
.LBB47_101:
	s_and_saveexec_b64 s[12:13], s[6:7]
	s_cbranch_execz .LBB47_105
; %bb.102:
	v_subrev_u32_e32 v102, 37, v0
	s_movk_i32 s52, 0x2a8
	s_mov_b64 s[6:7], 0
.LBB47_103:                             ; =>This Inner Loop Header: Depth=1
	v_mov_b32_e32 v104, s51
	buffer_load_dword v103, v104, s[0:3], 0 offen
	s_nop 0
	buffer_load_dword v104, v104, s[0:3], 0 offen offset:4
	v_mov_b32_e32 v105, s52
	ds_read_b64 v[105:106], v105
	v_add_u32_e32 v102, -1, v102
	s_add_i32 s52, s52, 8
	s_add_i32 s51, s51, 8
	v_cmp_eq_u32_e32 vcc, 0, v102
	s_or_b64 s[6:7], vcc, s[6:7]
	s_waitcnt vmcnt(0) lgkmcnt(0)
	v_fma_f64 v[97:98], v[103:104], v[105:106], v[97:98]
	s_andn2_b64 exec, exec, s[6:7]
	s_cbranch_execnz .LBB47_103
; %bb.104:
	s_or_b64 exec, exec, s[6:7]
.LBB47_105:
	s_or_b64 exec, exec, s[12:13]
	v_mov_b32_e32 v102, 0
	ds_read_b64 v[102:103], v102 offset:288
	s_waitcnt lgkmcnt(0)
	v_mul_f64 v[97:98], v[97:98], v[102:103]
	buffer_store_dword v98, off, s[0:3], 0 offset:292
	buffer_store_dword v97, off, s[0:3], 0 offset:288
.LBB47_106:
	s_or_b64 exec, exec, s[4:5]
	buffer_load_dword v97, off, s[0:3], 0 offset:280
	buffer_load_dword v98, off, s[0:3], 0 offset:284
	v_cmp_lt_u32_e64 s[4:5], 35, v0
	s_waitcnt vmcnt(0)
	ds_write_b64 v100, v[97:98]
	s_waitcnt lgkmcnt(0)
	; wave barrier
	s_and_saveexec_b64 s[6:7], s[4:5]
	s_cbranch_execz .LBB47_116
; %bb.107:
	s_andn2_b64 vcc, exec, s[10:11]
	s_cbranch_vccnz .LBB47_109
; %bb.108:
	buffer_load_dword v97, v101, s[0:3], 0 offen
	buffer_load_dword v98, v101, s[0:3], 0 offen offset:4
	ds_read_b64 v[102:103], v100
	s_waitcnt vmcnt(0) lgkmcnt(0)
	v_mul_f64 v[97:98], v[97:98], v[102:103]
	s_cbranch_execz .LBB47_110
	s_branch .LBB47_111
.LBB47_109:
                                        ; implicit-def: $vgpr97_vgpr98
.LBB47_110:
	ds_read_b64 v[97:98], v100
.LBB47_111:
	s_and_saveexec_b64 s[12:13], s[8:9]
	s_cbranch_execz .LBB47_115
; %bb.112:
	v_subrev_u32_e32 v102, 36, v0
	s_movk_i32 s51, 0x2a0
	s_mov_b64 s[8:9], 0
.LBB47_113:                             ; =>This Inner Loop Header: Depth=1
	v_mov_b32_e32 v105, s50
	buffer_load_dword v103, v105, s[0:3], 0 offen
	buffer_load_dword v104, v105, s[0:3], 0 offen offset:4
	v_mov_b32_e32 v105, s51
	ds_read_b64 v[105:106], v105
	v_add_u32_e32 v102, -1, v102
	s_add_i32 s51, s51, 8
	s_add_i32 s50, s50, 8
	v_cmp_eq_u32_e32 vcc, 0, v102
	s_or_b64 s[8:9], vcc, s[8:9]
	s_waitcnt vmcnt(0) lgkmcnt(0)
	v_fma_f64 v[97:98], v[103:104], v[105:106], v[97:98]
	s_andn2_b64 exec, exec, s[8:9]
	s_cbranch_execnz .LBB47_113
; %bb.114:
	s_or_b64 exec, exec, s[8:9]
.LBB47_115:
	s_or_b64 exec, exec, s[12:13]
	v_mov_b32_e32 v102, 0
	ds_read_b64 v[102:103], v102 offset:280
	s_waitcnt lgkmcnt(0)
	v_mul_f64 v[97:98], v[97:98], v[102:103]
	buffer_store_dword v98, off, s[0:3], 0 offset:284
	buffer_store_dword v97, off, s[0:3], 0 offset:280
.LBB47_116:
	s_or_b64 exec, exec, s[6:7]
	buffer_load_dword v97, off, s[0:3], 0 offset:272
	buffer_load_dword v98, off, s[0:3], 0 offset:276
	v_cmp_lt_u32_e64 s[6:7], 34, v0
	s_waitcnt vmcnt(0)
	ds_write_b64 v100, v[97:98]
	s_waitcnt lgkmcnt(0)
	; wave barrier
	s_and_saveexec_b64 s[8:9], s[6:7]
	s_cbranch_execz .LBB47_126
; %bb.117:
	s_andn2_b64 vcc, exec, s[10:11]
	s_cbranch_vccnz .LBB47_119
; %bb.118:
	buffer_load_dword v97, v101, s[0:3], 0 offen
	buffer_load_dword v98, v101, s[0:3], 0 offen offset:4
	ds_read_b64 v[102:103], v100
	s_waitcnt vmcnt(0) lgkmcnt(0)
	v_mul_f64 v[97:98], v[97:98], v[102:103]
	s_cbranch_execz .LBB47_120
	s_branch .LBB47_121
.LBB47_119:
                                        ; implicit-def: $vgpr97_vgpr98
.LBB47_120:
	ds_read_b64 v[97:98], v100
.LBB47_121:
	s_and_saveexec_b64 s[12:13], s[4:5]
	s_cbranch_execz .LBB47_125
; %bb.122:
	v_subrev_u32_e32 v102, 35, v0
	s_movk_i32 s50, 0x298
	s_mov_b64 s[4:5], 0
.LBB47_123:                             ; =>This Inner Loop Header: Depth=1
	v_mov_b32_e32 v105, s49
	buffer_load_dword v103, v105, s[0:3], 0 offen
	buffer_load_dword v104, v105, s[0:3], 0 offen offset:4
	v_mov_b32_e32 v105, s50
	ds_read_b64 v[105:106], v105
	v_add_u32_e32 v102, -1, v102
	s_add_i32 s50, s50, 8
	s_add_i32 s49, s49, 8
	v_cmp_eq_u32_e32 vcc, 0, v102
	s_or_b64 s[4:5], vcc, s[4:5]
	s_waitcnt vmcnt(0) lgkmcnt(0)
	v_fma_f64 v[97:98], v[103:104], v[105:106], v[97:98]
	s_andn2_b64 exec, exec, s[4:5]
	s_cbranch_execnz .LBB47_123
; %bb.124:
	s_or_b64 exec, exec, s[4:5]
.LBB47_125:
	s_or_b64 exec, exec, s[12:13]
	v_mov_b32_e32 v102, 0
	ds_read_b64 v[102:103], v102 offset:272
	s_waitcnt lgkmcnt(0)
	v_mul_f64 v[97:98], v[97:98], v[102:103]
	buffer_store_dword v98, off, s[0:3], 0 offset:276
	buffer_store_dword v97, off, s[0:3], 0 offset:272
.LBB47_126:
	;; [unrolled: 58-line block ×20, first 2 shown]
	s_or_b64 exec, exec, s[8:9]
	buffer_load_dword v97, off, s[0:3], 0 offset:120
	buffer_load_dword v98, off, s[0:3], 0 offset:124
	v_cmp_lt_u32_e64 s[4:5], 15, v0
	s_waitcnt vmcnt(0)
	ds_write_b64 v100, v[97:98]
	s_waitcnt lgkmcnt(0)
	; wave barrier
	s_and_saveexec_b64 s[8:9], s[4:5]
	s_cbranch_execz .LBB47_316
; %bb.307:
	s_andn2_b64 vcc, exec, s[10:11]
	s_cbranch_vccnz .LBB47_309
; %bb.308:
	buffer_load_dword v97, v101, s[0:3], 0 offen
	buffer_load_dword v98, v101, s[0:3], 0 offen offset:4
	ds_read_b64 v[102:103], v100
	s_waitcnt vmcnt(0) lgkmcnt(0)
	v_mul_f64 v[97:98], v[97:98], v[102:103]
	s_cbranch_execz .LBB47_310
	s_branch .LBB47_311
.LBB47_309:
                                        ; implicit-def: $vgpr97_vgpr98
.LBB47_310:
	ds_read_b64 v[97:98], v100
.LBB47_311:
	s_and_saveexec_b64 s[12:13], s[6:7]
	s_cbranch_execz .LBB47_315
; %bb.312:
	v_add_u32_e32 v102, -16, v0
	s_movk_i32 s30, 0x200
	s_mov_b64 s[6:7], 0
.LBB47_313:                             ; =>This Inner Loop Header: Depth=1
	v_mov_b32_e32 v105, s29
	buffer_load_dword v103, v105, s[0:3], 0 offen
	buffer_load_dword v104, v105, s[0:3], 0 offen offset:4
	v_mov_b32_e32 v105, s30
	ds_read_b64 v[105:106], v105
	v_add_u32_e32 v102, -1, v102
	s_add_i32 s30, s30, 8
	s_add_i32 s29, s29, 8
	v_cmp_eq_u32_e32 vcc, 0, v102
	s_or_b64 s[6:7], vcc, s[6:7]
	s_waitcnt vmcnt(0) lgkmcnt(0)
	v_fma_f64 v[97:98], v[103:104], v[105:106], v[97:98]
	s_andn2_b64 exec, exec, s[6:7]
	s_cbranch_execnz .LBB47_313
; %bb.314:
	s_or_b64 exec, exec, s[6:7]
.LBB47_315:
	s_or_b64 exec, exec, s[12:13]
	v_mov_b32_e32 v102, 0
	ds_read_b64 v[102:103], v102 offset:120
	s_waitcnt lgkmcnt(0)
	v_mul_f64 v[97:98], v[97:98], v[102:103]
	buffer_store_dword v98, off, s[0:3], 0 offset:124
	buffer_store_dword v97, off, s[0:3], 0 offset:120
.LBB47_316:
	s_or_b64 exec, exec, s[8:9]
	buffer_load_dword v97, off, s[0:3], 0 offset:112
	buffer_load_dword v98, off, s[0:3], 0 offset:116
	v_cmp_lt_u32_e64 s[6:7], 14, v0
	s_waitcnt vmcnt(0)
	ds_write_b64 v100, v[97:98]
	s_waitcnt lgkmcnt(0)
	; wave barrier
	s_and_saveexec_b64 s[8:9], s[6:7]
	s_cbranch_execz .LBB47_326
; %bb.317:
	s_andn2_b64 vcc, exec, s[10:11]
	s_cbranch_vccnz .LBB47_319
; %bb.318:
	buffer_load_dword v97, v101, s[0:3], 0 offen
	buffer_load_dword v98, v101, s[0:3], 0 offen offset:4
	ds_read_b64 v[102:103], v100
	s_waitcnt vmcnt(0) lgkmcnt(0)
	v_mul_f64 v[97:98], v[97:98], v[102:103]
	s_cbranch_execz .LBB47_320
	s_branch .LBB47_321
.LBB47_319:
                                        ; implicit-def: $vgpr97_vgpr98
.LBB47_320:
	ds_read_b64 v[97:98], v100
.LBB47_321:
	s_and_saveexec_b64 s[12:13], s[4:5]
	s_cbranch_execz .LBB47_325
; %bb.322:
	v_add_u32_e32 v102, -15, v0
	s_movk_i32 s29, 0x1f8
	s_mov_b64 s[4:5], 0
.LBB47_323:                             ; =>This Inner Loop Header: Depth=1
	v_mov_b32_e32 v105, s28
	buffer_load_dword v103, v105, s[0:3], 0 offen
	buffer_load_dword v104, v105, s[0:3], 0 offen offset:4
	v_mov_b32_e32 v105, s29
	ds_read_b64 v[105:106], v105
	v_add_u32_e32 v102, -1, v102
	s_add_i32 s29, s29, 8
	s_add_i32 s28, s28, 8
	v_cmp_eq_u32_e32 vcc, 0, v102
	s_or_b64 s[4:5], vcc, s[4:5]
	s_waitcnt vmcnt(0) lgkmcnt(0)
	v_fma_f64 v[97:98], v[103:104], v[105:106], v[97:98]
	s_andn2_b64 exec, exec, s[4:5]
	s_cbranch_execnz .LBB47_323
; %bb.324:
	s_or_b64 exec, exec, s[4:5]
.LBB47_325:
	s_or_b64 exec, exec, s[12:13]
	v_mov_b32_e32 v102, 0
	ds_read_b64 v[102:103], v102 offset:112
	s_waitcnt lgkmcnt(0)
	v_mul_f64 v[97:98], v[97:98], v[102:103]
	buffer_store_dword v98, off, s[0:3], 0 offset:116
	buffer_store_dword v97, off, s[0:3], 0 offset:112
.LBB47_326:
	;; [unrolled: 58-line block ×15, first 2 shown]
	s_or_b64 exec, exec, s[8:9]
	buffer_load_dword v97, off, s[0:3], 0
	buffer_load_dword v98, off, s[0:3], 0 offset:4
	v_cmp_ne_u32_e32 vcc, 0, v0
	s_waitcnt vmcnt(0)
	ds_write_b64 v100, v[97:98]
	s_waitcnt lgkmcnt(0)
	; wave barrier
	s_and_saveexec_b64 s[6:7], vcc
	s_cbranch_execz .LBB47_466
; %bb.457:
	s_andn2_b64 vcc, exec, s[10:11]
	s_cbranch_vccnz .LBB47_459
; %bb.458:
	buffer_load_dword v97, v101, s[0:3], 0 offen
	buffer_load_dword v98, v101, s[0:3], 0 offen offset:4
	ds_read_b64 v[102:103], v100
	s_waitcnt vmcnt(0) lgkmcnt(0)
	v_mul_f64 v[97:98], v[97:98], v[102:103]
	s_cbranch_execz .LBB47_460
	s_branch .LBB47_461
.LBB47_459:
                                        ; implicit-def: $vgpr97_vgpr98
.LBB47_460:
	ds_read_b64 v[97:98], v100
.LBB47_461:
	s_and_saveexec_b64 s[8:9], s[4:5]
	s_cbranch_execz .LBB47_465
; %bb.462:
	v_add_u32_e32 v102, -1, v0
	s_movk_i32 s12, 0x188
	s_mov_b64 s[4:5], 0
.LBB47_463:                             ; =>This Inner Loop Header: Depth=1
	v_mov_b32_e32 v105, s14
	buffer_load_dword v103, v105, s[0:3], 0 offen
	buffer_load_dword v104, v105, s[0:3], 0 offen offset:4
	v_mov_b32_e32 v105, s12
	ds_read_b64 v[105:106], v105
	v_add_u32_e32 v102, -1, v102
	s_add_i32 s12, s12, 8
	s_add_i32 s14, s14, 8
	v_cmp_eq_u32_e32 vcc, 0, v102
	s_or_b64 s[4:5], vcc, s[4:5]
	s_waitcnt vmcnt(0) lgkmcnt(0)
	v_fma_f64 v[97:98], v[103:104], v[105:106], v[97:98]
	s_andn2_b64 exec, exec, s[4:5]
	s_cbranch_execnz .LBB47_463
; %bb.464:
	s_or_b64 exec, exec, s[4:5]
.LBB47_465:
	s_or_b64 exec, exec, s[8:9]
	v_mov_b32_e32 v102, 0
	ds_read_b64 v[102:103], v102
	s_waitcnt lgkmcnt(0)
	v_mul_f64 v[97:98], v[97:98], v[102:103]
	buffer_store_dword v98, off, s[0:3], 0 offset:4
	buffer_store_dword v97, off, s[0:3], 0
.LBB47_466:
	s_or_b64 exec, exec, s[6:7]
	s_mov_b64 s[4:5], 0
.LBB47_467:
	s_and_b64 vcc, exec, s[4:5]
	s_cbranch_vccz .LBB47_929
; %bb.468:
	buffer_load_dword v97, off, s[0:3], 0 offset:8
	buffer_load_dword v98, off, s[0:3], 0 offset:12
	v_cmp_eq_u32_e64 s[6:7], 0, v0
	s_waitcnt vmcnt(0)
	ds_write_b64 v100, v[97:98]
	s_waitcnt lgkmcnt(0)
	; wave barrier
	s_and_saveexec_b64 s[4:5], s[6:7]
	s_cbranch_execz .LBB47_474
; %bb.469:
	s_and_b64 vcc, exec, s[10:11]
	s_cbranch_vccz .LBB47_471
; %bb.470:
	buffer_load_dword v97, v101, s[0:3], 0 offen
	buffer_load_dword v98, v101, s[0:3], 0 offen offset:4
	ds_read_b64 v[102:103], v100
	s_waitcnt vmcnt(0) lgkmcnt(0)
	v_mul_f64 v[97:98], v[97:98], v[102:103]
	s_cbranch_execz .LBB47_472
	s_branch .LBB47_473
.LBB47_471:
                                        ; implicit-def: $vgpr97_vgpr98
.LBB47_472:
	ds_read_b64 v[97:98], v100
.LBB47_473:
	v_mov_b32_e32 v102, 0
	ds_read_b64 v[102:103], v102 offset:8
	s_waitcnt lgkmcnt(0)
	v_mul_f64 v[97:98], v[97:98], v[102:103]
	buffer_store_dword v98, off, s[0:3], 0 offset:12
	buffer_store_dword v97, off, s[0:3], 0 offset:8
.LBB47_474:
	s_or_b64 exec, exec, s[4:5]
	buffer_load_dword v97, off, s[0:3], 0 offset:16
	buffer_load_dword v98, off, s[0:3], 0 offset:20
	v_cndmask_b32_e64 v102, 0, 1, s[10:11]
	v_cmp_gt_u32_e32 vcc, 2, v0
	v_cmp_ne_u32_e64 s[4:5], 1, v102
	s_waitcnt vmcnt(0)
	ds_write_b64 v100, v[97:98]
	s_waitcnt lgkmcnt(0)
	; wave barrier
	s_and_saveexec_b64 s[8:9], vcc
	s_cbranch_execz .LBB47_480
; %bb.475:
	s_and_b64 vcc, exec, s[4:5]
	s_cbranch_vccnz .LBB47_477
; %bb.476:
	buffer_load_dword v97, v101, s[0:3], 0 offen
	buffer_load_dword v98, v101, s[0:3], 0 offen offset:4
	ds_read_b64 v[102:103], v100
	s_waitcnt vmcnt(0) lgkmcnt(0)
	v_mul_f64 v[97:98], v[97:98], v[102:103]
	s_cbranch_execz .LBB47_478
	s_branch .LBB47_479
.LBB47_477:
                                        ; implicit-def: $vgpr97_vgpr98
.LBB47_478:
	ds_read_b64 v[97:98], v100
.LBB47_479:
	buffer_load_dword v106, off, s[0:3], 0 offset:8
	buffer_load_dword v107, off, s[0:3], 0 offset:12
	v_mov_b32_e32 v102, 0
	ds_read2_b64 v[102:105], v102 offset0:2 offset1:49
	s_waitcnt vmcnt(0) lgkmcnt(0)
	v_fma_f64 v[104:105], v[106:107], v[104:105], v[97:98]
	v_cndmask_b32_e64 v98, v98, v105, s[6:7]
	v_cndmask_b32_e64 v97, v97, v104, s[6:7]
	v_mul_f64 v[97:98], v[97:98], v[102:103]
	buffer_store_dword v98, off, s[0:3], 0 offset:20
	buffer_store_dword v97, off, s[0:3], 0 offset:16
.LBB47_480:
	s_or_b64 exec, exec, s[8:9]
	buffer_load_dword v97, off, s[0:3], 0 offset:24
	buffer_load_dword v98, off, s[0:3], 0 offset:28
	v_cmp_gt_u32_e32 vcc, 3, v0
	s_waitcnt vmcnt(0)
	ds_write_b64 v100, v[97:98]
	s_waitcnt lgkmcnt(0)
	; wave barrier
	s_and_saveexec_b64 s[8:9], vcc
	s_cbranch_execz .LBB47_488
; %bb.481:
	s_and_b64 vcc, exec, s[4:5]
	s_cbranch_vccnz .LBB47_483
; %bb.482:
	buffer_load_dword v97, v101, s[0:3], 0 offen
	buffer_load_dword v98, v101, s[0:3], 0 offen offset:4
	ds_read_b64 v[102:103], v100
	s_waitcnt vmcnt(0) lgkmcnt(0)
	v_mul_f64 v[97:98], v[97:98], v[102:103]
	s_cbranch_execz .LBB47_484
	s_branch .LBB47_485
.LBB47_483:
                                        ; implicit-def: $vgpr97_vgpr98
.LBB47_484:
	ds_read_b64 v[97:98], v100
.LBB47_485:
	v_cmp_ne_u32_e32 vcc, 2, v0
	s_and_saveexec_b64 s[10:11], vcc
	s_cbranch_execz .LBB47_487
; %bb.486:
	buffer_load_dword v102, v101, s[0:3], 0 offen offset:8
	buffer_load_dword v103, v101, s[0:3], 0 offen offset:12
	buffer_load_dword v104, off, s[0:3], 0 offset:16
	buffer_load_dword v105, off, s[0:3], 0 offset:20
	ds_read_b64 v[106:107], v100 offset:8
	v_mov_b32_e32 v108, 0
	ds_read_b64 v[108:109], v108 offset:400
	s_waitcnt vmcnt(2) lgkmcnt(1)
	v_fma_f64 v[97:98], v[102:103], v[106:107], v[97:98]
	s_waitcnt vmcnt(0) lgkmcnt(0)
	v_fma_f64 v[102:103], v[104:105], v[108:109], v[97:98]
	v_cndmask_b32_e64 v98, v98, v103, s[6:7]
	v_cndmask_b32_e64 v97, v97, v102, s[6:7]
.LBB47_487:
	s_or_b64 exec, exec, s[10:11]
	v_mov_b32_e32 v102, 0
	ds_read_b64 v[102:103], v102 offset:24
	s_waitcnt lgkmcnt(0)
	v_mul_f64 v[97:98], v[97:98], v[102:103]
	buffer_store_dword v98, off, s[0:3], 0 offset:28
	buffer_store_dword v97, off, s[0:3], 0 offset:24
.LBB47_488:
	s_or_b64 exec, exec, s[8:9]
	buffer_load_dword v97, off, s[0:3], 0 offset:32
	buffer_load_dword v98, off, s[0:3], 0 offset:36
	v_cmp_gt_u32_e32 vcc, 4, v0
	s_waitcnt vmcnt(0)
	ds_write_b64 v100, v[97:98]
	s_waitcnt lgkmcnt(0)
	; wave barrier
	s_and_saveexec_b64 s[6:7], vcc
	s_cbranch_execz .LBB47_498
; %bb.489:
	s_and_b64 vcc, exec, s[4:5]
	s_cbranch_vccnz .LBB47_491
; %bb.490:
	buffer_load_dword v97, v101, s[0:3], 0 offen
	buffer_load_dword v98, v101, s[0:3], 0 offen offset:4
	ds_read_b64 v[102:103], v100
	s_waitcnt vmcnt(0) lgkmcnt(0)
	v_mul_f64 v[97:98], v[97:98], v[102:103]
	s_cbranch_execz .LBB47_492
	s_branch .LBB47_493
.LBB47_491:
                                        ; implicit-def: $vgpr97_vgpr98
.LBB47_492:
	ds_read_b64 v[97:98], v100
.LBB47_493:
	v_cmp_ne_u32_e32 vcc, 3, v0
	s_and_saveexec_b64 s[8:9], vcc
	s_cbranch_execz .LBB47_497
; %bb.494:
	s_mov_b32 s10, 0
	v_add_u32_e32 v102, 0x188, v99
	v_add3_u32 v103, v99, s10, 8
	s_mov_b64 s[10:11], 0
	v_mov_b32_e32 v104, v0
.LBB47_495:                             ; =>This Inner Loop Header: Depth=1
	buffer_load_dword v105, v103, s[0:3], 0 offen
	buffer_load_dword v106, v103, s[0:3], 0 offen offset:4
	ds_read_b64 v[107:108], v102
	v_add_u32_e32 v104, 1, v104
	v_cmp_lt_u32_e32 vcc, 2, v104
	v_add_u32_e32 v102, 8, v102
	s_or_b64 s[10:11], vcc, s[10:11]
	v_add_u32_e32 v103, 8, v103
	s_waitcnt vmcnt(0) lgkmcnt(0)
	v_fma_f64 v[97:98], v[105:106], v[107:108], v[97:98]
	s_andn2_b64 exec, exec, s[10:11]
	s_cbranch_execnz .LBB47_495
; %bb.496:
	s_or_b64 exec, exec, s[10:11]
.LBB47_497:
	s_or_b64 exec, exec, s[8:9]
	v_mov_b32_e32 v102, 0
	ds_read_b64 v[102:103], v102 offset:32
	s_waitcnt lgkmcnt(0)
	v_mul_f64 v[97:98], v[97:98], v[102:103]
	buffer_store_dword v98, off, s[0:3], 0 offset:36
	buffer_store_dword v97, off, s[0:3], 0 offset:32
.LBB47_498:
	s_or_b64 exec, exec, s[6:7]
	buffer_load_dword v97, off, s[0:3], 0 offset:40
	buffer_load_dword v98, off, s[0:3], 0 offset:44
	v_cmp_gt_u32_e32 vcc, 5, v0
	s_waitcnt vmcnt(0)
	ds_write_b64 v100, v[97:98]
	s_waitcnt lgkmcnt(0)
	; wave barrier
	s_and_saveexec_b64 s[6:7], vcc
	s_cbranch_execz .LBB47_508
; %bb.499:
	s_and_b64 vcc, exec, s[4:5]
	s_cbranch_vccnz .LBB47_501
; %bb.500:
	buffer_load_dword v97, v101, s[0:3], 0 offen
	buffer_load_dword v98, v101, s[0:3], 0 offen offset:4
	ds_read_b64 v[102:103], v100
	s_waitcnt vmcnt(0) lgkmcnt(0)
	v_mul_f64 v[97:98], v[97:98], v[102:103]
	s_cbranch_execz .LBB47_502
	s_branch .LBB47_503
.LBB47_501:
                                        ; implicit-def: $vgpr97_vgpr98
.LBB47_502:
	ds_read_b64 v[97:98], v100
.LBB47_503:
	v_cmp_ne_u32_e32 vcc, 4, v0
	s_and_saveexec_b64 s[8:9], vcc
	s_cbranch_execz .LBB47_507
; %bb.504:
	s_mov_b32 s10, 0
	v_add_u32_e32 v102, 0x188, v99
	v_add3_u32 v103, v99, s10, 8
	s_mov_b64 s[10:11], 0
	v_mov_b32_e32 v104, v0
.LBB47_505:                             ; =>This Inner Loop Header: Depth=1
	buffer_load_dword v105, v103, s[0:3], 0 offen
	buffer_load_dword v106, v103, s[0:3], 0 offen offset:4
	ds_read_b64 v[107:108], v102
	v_add_u32_e32 v104, 1, v104
	v_cmp_lt_u32_e32 vcc, 3, v104
	v_add_u32_e32 v102, 8, v102
	s_or_b64 s[10:11], vcc, s[10:11]
	v_add_u32_e32 v103, 8, v103
	s_waitcnt vmcnt(0) lgkmcnt(0)
	v_fma_f64 v[97:98], v[105:106], v[107:108], v[97:98]
	s_andn2_b64 exec, exec, s[10:11]
	s_cbranch_execnz .LBB47_505
; %bb.506:
	s_or_b64 exec, exec, s[10:11]
.LBB47_507:
	s_or_b64 exec, exec, s[8:9]
	v_mov_b32_e32 v102, 0
	ds_read_b64 v[102:103], v102 offset:40
	s_waitcnt lgkmcnt(0)
	v_mul_f64 v[97:98], v[97:98], v[102:103]
	buffer_store_dword v98, off, s[0:3], 0 offset:44
	buffer_store_dword v97, off, s[0:3], 0 offset:40
.LBB47_508:
	;; [unrolled: 59-line block ×42, first 2 shown]
	s_or_b64 exec, exec, s[6:7]
	buffer_load_dword v97, off, s[0:3], 0 offset:368
	buffer_load_dword v98, off, s[0:3], 0 offset:372
	v_cmp_gt_u32_e64 s[6:7], 46, v0
	s_waitcnt vmcnt(0)
	ds_write_b64 v100, v[97:98]
	s_waitcnt lgkmcnt(0)
	; wave barrier
	s_and_saveexec_b64 s[8:9], s[6:7]
	s_cbranch_execz .LBB47_918
; %bb.909:
	s_and_b64 vcc, exec, s[4:5]
	s_cbranch_vccnz .LBB47_911
; %bb.910:
	buffer_load_dword v97, v101, s[0:3], 0 offen
	buffer_load_dword v98, v101, s[0:3], 0 offen offset:4
	ds_read_b64 v[102:103], v100
	s_waitcnt vmcnt(0) lgkmcnt(0)
	v_mul_f64 v[97:98], v[97:98], v[102:103]
	s_cbranch_execz .LBB47_912
	s_branch .LBB47_913
.LBB47_911:
                                        ; implicit-def: $vgpr97_vgpr98
.LBB47_912:
	ds_read_b64 v[97:98], v100
.LBB47_913:
	v_cmp_ne_u32_e32 vcc, 45, v0
	s_and_saveexec_b64 s[10:11], vcc
	s_cbranch_execz .LBB47_917
; %bb.914:
	s_mov_b32 s12, 0
	v_add_u32_e32 v102, 0x188, v99
	v_add3_u32 v103, v99, s12, 8
	s_mov_b64 s[12:13], 0
	v_mov_b32_e32 v104, v0
.LBB47_915:                             ; =>This Inner Loop Header: Depth=1
	buffer_load_dword v105, v103, s[0:3], 0 offen
	buffer_load_dword v106, v103, s[0:3], 0 offen offset:4
	ds_read_b64 v[107:108], v102
	v_add_u32_e32 v104, 1, v104
	v_cmp_lt_u32_e32 vcc, 44, v104
	v_add_u32_e32 v102, 8, v102
	s_or_b64 s[12:13], vcc, s[12:13]
	v_add_u32_e32 v103, 8, v103
	s_waitcnt vmcnt(0) lgkmcnt(0)
	v_fma_f64 v[97:98], v[105:106], v[107:108], v[97:98]
	s_andn2_b64 exec, exec, s[12:13]
	s_cbranch_execnz .LBB47_915
; %bb.916:
	s_or_b64 exec, exec, s[12:13]
.LBB47_917:
	s_or_b64 exec, exec, s[10:11]
	v_mov_b32_e32 v102, 0
	ds_read_b64 v[102:103], v102 offset:368
	s_waitcnt lgkmcnt(0)
	v_mul_f64 v[97:98], v[97:98], v[102:103]
	buffer_store_dword v98, off, s[0:3], 0 offset:372
	buffer_store_dword v97, off, s[0:3], 0 offset:368
.LBB47_918:
	s_or_b64 exec, exec, s[8:9]
	buffer_load_dword v97, off, s[0:3], 0 offset:376
	buffer_load_dword v98, off, s[0:3], 0 offset:380
	v_cmp_ne_u32_e32 vcc, 47, v0
	s_waitcnt vmcnt(0)
	ds_write_b64 v100, v[97:98]
	s_waitcnt lgkmcnt(0)
	; wave barrier
	s_and_saveexec_b64 s[8:9], vcc
	s_cbranch_execz .LBB47_928
; %bb.919:
	s_and_b64 vcc, exec, s[4:5]
	s_cbranch_vccnz .LBB47_921
; %bb.920:
	buffer_load_dword v97, v101, s[0:3], 0 offen
	buffer_load_dword v98, v101, s[0:3], 0 offen offset:4
	ds_read_b64 v[101:102], v100
	s_waitcnt vmcnt(0) lgkmcnt(0)
	v_mul_f64 v[97:98], v[97:98], v[101:102]
	s_cbranch_execz .LBB47_922
	s_branch .LBB47_923
.LBB47_921:
                                        ; implicit-def: $vgpr97_vgpr98
.LBB47_922:
	ds_read_b64 v[97:98], v100
.LBB47_923:
	s_and_saveexec_b64 s[4:5], s[6:7]
	s_cbranch_execz .LBB47_927
; %bb.924:
	s_mov_b32 s6, 0
	v_add_u32_e32 v100, 0x188, v99
	v_add3_u32 v99, v99, s6, 8
	s_mov_b64 s[6:7], 0
.LBB47_925:                             ; =>This Inner Loop Header: Depth=1
	buffer_load_dword v101, v99, s[0:3], 0 offen
	buffer_load_dword v102, v99, s[0:3], 0 offen offset:4
	ds_read_b64 v[103:104], v100
	v_add_u32_e32 v0, 1, v0
	v_cmp_lt_u32_e32 vcc, 45, v0
	v_add_u32_e32 v100, 8, v100
	s_or_b64 s[6:7], vcc, s[6:7]
	v_add_u32_e32 v99, 8, v99
	s_waitcnt vmcnt(0) lgkmcnt(0)
	v_fma_f64 v[97:98], v[101:102], v[103:104], v[97:98]
	s_andn2_b64 exec, exec, s[6:7]
	s_cbranch_execnz .LBB47_925
; %bb.926:
	s_or_b64 exec, exec, s[6:7]
.LBB47_927:
	s_or_b64 exec, exec, s[4:5]
	v_mov_b32_e32 v0, 0
	ds_read_b64 v[99:100], v0 offset:376
	s_waitcnt lgkmcnt(0)
	v_mul_f64 v[97:98], v[97:98], v[99:100]
	buffer_store_dword v98, off, s[0:3], 0 offset:380
	buffer_store_dword v97, off, s[0:3], 0 offset:376
.LBB47_928:
	s_or_b64 exec, exec, s[8:9]
.LBB47_929:
	buffer_load_dword v97, off, s[0:3], 0
	buffer_load_dword v98, off, s[0:3], 0 offset:4
	buffer_load_dword v99, off, s[0:3], 0 offset:8
	;; [unrolled: 1-line block ×23, first 2 shown]
	s_waitcnt vmcnt(22)
	global_store_dwordx2 v[95:96], v[97:98], off
	buffer_load_dword v95, off, s[0:3], 0 offset:96
	s_nop 0
	buffer_load_dword v96, off, s[0:3], 0 offset:100
	buffer_load_dword v97, off, s[0:3], 0 offset:104
	;; [unrolled: 1-line block ×7, first 2 shown]
	s_waitcnt vmcnt(29)
	global_store_dwordx2 v[93:94], v[99:100], off
	buffer_load_dword v93, off, s[0:3], 0 offset:128
	s_nop 0
	buffer_load_dword v94, off, s[0:3], 0 offset:132
	s_waitcnt vmcnt(30)
	global_store_dwordx2 v[3:4], v[101:102], off
	buffer_load_dword v3, off, s[0:3], 0 offset:136
	s_nop 0
	buffer_load_dword v4, off, s[0:3], 0 offset:140
	buffer_load_dword v99, off, s[0:3], 0 offset:144
	buffer_load_dword v100, off, s[0:3], 0 offset:148
	buffer_load_dword v101, off, s[0:3], 0 offset:152
	buffer_load_dword v102, off, s[0:3], 0 offset:156
	s_waitcnt vmcnt(35)
	global_store_dwordx2 v[1:2], v[103:104], off
	s_waitcnt vmcnt(34)
	global_store_dwordx2 v[9:10], v[105:106], off
	buffer_load_dword v0, off, s[0:3], 0 offset:160
	buffer_load_dword v1, off, s[0:3], 0 offset:164
	s_nop 0
	buffer_load_dword v9, off, s[0:3], 0 offset:168
	buffer_load_dword v10, off, s[0:3], 0 offset:172
	buffer_load_dword v103, off, s[0:3], 0 offset:176
	buffer_load_dword v104, off, s[0:3], 0 offset:180
	buffer_load_dword v105, off, s[0:3], 0 offset:184
	buffer_load_dword v106, off, s[0:3], 0 offset:188
	s_waitcnt vmcnt(41)
	global_store_dwordx2 v[5:6], v[107:108], off
	s_waitcnt vmcnt(40)
	global_store_dwordx2 v[13:14], v[109:110], off
	buffer_load_dword v5, off, s[0:3], 0 offset:192
	buffer_load_dword v6, off, s[0:3], 0 offset:196
	s_nop 0
	buffer_load_dword v13, off, s[0:3], 0 offset:200
	;; [unrolled: 13-line block ×3, first 2 shown]
	buffer_load_dword v16, off, s[0:3], 0 offset:236
	buffer_load_dword v111, off, s[0:3], 0 offset:240
	;; [unrolled: 1-line block ×5, first 2 shown]
	s_nop 0
	global_store_dwordx2 v[11:12], v[115:116], off
	global_store_dwordx2 v[17:18], v[117:118], off
	;; [unrolled: 1-line block ×3, first 2 shown]
	s_waitcnt vmcnt(49)
	global_store_dwordx2 v[23:24], v[95:96], off
	s_waitcnt vmcnt(48)
	global_store_dwordx2 v[27:28], v[97:98], off
	;; [unrolled: 2-line block ×5, first 2 shown]
	buffer_load_dword v11, off, s[0:3], 0 offset:256
	buffer_load_dword v12, off, s[0:3], 0 offset:260
	;; [unrolled: 1-line block ×32, first 2 shown]
	s_waitcnt vmcnt(62)
	global_store_dwordx2 v[21:22], v[3:4], off
	global_store_dwordx2 v[25:26], v[99:100], off
	;; [unrolled: 1-line block ×6, first 2 shown]
	s_waitcnt vmcnt(62)
	global_store_dwordx2 v[43:44], v[105:106], off
	global_store_dwordx2 v[45:46], v[5:6], off
	s_waitcnt vmcnt(62)
	global_store_dwordx2 v[47:48], v[13:14], off
	s_waitcnt vmcnt(61)
	;; [unrolled: 2-line block ×23, first 2 shown]
	global_store_dwordx2 v[91:92], v[123:124], off
.LBB47_930:
	s_endpgm
	.section	.rodata,"a",@progbits
	.p2align	6, 0x0
	.amdhsa_kernel _ZN9rocsolver6v33100L18trti2_kernel_smallILi48EdPdEEv13rocblas_fill_17rocblas_diagonal_T1_iil
		.amdhsa_group_segment_fixed_size 768
		.amdhsa_private_segment_fixed_size 400
		.amdhsa_kernarg_size 32
		.amdhsa_user_sgpr_count 6
		.amdhsa_user_sgpr_private_segment_buffer 1
		.amdhsa_user_sgpr_dispatch_ptr 0
		.amdhsa_user_sgpr_queue_ptr 0
		.amdhsa_user_sgpr_kernarg_segment_ptr 1
		.amdhsa_user_sgpr_dispatch_id 0
		.amdhsa_user_sgpr_flat_scratch_init 0
		.amdhsa_user_sgpr_private_segment_size 0
		.amdhsa_uses_dynamic_stack 0
		.amdhsa_system_sgpr_private_segment_wavefront_offset 1
		.amdhsa_system_sgpr_workgroup_id_x 1
		.amdhsa_system_sgpr_workgroup_id_y 0
		.amdhsa_system_sgpr_workgroup_id_z 0
		.amdhsa_system_sgpr_workgroup_info 0
		.amdhsa_system_vgpr_workitem_id 0
		.amdhsa_next_free_vgpr 125
		.amdhsa_next_free_sgpr 61
		.amdhsa_reserve_vcc 1
		.amdhsa_reserve_flat_scratch 0
		.amdhsa_float_round_mode_32 0
		.amdhsa_float_round_mode_16_64 0
		.amdhsa_float_denorm_mode_32 3
		.amdhsa_float_denorm_mode_16_64 3
		.amdhsa_dx10_clamp 1
		.amdhsa_ieee_mode 1
		.amdhsa_fp16_overflow 0
		.amdhsa_exception_fp_ieee_invalid_op 0
		.amdhsa_exception_fp_denorm_src 0
		.amdhsa_exception_fp_ieee_div_zero 0
		.amdhsa_exception_fp_ieee_overflow 0
		.amdhsa_exception_fp_ieee_underflow 0
		.amdhsa_exception_fp_ieee_inexact 0
		.amdhsa_exception_int_div_zero 0
	.end_amdhsa_kernel
	.section	.text._ZN9rocsolver6v33100L18trti2_kernel_smallILi48EdPdEEv13rocblas_fill_17rocblas_diagonal_T1_iil,"axG",@progbits,_ZN9rocsolver6v33100L18trti2_kernel_smallILi48EdPdEEv13rocblas_fill_17rocblas_diagonal_T1_iil,comdat
.Lfunc_end47:
	.size	_ZN9rocsolver6v33100L18trti2_kernel_smallILi48EdPdEEv13rocblas_fill_17rocblas_diagonal_T1_iil, .Lfunc_end47-_ZN9rocsolver6v33100L18trti2_kernel_smallILi48EdPdEEv13rocblas_fill_17rocblas_diagonal_T1_iil
                                        ; -- End function
	.set _ZN9rocsolver6v33100L18trti2_kernel_smallILi48EdPdEEv13rocblas_fill_17rocblas_diagonal_T1_iil.num_vgpr, 125
	.set _ZN9rocsolver6v33100L18trti2_kernel_smallILi48EdPdEEv13rocblas_fill_17rocblas_diagonal_T1_iil.num_agpr, 0
	.set _ZN9rocsolver6v33100L18trti2_kernel_smallILi48EdPdEEv13rocblas_fill_17rocblas_diagonal_T1_iil.numbered_sgpr, 61
	.set _ZN9rocsolver6v33100L18trti2_kernel_smallILi48EdPdEEv13rocblas_fill_17rocblas_diagonal_T1_iil.num_named_barrier, 0
	.set _ZN9rocsolver6v33100L18trti2_kernel_smallILi48EdPdEEv13rocblas_fill_17rocblas_diagonal_T1_iil.private_seg_size, 400
	.set _ZN9rocsolver6v33100L18trti2_kernel_smallILi48EdPdEEv13rocblas_fill_17rocblas_diagonal_T1_iil.uses_vcc, 1
	.set _ZN9rocsolver6v33100L18trti2_kernel_smallILi48EdPdEEv13rocblas_fill_17rocblas_diagonal_T1_iil.uses_flat_scratch, 0
	.set _ZN9rocsolver6v33100L18trti2_kernel_smallILi48EdPdEEv13rocblas_fill_17rocblas_diagonal_T1_iil.has_dyn_sized_stack, 0
	.set _ZN9rocsolver6v33100L18trti2_kernel_smallILi48EdPdEEv13rocblas_fill_17rocblas_diagonal_T1_iil.has_recursion, 0
	.set _ZN9rocsolver6v33100L18trti2_kernel_smallILi48EdPdEEv13rocblas_fill_17rocblas_diagonal_T1_iil.has_indirect_call, 0
	.section	.AMDGPU.csdata,"",@progbits
; Kernel info:
; codeLenInByte = 28244
; TotalNumSgprs: 65
; NumVgprs: 125
; ScratchSize: 400
; MemoryBound: 0
; FloatMode: 240
; IeeeMode: 1
; LDSByteSize: 768 bytes/workgroup (compile time only)
; SGPRBlocks: 8
; VGPRBlocks: 31
; NumSGPRsForWavesPerEU: 65
; NumVGPRsForWavesPerEU: 125
; Occupancy: 2
; WaveLimiterHint : 0
; COMPUTE_PGM_RSRC2:SCRATCH_EN: 1
; COMPUTE_PGM_RSRC2:USER_SGPR: 6
; COMPUTE_PGM_RSRC2:TRAP_HANDLER: 0
; COMPUTE_PGM_RSRC2:TGID_X_EN: 1
; COMPUTE_PGM_RSRC2:TGID_Y_EN: 0
; COMPUTE_PGM_RSRC2:TGID_Z_EN: 0
; COMPUTE_PGM_RSRC2:TIDIG_COMP_CNT: 0
	.section	.text._ZN9rocsolver6v33100L18trti2_kernel_smallILi49EdPdEEv13rocblas_fill_17rocblas_diagonal_T1_iil,"axG",@progbits,_ZN9rocsolver6v33100L18trti2_kernel_smallILi49EdPdEEv13rocblas_fill_17rocblas_diagonal_T1_iil,comdat
	.globl	_ZN9rocsolver6v33100L18trti2_kernel_smallILi49EdPdEEv13rocblas_fill_17rocblas_diagonal_T1_iil ; -- Begin function _ZN9rocsolver6v33100L18trti2_kernel_smallILi49EdPdEEv13rocblas_fill_17rocblas_diagonal_T1_iil
	.p2align	8
	.type	_ZN9rocsolver6v33100L18trti2_kernel_smallILi49EdPdEEv13rocblas_fill_17rocblas_diagonal_T1_iil,@function
_ZN9rocsolver6v33100L18trti2_kernel_smallILi49EdPdEEv13rocblas_fill_17rocblas_diagonal_T1_iil: ; @_ZN9rocsolver6v33100L18trti2_kernel_smallILi49EdPdEEv13rocblas_fill_17rocblas_diagonal_T1_iil
; %bb.0:
	s_add_u32 s0, s0, s7
	s_addc_u32 s1, s1, 0
	v_cmp_gt_u32_e32 vcc, 49, v0
	s_and_saveexec_b64 s[8:9], vcc
	s_cbranch_execz .LBB48_950
; %bb.1:
	s_load_dwordx8 s[8:15], s[4:5], 0x0
	s_ashr_i32 s7, s6, 31
	v_lshlrev_b32_e32 v101, 3, v0
	s_waitcnt lgkmcnt(0)
	s_ashr_i32 s5, s12, 31
	s_mov_b32 s4, s12
	s_mul_hi_u32 s12, s14, s6
	s_mul_i32 s7, s14, s7
	s_add_i32 s7, s12, s7
	s_mul_i32 s12, s15, s6
	s_add_i32 s7, s7, s12
	s_mul_i32 s6, s14, s6
	s_lshl_b64 s[6:7], s[6:7], 3
	s_add_u32 s6, s10, s6
	s_addc_u32 s7, s11, s7
	s_lshl_b64 s[4:5], s[4:5], 3
	s_add_u32 s4, s6, s4
	s_addc_u32 s5, s7, s5
	s_add_i32 s6, s13, s13
	v_add_u32_e32 v3, s6, v0
	v_ashrrev_i32_e32 v4, 31, v3
	v_lshlrev_b64 v[1:2], 3, v[3:4]
	v_add_u32_e32 v5, s13, v3
	v_mov_b32_e32 v4, s5
	v_add_co_u32_e32 v1, vcc, s4, v1
	v_ashrrev_i32_e32 v6, 31, v5
	v_addc_co_u32_e32 v2, vcc, v4, v2, vcc
	v_lshlrev_b64 v[3:4], 3, v[5:6]
	v_add_u32_e32 v7, s13, v5
	v_mov_b32_e32 v6, s5
	v_add_co_u32_e32 v3, vcc, s4, v3
	v_ashrrev_i32_e32 v8, 31, v7
	v_addc_co_u32_e32 v4, vcc, v6, v4, vcc
	v_lshlrev_b64 v[5:6], 3, v[7:8]
	v_mov_b32_e32 v8, s5
	v_add_co_u32_e32 v5, vcc, s4, v5
	v_add_u32_e32 v7, s13, v7
	v_addc_co_u32_e32 v6, vcc, v8, v6, vcc
	v_ashrrev_i32_e32 v8, 31, v7
	v_lshlrev_b64 v[8:9], 3, v[7:8]
	v_mov_b32_e32 v10, s5
	v_add_co_u32_e32 v11, vcc, s4, v8
	v_addc_co_u32_e32 v12, vcc, v10, v9, vcc
	v_add_u32_e32 v9, s13, v7
	v_ashrrev_i32_e32 v10, 31, v9
	v_lshlrev_b64 v[7:8], 3, v[9:10]
	v_mov_b32_e32 v10, s5
	v_add_co_u32_e32 v7, vcc, s4, v7
	v_add_u32_e32 v9, s13, v9
	v_addc_co_u32_e32 v8, vcc, v10, v8, vcc
	v_ashrrev_i32_e32 v10, 31, v9
	v_lshlrev_b64 v[13:14], 3, v[9:10]
	v_add_u32_e32 v15, s13, v9
	v_mov_b32_e32 v10, s5
	v_add_co_u32_e32 v13, vcc, s4, v13
	v_ashrrev_i32_e32 v16, 31, v15
	v_addc_co_u32_e32 v14, vcc, v10, v14, vcc
	v_lshlrev_b64 v[9:10], 3, v[15:16]
	v_add_u32_e32 v17, s13, v15
	v_mov_b32_e32 v16, s5
	v_add_co_u32_e32 v9, vcc, s4, v9
	v_ashrrev_i32_e32 v18, 31, v17
	v_addc_co_u32_e32 v10, vcc, v16, v10, vcc
	;; [unrolled: 6-line block ×7, first 2 shown]
	v_lshlrev_b64 v[23:24], 3, v[19:20]
	v_add_u32_e32 v19, s13, v19
	v_add_co_u32_e32 v33, vcc, s4, v23
	v_ashrrev_i32_e32 v20, 31, v19
	v_addc_co_u32_e32 v34, vcc, v27, v24, vcc
	v_lshlrev_b64 v[23:24], 3, v[19:20]
	v_add_u32_e32 v19, s13, v19
	v_add_co_u32_e32 v37, vcc, s4, v23
	v_ashrrev_i32_e32 v20, 31, v19
	v_addc_co_u32_e32 v38, vcc, v27, v24, vcc
	;; [unrolled: 5-line block ×3, first 2 shown]
	v_lshlrev_b64 v[23:24], 3, v[19:20]
	v_mov_b32_e32 v31, s5
	v_add_co_u32_e32 v45, vcc, s4, v23
	v_add_u32_e32 v23, s13, v19
	v_addc_co_u32_e32 v46, vcc, v27, v24, vcc
	v_ashrrev_i32_e32 v24, 31, v23
	v_lshlrev_b64 v[19:20], 3, v[23:24]
	v_mov_b32_e32 v35, s5
	v_add_co_u32_e32 v19, vcc, s4, v19
	v_addc_co_u32_e32 v20, vcc, v27, v20, vcc
	v_add_u32_e32 v27, s13, v23
	v_ashrrev_i32_e32 v28, 31, v27
	v_lshlrev_b64 v[23:24], 3, v[27:28]
	v_mov_b32_e32 v39, s5
	v_add_co_u32_e32 v23, vcc, s4, v23
	v_addc_co_u32_e32 v24, vcc, v31, v24, vcc
	v_add_u32_e32 v31, s13, v27
	v_ashrrev_i32_e32 v32, 31, v31
	v_lshlrev_b64 v[27:28], 3, v[31:32]
	v_mov_b32_e32 v43, s5
	v_add_co_u32_e32 v27, vcc, s4, v27
	v_addc_co_u32_e32 v28, vcc, v35, v28, vcc
	v_add_u32_e32 v35, s13, v31
	v_ashrrev_i32_e32 v36, 31, v35
	v_lshlrev_b64 v[31:32], 3, v[35:36]
	v_mov_b32_e32 v47, s5
	v_add_co_u32_e32 v31, vcc, s4, v31
	v_addc_co_u32_e32 v32, vcc, v39, v32, vcc
	v_add_u32_e32 v39, s13, v35
	v_ashrrev_i32_e32 v40, 31, v39
	v_lshlrev_b64 v[35:36], 3, v[39:40]
	v_mov_b32_e32 v49, s5
	v_add_co_u32_e32 v35, vcc, s4, v35
	v_addc_co_u32_e32 v36, vcc, v43, v36, vcc
	v_add_u32_e32 v43, s13, v39
	v_ashrrev_i32_e32 v44, 31, v43
	v_lshlrev_b64 v[39:40], 3, v[43:44]
	v_mov_b32_e32 v51, s5
	v_add_co_u32_e32 v39, vcc, s4, v39
	v_addc_co_u32_e32 v40, vcc, v47, v40, vcc
	v_add_u32_e32 v47, s13, v43
	v_ashrrev_i32_e32 v48, 31, v47
	v_lshlrev_b64 v[43:44], 3, v[47:48]
	v_mov_b32_e32 v53, s5
	v_add_co_u32_e32 v43, vcc, s4, v43
	v_addc_co_u32_e32 v44, vcc, v49, v44, vcc
	v_add_u32_e32 v49, s13, v47
	v_ashrrev_i32_e32 v50, 31, v49
	v_lshlrev_b64 v[47:48], 3, v[49:50]
	v_mov_b32_e32 v55, s5
	v_add_co_u32_e32 v47, vcc, s4, v47
	v_addc_co_u32_e32 v48, vcc, v51, v48, vcc
	v_add_u32_e32 v51, s13, v49
	v_ashrrev_i32_e32 v52, 31, v51
	v_lshlrev_b64 v[49:50], 3, v[51:52]
	v_mov_b32_e32 v57, s5
	v_add_co_u32_e32 v49, vcc, s4, v49
	v_addc_co_u32_e32 v50, vcc, v53, v50, vcc
	v_add_u32_e32 v53, s13, v51
	v_ashrrev_i32_e32 v54, 31, v53
	v_lshlrev_b64 v[51:52], 3, v[53:54]
	v_mov_b32_e32 v59, s5
	v_add_co_u32_e32 v51, vcc, s4, v51
	v_addc_co_u32_e32 v52, vcc, v55, v52, vcc
	v_add_u32_e32 v55, s13, v53
	v_ashrrev_i32_e32 v56, 31, v55
	v_lshlrev_b64 v[53:54], 3, v[55:56]
	v_mov_b32_e32 v61, s5
	v_add_co_u32_e32 v53, vcc, s4, v53
	v_addc_co_u32_e32 v54, vcc, v57, v54, vcc
	v_add_u32_e32 v57, s13, v55
	v_ashrrev_i32_e32 v58, 31, v57
	v_lshlrev_b64 v[55:56], 3, v[57:58]
	v_mov_b32_e32 v63, s5
	v_add_co_u32_e32 v55, vcc, s4, v55
	v_addc_co_u32_e32 v56, vcc, v59, v56, vcc
	v_add_u32_e32 v59, s13, v57
	v_ashrrev_i32_e32 v60, 31, v59
	v_lshlrev_b64 v[57:58], 3, v[59:60]
	v_mov_b32_e32 v65, s5
	v_add_co_u32_e32 v57, vcc, s4, v57
	v_addc_co_u32_e32 v58, vcc, v61, v58, vcc
	v_add_u32_e32 v61, s13, v59
	v_ashrrev_i32_e32 v62, 31, v61
	v_lshlrev_b64 v[59:60], 3, v[61:62]
	v_mov_b32_e32 v67, s5
	v_add_co_u32_e32 v59, vcc, s4, v59
	v_addc_co_u32_e32 v60, vcc, v63, v60, vcc
	v_add_u32_e32 v63, s13, v61
	v_ashrrev_i32_e32 v64, 31, v63
	v_lshlrev_b64 v[61:62], 3, v[63:64]
	v_mov_b32_e32 v69, s5
	v_add_co_u32_e32 v61, vcc, s4, v61
	v_addc_co_u32_e32 v62, vcc, v65, v62, vcc
	v_add_u32_e32 v65, s13, v63
	v_ashrrev_i32_e32 v66, 31, v65
	v_lshlrev_b64 v[63:64], 3, v[65:66]
	v_mov_b32_e32 v71, s5
	v_add_co_u32_e32 v63, vcc, s4, v63
	v_addc_co_u32_e32 v64, vcc, v67, v64, vcc
	v_add_u32_e32 v67, s13, v65
	v_ashrrev_i32_e32 v68, 31, v67
	v_lshlrev_b64 v[65:66], 3, v[67:68]
	v_mov_b32_e32 v73, s5
	v_add_co_u32_e32 v65, vcc, s4, v65
	v_addc_co_u32_e32 v66, vcc, v69, v66, vcc
	v_add_u32_e32 v69, s13, v67
	v_ashrrev_i32_e32 v70, 31, v69
	v_lshlrev_b64 v[67:68], 3, v[69:70]
	v_mov_b32_e32 v75, s5
	v_add_co_u32_e32 v67, vcc, s4, v67
	v_addc_co_u32_e32 v68, vcc, v71, v68, vcc
	v_add_u32_e32 v71, s13, v69
	v_ashrrev_i32_e32 v72, 31, v71
	v_lshlrev_b64 v[69:70], 3, v[71:72]
	v_mov_b32_e32 v77, s5
	v_add_co_u32_e32 v69, vcc, s4, v69
	v_addc_co_u32_e32 v70, vcc, v73, v70, vcc
	v_add_u32_e32 v73, s13, v71
	v_ashrrev_i32_e32 v74, 31, v73
	v_lshlrev_b64 v[71:72], 3, v[73:74]
	v_mov_b32_e32 v79, s5
	v_add_co_u32_e32 v71, vcc, s4, v71
	v_addc_co_u32_e32 v72, vcc, v75, v72, vcc
	v_add_u32_e32 v75, s13, v73
	v_ashrrev_i32_e32 v76, 31, v75
	v_lshlrev_b64 v[73:74], 3, v[75:76]
	v_mov_b32_e32 v81, s5
	v_add_co_u32_e32 v73, vcc, s4, v73
	v_addc_co_u32_e32 v74, vcc, v77, v74, vcc
	v_add_u32_e32 v77, s13, v75
	v_ashrrev_i32_e32 v78, 31, v77
	v_lshlrev_b64 v[75:76], 3, v[77:78]
	v_mov_b32_e32 v83, s5
	v_add_co_u32_e32 v75, vcc, s4, v75
	v_addc_co_u32_e32 v76, vcc, v79, v76, vcc
	v_add_u32_e32 v79, s13, v77
	v_ashrrev_i32_e32 v80, 31, v79
	v_lshlrev_b64 v[77:78], 3, v[79:80]
	v_mov_b32_e32 v85, s5
	v_add_co_u32_e32 v77, vcc, s4, v77
	v_addc_co_u32_e32 v78, vcc, v81, v78, vcc
	v_add_u32_e32 v81, s13, v79
	v_ashrrev_i32_e32 v82, 31, v81
	v_lshlrev_b64 v[79:80], 3, v[81:82]
	v_mov_b32_e32 v87, s5
	v_add_co_u32_e32 v79, vcc, s4, v79
	v_addc_co_u32_e32 v80, vcc, v83, v80, vcc
	v_add_u32_e32 v83, s13, v81
	v_ashrrev_i32_e32 v84, 31, v83
	v_lshlrev_b64 v[81:82], 3, v[83:84]
	v_mov_b32_e32 v89, s5
	v_add_co_u32_e32 v81, vcc, s4, v81
	v_addc_co_u32_e32 v82, vcc, v85, v82, vcc
	v_add_u32_e32 v85, s13, v83
	v_ashrrev_i32_e32 v86, 31, v85
	v_lshlrev_b64 v[83:84], 3, v[85:86]
	v_mov_b32_e32 v91, s5
	v_add_co_u32_e32 v83, vcc, s4, v83
	v_addc_co_u32_e32 v84, vcc, v87, v84, vcc
	v_add_u32_e32 v87, s13, v85
	v_ashrrev_i32_e32 v88, 31, v87
	v_lshlrev_b64 v[85:86], 3, v[87:88]
	s_ashr_i32 s7, s13, 31
	v_add_co_u32_e32 v85, vcc, s4, v85
	v_addc_co_u32_e32 v86, vcc, v89, v86, vcc
	v_add_u32_e32 v89, s13, v87
	v_ashrrev_i32_e32 v90, 31, v89
	v_lshlrev_b64 v[87:88], 3, v[89:90]
	v_mov_b32_e32 v90, s5
	v_add_co_u32_e32 v87, vcc, s4, v87
	v_addc_co_u32_e32 v88, vcc, v91, v88, vcc
	v_add_co_u32_e32 v95, vcc, s4, v101
	s_mov_b32 s6, s13
	v_addc_co_u32_e32 v96, vcc, 0, v90, vcc
	s_lshl_b64 s[6:7], s[6:7], 3
	v_add_u32_e32 v91, s13, v89
	v_mov_b32_e32 v90, s7
	v_add_co_u32_e32 v97, vcc, s6, v95
	v_ashrrev_i32_e32 v92, 31, v91
	v_addc_co_u32_e32 v98, vcc, v96, v90, vcc
	v_lshlrev_b64 v[89:90], 3, v[91:92]
	v_mov_b32_e32 v93, s5
	v_add_co_u32_e32 v89, vcc, s4, v89
	global_load_dwordx2 v[99:100], v101, s[4:5]
	global_load_dwordx2 v[104:105], v[1:2], off
	global_load_dwordx2 v[106:107], v[3:4], off
	;; [unrolled: 1-line block ×3, first 2 shown]
	v_addc_co_u32_e32 v90, vcc, v93, v90, vcc
	v_add_u32_e32 v93, s13, v91
	global_load_dwordx2 v[102:103], v[97:98], off
	global_load_dwordx2 v[118:119], v[15:16], off
	v_ashrrev_i32_e32 v94, 31, v93
	global_load_dwordx2 v[110:111], v[11:12], off
	global_load_dwordx2 v[112:113], v[7:8], off
	;; [unrolled: 1-line block ×3, first 2 shown]
	v_lshlrev_b64 v[91:92], 3, v[93:94]
	v_add_u32_e32 v93, s13, v93
	v_mov_b32_e32 v116, s5
	v_add_co_u32_e32 v91, vcc, s4, v91
	v_ashrrev_i32_e32 v94, 31, v93
	v_addc_co_u32_e32 v92, vcc, v116, v92, vcc
	global_load_dwordx2 v[116:117], v[9:10], off
	v_lshlrev_b64 v[93:94], 3, v[93:94]
	v_mov_b32_e32 v120, s5
	v_add_co_u32_e32 v93, vcc, s4, v93
	v_addc_co_u32_e32 v94, vcc, v120, v94, vcc
	global_load_dwordx2 v[120:121], v[17:18], off
	global_load_dwordx2 v[122:123], v[21:22], off
	s_waitcnt vmcnt(11)
	buffer_store_dword v100, off, s[0:3], 0 offset:4
	buffer_store_dword v99, off, s[0:3], 0
	global_load_dwordx2 v[99:100], v[25:26], off
	s_waitcnt vmcnt(10)
	buffer_store_dword v103, off, s[0:3], 0 offset:12
	buffer_store_dword v102, off, s[0:3], 0 offset:8
	;; [unrolled: 1-line block ×5, first 2 shown]
	global_load_dwordx2 v[102:103], v[29:30], off
	s_nop 0
	global_load_dwordx2 v[104:105], v[33:34], off
	s_cmpk_lg_i32 s9, 0x84
	buffer_store_dword v106, off, s[0:3], 0 offset:24
	buffer_store_dword v109, off, s[0:3], 0 offset:36
	global_load_dwordx2 v[106:107], v[37:38], off
	s_cselect_b64 s[10:11], -1, 0
	buffer_store_dword v108, off, s[0:3], 0 offset:32
	global_load_dwordx2 v[108:109], v[41:42], off
	s_waitcnt vmcnt(20)
	buffer_store_dword v111, off, s[0:3], 0 offset:44
	buffer_store_dword v110, off, s[0:3], 0 offset:40
	global_load_dwordx2 v[110:111], v[45:46], off
	s_waitcnt vmcnt(22)
	buffer_store_dword v113, off, s[0:3], 0 offset:52
	;; [unrolled: 4-line block ×4, first 2 shown]
	buffer_store_dword v116, off, s[0:3], 0 offset:64
	global_load_dwordx2 v[116:117], v[27:28], off
	s_nop 0
	buffer_store_dword v118, off, s[0:3], 0 offset:72
	buffer_store_dword v119, off, s[0:3], 0 offset:76
	global_load_dwordx2 v[118:119], v[31:32], off
	s_waitcnt vmcnt(31)
	buffer_store_dword v120, off, s[0:3], 0 offset:80
	buffer_store_dword v121, off, s[0:3], 0 offset:84
	global_load_dwordx2 v[120:121], v[35:36], off
	s_waitcnt vmcnt(33)
	;; [unrolled: 4-line block ×4, first 2 shown]
	buffer_store_dword v102, off, s[0:3], 0 offset:104
	buffer_store_dword v103, off, s[0:3], 0 offset:108
	s_waitcnt vmcnt(31)
	buffer_store_dword v105, off, s[0:3], 0 offset:116
	buffer_store_dword v104, off, s[0:3], 0 offset:112
	s_waitcnt vmcnt(30)
	;; [unrolled: 3-line block ×3, first 2 shown]
	buffer_store_dword v108, off, s[0:3], 0 offset:128
	buffer_store_dword v109, off, s[0:3], 0 offset:132
	global_load_dwordx2 v[102:103], v[47:48], off
	global_load_dwordx2 v[104:105], v[49:50], off
	;; [unrolled: 1-line block ×3, first 2 shown]
	s_nop 0
	global_load_dwordx2 v[108:109], v[53:54], off
	s_cmpk_eq_i32 s9, 0x84
	s_waitcnt vmcnt(33)
	buffer_store_dword v110, off, s[0:3], 0 offset:136
	buffer_store_dword v111, off, s[0:3], 0 offset:140
	s_waitcnt vmcnt(32)
	buffer_store_dword v112, off, s[0:3], 0 offset:144
	buffer_store_dword v113, off, s[0:3], 0 offset:148
	global_load_dwordx2 v[110:111], v[55:56], off
	s_nop 0
	global_load_dwordx2 v[112:113], v[57:58], off
	s_waitcnt vmcnt(33)
	buffer_store_dword v115, off, s[0:3], 0 offset:156
	buffer_store_dword v114, off, s[0:3], 0 offset:152
	global_load_dwordx2 v[114:115], v[59:60], off
	s_waitcnt vmcnt(33)
	buffer_store_dword v117, off, s[0:3], 0 offset:164
	buffer_store_dword v116, off, s[0:3], 0 offset:160
	;; [unrolled: 4-line block ×7, first 2 shown]
	s_waitcnt vmcnt(28)
	buffer_store_dword v105, off, s[0:3], 0 offset:212
	buffer_store_dword v104, off, s[0:3], 0 offset:208
	s_waitcnt vmcnt(29)
	buffer_store_dword v106, off, s[0:3], 0 offset:216
	buffer_store_dword v107, off, s[0:3], 0 offset:220
	;; [unrolled: 3-line block ×5, first 2 shown]
	s_waitcnt vmcnt(27)
	buffer_store_dword v115, off, s[0:3], 0 offset:252
	global_load_dwordx2 v[102:103], v[71:72], off
	global_load_dwordx2 v[104:105], v[73:74], off
	;; [unrolled: 1-line block ×7, first 2 shown]
	s_nop 0
	buffer_store_dword v114, off, s[0:3], 0 offset:248
	global_load_dwordx2 v[114:115], v[83:84], off
	s_waitcnt vmcnt(34)
	buffer_store_dword v117, off, s[0:3], 0 offset:260
	s_waitcnt vmcnt(32)
	buffer_store_dword v118, off, s[0:3], 0 offset:264
	buffer_store_dword v119, off, s[0:3], 0 offset:268
	s_waitcnt vmcnt(31)
	buffer_store_dword v120, off, s[0:3], 0 offset:272
	buffer_store_dword v121, off, s[0:3], 0 offset:276
	s_waitcnt vmcnt(30)
	buffer_store_dword v122, off, s[0:3], 0 offset:280
	global_load_dwordx2 v[118:119], v[87:88], off
	global_load_dwordx2 v[120:121], v[89:90], off
	s_nop 0
	buffer_store_dword v123, off, s[0:3], 0 offset:284
	global_load_dwordx2 v[122:123], v[91:92], off
	s_nop 0
	buffer_store_dword v116, off, s[0:3], 0 offset:256
	global_load_dwordx2 v[116:117], v[85:86], off
	s_waitcnt vmcnt(34)
	buffer_store_dword v99, off, s[0:3], 0 offset:288
	buffer_store_dword v100, off, s[0:3], 0 offset:292
	v_mov_b32_e32 v99, 0
	v_mov_b32_e32 v100, 0xbff00000
	s_waitcnt vmcnt(22)
	buffer_store_dword v103, off, s[0:3], 0 offset:300
	buffer_store_dword v102, off, s[0:3], 0 offset:296
	s_waitcnt vmcnt(23)
	buffer_store_dword v105, off, s[0:3], 0 offset:308
	buffer_store_dword v104, off, s[0:3], 0 offset:304
	;; [unrolled: 3-line block ×8, first 2 shown]
	buffer_store_dword v118, off, s[0:3], 0 offset:360
	buffer_store_dword v119, off, s[0:3], 0 offset:364
	;; [unrolled: 1-line block ×8, first 2 shown]
	s_cbranch_scc1 .LBB48_3
; %bb.2:
	v_mov_b32_e32 v99, 0
	v_lshl_add_u32 v110, v0, 3, v99
	buffer_load_dword v99, v110, s[0:3], 0 offen
	buffer_load_dword v100, v110, s[0:3], 0 offen offset:4
	s_waitcnt vmcnt(0)
	v_div_scale_f64 v[102:103], s[4:5], v[99:100], v[99:100], 1.0
	v_rcp_f64_e32 v[104:105], v[102:103]
	v_fma_f64 v[106:107], -v[102:103], v[104:105], 1.0
	v_fma_f64 v[104:105], v[104:105], v[106:107], v[104:105]
	v_div_scale_f64 v[106:107], vcc, 1.0, v[99:100], 1.0
	v_fma_f64 v[108:109], -v[102:103], v[104:105], 1.0
	v_fma_f64 v[104:105], v[104:105], v[108:109], v[104:105]
	v_mul_f64 v[108:109], v[106:107], v[104:105]
	v_fma_f64 v[102:103], -v[102:103], v[108:109], v[106:107]
	v_div_fmas_f64 v[102:103], v[102:103], v[104:105], v[108:109]
	v_div_fixup_f64 v[99:100], v[102:103], v[99:100], 1.0
	buffer_store_dword v99, v110, s[0:3], 0 offen
	buffer_store_dword v100, v110, s[0:3], 0 offen offset:4
	v_xor_b32_e32 v100, 0x80000000, v100
.LBB48_3:
	s_cmpk_eq_i32 s8, 0x79
	v_add_u32_e32 v102, 0x190, v101
	v_mov_b32_e32 v103, v101
	s_mov_b64 s[4:5], -1
	ds_write_b64 v101, v[99:100]
	s_cbranch_scc1 .LBB48_477
; %bb.4:
	buffer_load_dword v99, off, s[0:3], 0 offset:376
	buffer_load_dword v100, off, s[0:3], 0 offset:380
	s_movk_i32 s12, 0x48
	s_movk_i32 s13, 0x50
	;; [unrolled: 1-line block ×38, first 2 shown]
	v_cmp_eq_u32_e64 s[4:5], 48, v0
	s_waitcnt vmcnt(0)
	ds_write_b64 v102, v[99:100]
	s_waitcnt lgkmcnt(0)
	; wave barrier
	s_and_saveexec_b64 s[6:7], s[4:5]
	s_cbranch_execz .LBB48_10
; %bb.5:
	s_and_b64 vcc, exec, s[10:11]
	s_cbranch_vccz .LBB48_7
; %bb.6:
	buffer_load_dword v99, v103, s[0:3], 0 offen
	buffer_load_dword v100, v103, s[0:3], 0 offen offset:4
	ds_read_b64 v[104:105], v102
	s_waitcnt vmcnt(0) lgkmcnt(0)
	v_mul_f64 v[99:100], v[99:100], v[104:105]
	s_cbranch_execz .LBB48_8
	s_branch .LBB48_9
.LBB48_7:
                                        ; implicit-def: $vgpr99_vgpr100
.LBB48_8:
	ds_read_b64 v[99:100], v102
.LBB48_9:
	v_mov_b32_e32 v104, 0
	ds_read_b64 v[104:105], v104 offset:376
	s_waitcnt lgkmcnt(0)
	v_mul_f64 v[99:100], v[99:100], v[104:105]
	buffer_store_dword v100, off, s[0:3], 0 offset:380
	buffer_store_dword v99, off, s[0:3], 0 offset:376
.LBB48_10:
	s_or_b64 exec, exec, s[6:7]
	buffer_load_dword v99, off, s[0:3], 0 offset:368
	buffer_load_dword v100, off, s[0:3], 0 offset:372
	s_or_b32 s14, 0, 8
	s_mov_b32 s15, 16
	s_mov_b32 s16, 24
	s_mov_b32 s17, 32
	s_mov_b32 s18, 40
	s_mov_b32 s19, 48
	s_mov_b32 s20, 56
	s_mov_b32 s21, 64
	s_mov_b32 s22, s12
	s_mov_b32 s23, s13
	v_cmp_lt_u32_e64 s[6:7], 46, v0
	s_waitcnt vmcnt(0)
	ds_write_b64 v102, v[99:100]
	s_waitcnt lgkmcnt(0)
	; wave barrier
	s_and_saveexec_b64 s[8:9], s[6:7]
	s_cbranch_execz .LBB48_16
; %bb.11:
	s_andn2_b64 vcc, exec, s[10:11]
	s_cbranch_vccnz .LBB48_13
; %bb.12:
	buffer_load_dword v99, v103, s[0:3], 0 offen
	buffer_load_dword v100, v103, s[0:3], 0 offen offset:4
	ds_read_b64 v[104:105], v102
	s_waitcnt vmcnt(0) lgkmcnt(0)
	v_mul_f64 v[99:100], v[99:100], v[104:105]
	s_cbranch_execz .LBB48_14
	s_branch .LBB48_15
.LBB48_13:
                                        ; implicit-def: $vgpr99_vgpr100
.LBB48_14:
	ds_read_b64 v[99:100], v102
.LBB48_15:
	buffer_load_dword v108, off, s[0:3], 0 offset:376
	buffer_load_dword v109, off, s[0:3], 0 offset:380
	v_mov_b32_e32 v104, 0
	ds_read2_b64 v[104:107], v104 offset0:46 offset1:97
	s_waitcnt vmcnt(0) lgkmcnt(0)
	v_fma_f64 v[106:107], v[108:109], v[106:107], v[99:100]
	v_cndmask_b32_e64 v100, v100, v107, s[4:5]
	v_cndmask_b32_e64 v99, v99, v106, s[4:5]
	v_mul_f64 v[99:100], v[99:100], v[104:105]
	buffer_store_dword v100, off, s[0:3], 0 offset:372
	buffer_store_dword v99, off, s[0:3], 0 offset:368
.LBB48_16:
	s_or_b64 exec, exec, s[8:9]
	buffer_load_dword v99, off, s[0:3], 0 offset:360
	buffer_load_dword v100, off, s[0:3], 0 offset:364
	v_cmp_lt_u32_e64 s[4:5], 45, v0
	s_waitcnt vmcnt(0)
	ds_write_b64 v102, v[99:100]
	s_waitcnt lgkmcnt(0)
	; wave barrier
	s_and_saveexec_b64 s[8:9], s[4:5]
	s_cbranch_execz .LBB48_26
; %bb.17:
	s_andn2_b64 vcc, exec, s[10:11]
	s_cbranch_vccnz .LBB48_19
; %bb.18:
	buffer_load_dword v99, v103, s[0:3], 0 offen
	buffer_load_dword v100, v103, s[0:3], 0 offen offset:4
	ds_read_b64 v[104:105], v102
	s_waitcnt vmcnt(0) lgkmcnt(0)
	v_mul_f64 v[99:100], v[99:100], v[104:105]
	s_cbranch_execz .LBB48_20
	s_branch .LBB48_21
.LBB48_19:
                                        ; implicit-def: $vgpr99_vgpr100
.LBB48_20:
	ds_read_b64 v[99:100], v102
.LBB48_21:
	s_and_saveexec_b64 s[12:13], s[6:7]
	s_cbranch_execz .LBB48_25
; %bb.22:
	v_subrev_u32_e32 v104, 46, v0
	s_movk_i32 s61, 0x300
	s_mov_b64 s[6:7], 0
.LBB48_23:                              ; =>This Inner Loop Header: Depth=1
	v_mov_b32_e32 v106, s60
	buffer_load_dword v105, v106, s[0:3], 0 offen
	s_nop 0
	buffer_load_dword v106, v106, s[0:3], 0 offen offset:4
	v_mov_b32_e32 v107, s61
	ds_read_b64 v[107:108], v107
	v_add_u32_e32 v104, -1, v104
	s_add_i32 s61, s61, 8
	s_add_i32 s60, s60, 8
	v_cmp_eq_u32_e32 vcc, 0, v104
	s_or_b64 s[6:7], vcc, s[6:7]
	s_waitcnt vmcnt(0) lgkmcnt(0)
	v_fma_f64 v[99:100], v[105:106], v[107:108], v[99:100]
	s_andn2_b64 exec, exec, s[6:7]
	s_cbranch_execnz .LBB48_23
; %bb.24:
	s_or_b64 exec, exec, s[6:7]
.LBB48_25:
	s_or_b64 exec, exec, s[12:13]
	v_mov_b32_e32 v104, 0
	ds_read_b64 v[104:105], v104 offset:360
	s_waitcnt lgkmcnt(0)
	v_mul_f64 v[99:100], v[99:100], v[104:105]
	buffer_store_dword v100, off, s[0:3], 0 offset:364
	buffer_store_dword v99, off, s[0:3], 0 offset:360
.LBB48_26:
	s_or_b64 exec, exec, s[8:9]
	buffer_load_dword v99, off, s[0:3], 0 offset:352
	buffer_load_dword v100, off, s[0:3], 0 offset:356
	v_cmp_lt_u32_e64 s[6:7], 44, v0
	s_waitcnt vmcnt(0)
	ds_write_b64 v102, v[99:100]
	s_waitcnt lgkmcnt(0)
	; wave barrier
	s_and_saveexec_b64 s[8:9], s[6:7]
	s_cbranch_execz .LBB48_36
; %bb.27:
	s_andn2_b64 vcc, exec, s[10:11]
	s_cbranch_vccnz .LBB48_29
; %bb.28:
	buffer_load_dword v99, v103, s[0:3], 0 offen
	buffer_load_dword v100, v103, s[0:3], 0 offen offset:4
	ds_read_b64 v[104:105], v102
	s_waitcnt vmcnt(0) lgkmcnt(0)
	v_mul_f64 v[99:100], v[99:100], v[104:105]
	s_cbranch_execz .LBB48_30
	s_branch .LBB48_31
.LBB48_29:
                                        ; implicit-def: $vgpr99_vgpr100
.LBB48_30:
	ds_read_b64 v[99:100], v102
.LBB48_31:
	s_and_saveexec_b64 s[12:13], s[4:5]
	s_cbranch_execz .LBB48_35
; %bb.32:
	v_subrev_u32_e32 v104, 45, v0
	s_movk_i32 s60, 0x2f8
	s_mov_b64 s[4:5], 0
.LBB48_33:                              ; =>This Inner Loop Header: Depth=1
	v_mov_b32_e32 v106, s59
	buffer_load_dword v105, v106, s[0:3], 0 offen
	s_nop 0
	buffer_load_dword v106, v106, s[0:3], 0 offen offset:4
	v_mov_b32_e32 v107, s60
	ds_read_b64 v[107:108], v107
	v_add_u32_e32 v104, -1, v104
	s_add_i32 s60, s60, 8
	s_add_i32 s59, s59, 8
	v_cmp_eq_u32_e32 vcc, 0, v104
	s_or_b64 s[4:5], vcc, s[4:5]
	s_waitcnt vmcnt(0) lgkmcnt(0)
	v_fma_f64 v[99:100], v[105:106], v[107:108], v[99:100]
	s_andn2_b64 exec, exec, s[4:5]
	s_cbranch_execnz .LBB48_33
; %bb.34:
	s_or_b64 exec, exec, s[4:5]
.LBB48_35:
	s_or_b64 exec, exec, s[12:13]
	v_mov_b32_e32 v104, 0
	ds_read_b64 v[104:105], v104 offset:352
	s_waitcnt lgkmcnt(0)
	v_mul_f64 v[99:100], v[99:100], v[104:105]
	buffer_store_dword v100, off, s[0:3], 0 offset:356
	buffer_store_dword v99, off, s[0:3], 0 offset:352
.LBB48_36:
	;; [unrolled: 59-line block ×8, first 2 shown]
	s_or_b64 exec, exec, s[8:9]
	buffer_load_dword v99, off, s[0:3], 0 offset:296
	buffer_load_dword v100, off, s[0:3], 0 offset:300
	v_cmp_lt_u32_e64 s[4:5], 37, v0
	s_waitcnt vmcnt(0)
	ds_write_b64 v102, v[99:100]
	s_waitcnt lgkmcnt(0)
	; wave barrier
	s_and_saveexec_b64 s[8:9], s[4:5]
	s_cbranch_execz .LBB48_106
; %bb.97:
	s_andn2_b64 vcc, exec, s[10:11]
	s_cbranch_vccnz .LBB48_99
; %bb.98:
	buffer_load_dword v99, v103, s[0:3], 0 offen
	buffer_load_dword v100, v103, s[0:3], 0 offen offset:4
	ds_read_b64 v[104:105], v102
	s_waitcnt vmcnt(0) lgkmcnt(0)
	v_mul_f64 v[99:100], v[99:100], v[104:105]
	s_cbranch_execz .LBB48_100
	s_branch .LBB48_101
.LBB48_99:
                                        ; implicit-def: $vgpr99_vgpr100
.LBB48_100:
	ds_read_b64 v[99:100], v102
.LBB48_101:
	s_and_saveexec_b64 s[12:13], s[6:7]
	s_cbranch_execz .LBB48_105
; %bb.102:
	v_subrev_u32_e32 v104, 38, v0
	s_movk_i32 s53, 0x2c0
	s_mov_b64 s[6:7], 0
.LBB48_103:                             ; =>This Inner Loop Header: Depth=1
	v_mov_b32_e32 v106, s52
	buffer_load_dword v105, v106, s[0:3], 0 offen
	s_nop 0
	buffer_load_dword v106, v106, s[0:3], 0 offen offset:4
	v_mov_b32_e32 v107, s53
	ds_read_b64 v[107:108], v107
	v_add_u32_e32 v104, -1, v104
	s_add_i32 s53, s53, 8
	s_add_i32 s52, s52, 8
	v_cmp_eq_u32_e32 vcc, 0, v104
	s_or_b64 s[6:7], vcc, s[6:7]
	s_waitcnt vmcnt(0) lgkmcnt(0)
	v_fma_f64 v[99:100], v[105:106], v[107:108], v[99:100]
	s_andn2_b64 exec, exec, s[6:7]
	s_cbranch_execnz .LBB48_103
; %bb.104:
	s_or_b64 exec, exec, s[6:7]
.LBB48_105:
	s_or_b64 exec, exec, s[12:13]
	v_mov_b32_e32 v104, 0
	ds_read_b64 v[104:105], v104 offset:296
	s_waitcnt lgkmcnt(0)
	v_mul_f64 v[99:100], v[99:100], v[104:105]
	buffer_store_dword v100, off, s[0:3], 0 offset:300
	buffer_store_dword v99, off, s[0:3], 0 offset:296
.LBB48_106:
	s_or_b64 exec, exec, s[8:9]
	buffer_load_dword v99, off, s[0:3], 0 offset:288
	buffer_load_dword v100, off, s[0:3], 0 offset:292
	v_cmp_lt_u32_e64 s[6:7], 36, v0
	s_waitcnt vmcnt(0)
	ds_write_b64 v102, v[99:100]
	s_waitcnt lgkmcnt(0)
	; wave barrier
	s_and_saveexec_b64 s[8:9], s[6:7]
	s_cbranch_execz .LBB48_116
; %bb.107:
	s_andn2_b64 vcc, exec, s[10:11]
	s_cbranch_vccnz .LBB48_109
; %bb.108:
	buffer_load_dword v99, v103, s[0:3], 0 offen
	buffer_load_dword v100, v103, s[0:3], 0 offen offset:4
	ds_read_b64 v[104:105], v102
	s_waitcnt vmcnt(0) lgkmcnt(0)
	v_mul_f64 v[99:100], v[99:100], v[104:105]
	s_cbranch_execz .LBB48_110
	s_branch .LBB48_111
.LBB48_109:
                                        ; implicit-def: $vgpr99_vgpr100
.LBB48_110:
	ds_read_b64 v[99:100], v102
.LBB48_111:
	s_and_saveexec_b64 s[12:13], s[4:5]
	s_cbranch_execz .LBB48_115
; %bb.112:
	v_subrev_u32_e32 v104, 37, v0
	s_movk_i32 s52, 0x2b8
	s_mov_b64 s[4:5], 0
.LBB48_113:                             ; =>This Inner Loop Header: Depth=1
	v_mov_b32_e32 v106, s51
	buffer_load_dword v105, v106, s[0:3], 0 offen
	s_nop 0
	buffer_load_dword v106, v106, s[0:3], 0 offen offset:4
	v_mov_b32_e32 v107, s52
	ds_read_b64 v[107:108], v107
	v_add_u32_e32 v104, -1, v104
	s_add_i32 s52, s52, 8
	s_add_i32 s51, s51, 8
	v_cmp_eq_u32_e32 vcc, 0, v104
	s_or_b64 s[4:5], vcc, s[4:5]
	s_waitcnt vmcnt(0) lgkmcnt(0)
	v_fma_f64 v[99:100], v[105:106], v[107:108], v[99:100]
	s_andn2_b64 exec, exec, s[4:5]
	s_cbranch_execnz .LBB48_113
; %bb.114:
	s_or_b64 exec, exec, s[4:5]
.LBB48_115:
	s_or_b64 exec, exec, s[12:13]
	v_mov_b32_e32 v104, 0
	ds_read_b64 v[104:105], v104 offset:288
	s_waitcnt lgkmcnt(0)
	v_mul_f64 v[99:100], v[99:100], v[104:105]
	buffer_store_dword v100, off, s[0:3], 0 offset:292
	buffer_store_dword v99, off, s[0:3], 0 offset:288
.LBB48_116:
	s_or_b64 exec, exec, s[8:9]
	buffer_load_dword v99, off, s[0:3], 0 offset:280
	buffer_load_dword v100, off, s[0:3], 0 offset:284
	v_cmp_lt_u32_e64 s[4:5], 35, v0
	s_waitcnt vmcnt(0)
	ds_write_b64 v102, v[99:100]
	s_waitcnt lgkmcnt(0)
	; wave barrier
	s_and_saveexec_b64 s[8:9], s[4:5]
	s_cbranch_execz .LBB48_126
; %bb.117:
	s_andn2_b64 vcc, exec, s[10:11]
	s_cbranch_vccnz .LBB48_119
; %bb.118:
	buffer_load_dword v99, v103, s[0:3], 0 offen
	buffer_load_dword v100, v103, s[0:3], 0 offen offset:4
	ds_read_b64 v[104:105], v102
	s_waitcnt vmcnt(0) lgkmcnt(0)
	v_mul_f64 v[99:100], v[99:100], v[104:105]
	s_cbranch_execz .LBB48_120
	s_branch .LBB48_121
.LBB48_119:
                                        ; implicit-def: $vgpr99_vgpr100
.LBB48_120:
	ds_read_b64 v[99:100], v102
.LBB48_121:
	s_and_saveexec_b64 s[12:13], s[6:7]
	s_cbranch_execz .LBB48_125
; %bb.122:
	v_subrev_u32_e32 v104, 36, v0
	s_movk_i32 s51, 0x2b0
	s_mov_b64 s[6:7], 0
.LBB48_123:                             ; =>This Inner Loop Header: Depth=1
	v_mov_b32_e32 v107, s50
	buffer_load_dword v105, v107, s[0:3], 0 offen
	buffer_load_dword v106, v107, s[0:3], 0 offen offset:4
	v_mov_b32_e32 v107, s51
	ds_read_b64 v[107:108], v107
	v_add_u32_e32 v104, -1, v104
	s_add_i32 s51, s51, 8
	s_add_i32 s50, s50, 8
	v_cmp_eq_u32_e32 vcc, 0, v104
	s_or_b64 s[6:7], vcc, s[6:7]
	s_waitcnt vmcnt(0) lgkmcnt(0)
	v_fma_f64 v[99:100], v[105:106], v[107:108], v[99:100]
	s_andn2_b64 exec, exec, s[6:7]
	s_cbranch_execnz .LBB48_123
; %bb.124:
	s_or_b64 exec, exec, s[6:7]
.LBB48_125:
	s_or_b64 exec, exec, s[12:13]
	v_mov_b32_e32 v104, 0
	ds_read_b64 v[104:105], v104 offset:280
	s_waitcnt lgkmcnt(0)
	v_mul_f64 v[99:100], v[99:100], v[104:105]
	buffer_store_dword v100, off, s[0:3], 0 offset:284
	buffer_store_dword v99, off, s[0:3], 0 offset:280
.LBB48_126:
	s_or_b64 exec, exec, s[8:9]
	buffer_load_dword v99, off, s[0:3], 0 offset:272
	buffer_load_dword v100, off, s[0:3], 0 offset:276
	v_cmp_lt_u32_e64 s[6:7], 34, v0
	s_waitcnt vmcnt(0)
	ds_write_b64 v102, v[99:100]
	s_waitcnt lgkmcnt(0)
	; wave barrier
	s_and_saveexec_b64 s[8:9], s[6:7]
	s_cbranch_execz .LBB48_136
; %bb.127:
	s_andn2_b64 vcc, exec, s[10:11]
	s_cbranch_vccnz .LBB48_129
; %bb.128:
	buffer_load_dword v99, v103, s[0:3], 0 offen
	buffer_load_dword v100, v103, s[0:3], 0 offen offset:4
	ds_read_b64 v[104:105], v102
	s_waitcnt vmcnt(0) lgkmcnt(0)
	v_mul_f64 v[99:100], v[99:100], v[104:105]
	s_cbranch_execz .LBB48_130
	s_branch .LBB48_131
.LBB48_129:
                                        ; implicit-def: $vgpr99_vgpr100
.LBB48_130:
	ds_read_b64 v[99:100], v102
.LBB48_131:
	s_and_saveexec_b64 s[12:13], s[4:5]
	s_cbranch_execz .LBB48_135
; %bb.132:
	v_subrev_u32_e32 v104, 35, v0
	s_movk_i32 s50, 0x2a8
	s_mov_b64 s[4:5], 0
.LBB48_133:                             ; =>This Inner Loop Header: Depth=1
	v_mov_b32_e32 v107, s49
	buffer_load_dword v105, v107, s[0:3], 0 offen
	buffer_load_dword v106, v107, s[0:3], 0 offen offset:4
	v_mov_b32_e32 v107, s50
	ds_read_b64 v[107:108], v107
	v_add_u32_e32 v104, -1, v104
	s_add_i32 s50, s50, 8
	s_add_i32 s49, s49, 8
	v_cmp_eq_u32_e32 vcc, 0, v104
	s_or_b64 s[4:5], vcc, s[4:5]
	s_waitcnt vmcnt(0) lgkmcnt(0)
	v_fma_f64 v[99:100], v[105:106], v[107:108], v[99:100]
	s_andn2_b64 exec, exec, s[4:5]
	s_cbranch_execnz .LBB48_133
; %bb.134:
	s_or_b64 exec, exec, s[4:5]
.LBB48_135:
	s_or_b64 exec, exec, s[12:13]
	v_mov_b32_e32 v104, 0
	ds_read_b64 v[104:105], v104 offset:272
	s_waitcnt lgkmcnt(0)
	v_mul_f64 v[99:100], v[99:100], v[104:105]
	buffer_store_dword v100, off, s[0:3], 0 offset:276
	buffer_store_dword v99, off, s[0:3], 0 offset:272
.LBB48_136:
	;; [unrolled: 58-line block ×20, first 2 shown]
	s_or_b64 exec, exec, s[8:9]
	buffer_load_dword v99, off, s[0:3], 0 offset:120
	buffer_load_dword v100, off, s[0:3], 0 offset:124
	v_cmp_lt_u32_e64 s[4:5], 15, v0
	s_waitcnt vmcnt(0)
	ds_write_b64 v102, v[99:100]
	s_waitcnt lgkmcnt(0)
	; wave barrier
	s_and_saveexec_b64 s[8:9], s[4:5]
	s_cbranch_execz .LBB48_326
; %bb.317:
	s_andn2_b64 vcc, exec, s[10:11]
	s_cbranch_vccnz .LBB48_319
; %bb.318:
	buffer_load_dword v99, v103, s[0:3], 0 offen
	buffer_load_dword v100, v103, s[0:3], 0 offen offset:4
	ds_read_b64 v[104:105], v102
	s_waitcnt vmcnt(0) lgkmcnt(0)
	v_mul_f64 v[99:100], v[99:100], v[104:105]
	s_cbranch_execz .LBB48_320
	s_branch .LBB48_321
.LBB48_319:
                                        ; implicit-def: $vgpr99_vgpr100
.LBB48_320:
	ds_read_b64 v[99:100], v102
.LBB48_321:
	s_and_saveexec_b64 s[12:13], s[6:7]
	s_cbranch_execz .LBB48_325
; %bb.322:
	v_add_u32_e32 v104, -16, v0
	s_movk_i32 s30, 0x210
	s_mov_b64 s[6:7], 0
.LBB48_323:                             ; =>This Inner Loop Header: Depth=1
	v_mov_b32_e32 v107, s29
	buffer_load_dword v105, v107, s[0:3], 0 offen
	buffer_load_dword v106, v107, s[0:3], 0 offen offset:4
	v_mov_b32_e32 v107, s30
	ds_read_b64 v[107:108], v107
	v_add_u32_e32 v104, -1, v104
	s_add_i32 s30, s30, 8
	s_add_i32 s29, s29, 8
	v_cmp_eq_u32_e32 vcc, 0, v104
	s_or_b64 s[6:7], vcc, s[6:7]
	s_waitcnt vmcnt(0) lgkmcnt(0)
	v_fma_f64 v[99:100], v[105:106], v[107:108], v[99:100]
	s_andn2_b64 exec, exec, s[6:7]
	s_cbranch_execnz .LBB48_323
; %bb.324:
	s_or_b64 exec, exec, s[6:7]
.LBB48_325:
	s_or_b64 exec, exec, s[12:13]
	v_mov_b32_e32 v104, 0
	ds_read_b64 v[104:105], v104 offset:120
	s_waitcnt lgkmcnt(0)
	v_mul_f64 v[99:100], v[99:100], v[104:105]
	buffer_store_dword v100, off, s[0:3], 0 offset:124
	buffer_store_dword v99, off, s[0:3], 0 offset:120
.LBB48_326:
	s_or_b64 exec, exec, s[8:9]
	buffer_load_dword v99, off, s[0:3], 0 offset:112
	buffer_load_dword v100, off, s[0:3], 0 offset:116
	v_cmp_lt_u32_e64 s[6:7], 14, v0
	s_waitcnt vmcnt(0)
	ds_write_b64 v102, v[99:100]
	s_waitcnt lgkmcnt(0)
	; wave barrier
	s_and_saveexec_b64 s[8:9], s[6:7]
	s_cbranch_execz .LBB48_336
; %bb.327:
	s_andn2_b64 vcc, exec, s[10:11]
	s_cbranch_vccnz .LBB48_329
; %bb.328:
	buffer_load_dword v99, v103, s[0:3], 0 offen
	buffer_load_dword v100, v103, s[0:3], 0 offen offset:4
	ds_read_b64 v[104:105], v102
	s_waitcnt vmcnt(0) lgkmcnt(0)
	v_mul_f64 v[99:100], v[99:100], v[104:105]
	s_cbranch_execz .LBB48_330
	s_branch .LBB48_331
.LBB48_329:
                                        ; implicit-def: $vgpr99_vgpr100
.LBB48_330:
	ds_read_b64 v[99:100], v102
.LBB48_331:
	s_and_saveexec_b64 s[12:13], s[4:5]
	s_cbranch_execz .LBB48_335
; %bb.332:
	v_add_u32_e32 v104, -15, v0
	s_movk_i32 s29, 0x208
	s_mov_b64 s[4:5], 0
.LBB48_333:                             ; =>This Inner Loop Header: Depth=1
	v_mov_b32_e32 v107, s28
	buffer_load_dword v105, v107, s[0:3], 0 offen
	buffer_load_dword v106, v107, s[0:3], 0 offen offset:4
	v_mov_b32_e32 v107, s29
	ds_read_b64 v[107:108], v107
	v_add_u32_e32 v104, -1, v104
	s_add_i32 s29, s29, 8
	s_add_i32 s28, s28, 8
	v_cmp_eq_u32_e32 vcc, 0, v104
	s_or_b64 s[4:5], vcc, s[4:5]
	s_waitcnt vmcnt(0) lgkmcnt(0)
	v_fma_f64 v[99:100], v[105:106], v[107:108], v[99:100]
	s_andn2_b64 exec, exec, s[4:5]
	s_cbranch_execnz .LBB48_333
; %bb.334:
	s_or_b64 exec, exec, s[4:5]
.LBB48_335:
	s_or_b64 exec, exec, s[12:13]
	v_mov_b32_e32 v104, 0
	ds_read_b64 v[104:105], v104 offset:112
	s_waitcnt lgkmcnt(0)
	v_mul_f64 v[99:100], v[99:100], v[104:105]
	buffer_store_dword v100, off, s[0:3], 0 offset:116
	buffer_store_dword v99, off, s[0:3], 0 offset:112
.LBB48_336:
	;; [unrolled: 58-line block ×15, first 2 shown]
	s_or_b64 exec, exec, s[8:9]
	buffer_load_dword v99, off, s[0:3], 0
	buffer_load_dword v100, off, s[0:3], 0 offset:4
	v_cmp_ne_u32_e32 vcc, 0, v0
	s_waitcnt vmcnt(0)
	ds_write_b64 v102, v[99:100]
	s_waitcnt lgkmcnt(0)
	; wave barrier
	s_and_saveexec_b64 s[6:7], vcc
	s_cbranch_execz .LBB48_476
; %bb.467:
	s_andn2_b64 vcc, exec, s[10:11]
	s_cbranch_vccnz .LBB48_469
; %bb.468:
	buffer_load_dword v99, v103, s[0:3], 0 offen
	buffer_load_dword v100, v103, s[0:3], 0 offen offset:4
	ds_read_b64 v[104:105], v102
	s_waitcnt vmcnt(0) lgkmcnt(0)
	v_mul_f64 v[99:100], v[99:100], v[104:105]
	s_cbranch_execz .LBB48_470
	s_branch .LBB48_471
.LBB48_469:
                                        ; implicit-def: $vgpr99_vgpr100
.LBB48_470:
	ds_read_b64 v[99:100], v102
.LBB48_471:
	s_and_saveexec_b64 s[8:9], s[4:5]
	s_cbranch_execz .LBB48_475
; %bb.472:
	v_add_u32_e32 v104, -1, v0
	s_movk_i32 s12, 0x198
	s_mov_b64 s[4:5], 0
.LBB48_473:                             ; =>This Inner Loop Header: Depth=1
	v_mov_b32_e32 v107, s14
	buffer_load_dword v105, v107, s[0:3], 0 offen
	buffer_load_dword v106, v107, s[0:3], 0 offen offset:4
	v_mov_b32_e32 v107, s12
	ds_read_b64 v[107:108], v107
	v_add_u32_e32 v104, -1, v104
	s_add_i32 s12, s12, 8
	s_add_i32 s14, s14, 8
	v_cmp_eq_u32_e32 vcc, 0, v104
	s_or_b64 s[4:5], vcc, s[4:5]
	s_waitcnt vmcnt(0) lgkmcnt(0)
	v_fma_f64 v[99:100], v[105:106], v[107:108], v[99:100]
	s_andn2_b64 exec, exec, s[4:5]
	s_cbranch_execnz .LBB48_473
; %bb.474:
	s_or_b64 exec, exec, s[4:5]
.LBB48_475:
	s_or_b64 exec, exec, s[8:9]
	v_mov_b32_e32 v104, 0
	ds_read_b64 v[104:105], v104
	s_waitcnt lgkmcnt(0)
	v_mul_f64 v[99:100], v[99:100], v[104:105]
	buffer_store_dword v100, off, s[0:3], 0 offset:4
	buffer_store_dword v99, off, s[0:3], 0
.LBB48_476:
	s_or_b64 exec, exec, s[6:7]
	s_mov_b64 s[4:5], 0
.LBB48_477:
	s_and_b64 vcc, exec, s[4:5]
	s_cbranch_vccz .LBB48_949
; %bb.478:
	buffer_load_dword v99, off, s[0:3], 0 offset:8
	buffer_load_dword v100, off, s[0:3], 0 offset:12
	v_cmp_eq_u32_e64 s[6:7], 0, v0
	s_waitcnt vmcnt(0)
	ds_write_b64 v102, v[99:100]
	s_waitcnt lgkmcnt(0)
	; wave barrier
	s_and_saveexec_b64 s[4:5], s[6:7]
	s_cbranch_execz .LBB48_484
; %bb.479:
	s_and_b64 vcc, exec, s[10:11]
	s_cbranch_vccz .LBB48_481
; %bb.480:
	buffer_load_dword v99, v103, s[0:3], 0 offen
	buffer_load_dword v100, v103, s[0:3], 0 offen offset:4
	ds_read_b64 v[104:105], v102
	s_waitcnt vmcnt(0) lgkmcnt(0)
	v_mul_f64 v[99:100], v[99:100], v[104:105]
	s_cbranch_execz .LBB48_482
	s_branch .LBB48_483
.LBB48_481:
                                        ; implicit-def: $vgpr99_vgpr100
.LBB48_482:
	ds_read_b64 v[99:100], v102
.LBB48_483:
	v_mov_b32_e32 v104, 0
	ds_read_b64 v[104:105], v104 offset:8
	s_waitcnt lgkmcnt(0)
	v_mul_f64 v[99:100], v[99:100], v[104:105]
	buffer_store_dword v100, off, s[0:3], 0 offset:12
	buffer_store_dword v99, off, s[0:3], 0 offset:8
.LBB48_484:
	s_or_b64 exec, exec, s[4:5]
	buffer_load_dword v99, off, s[0:3], 0 offset:16
	buffer_load_dword v100, off, s[0:3], 0 offset:20
	v_cndmask_b32_e64 v104, 0, 1, s[10:11]
	v_cmp_gt_u32_e32 vcc, 2, v0
	v_cmp_ne_u32_e64 s[4:5], 1, v104
	s_waitcnt vmcnt(0)
	ds_write_b64 v102, v[99:100]
	s_waitcnt lgkmcnt(0)
	; wave barrier
	s_and_saveexec_b64 s[8:9], vcc
	s_cbranch_execz .LBB48_490
; %bb.485:
	s_and_b64 vcc, exec, s[4:5]
	s_cbranch_vccnz .LBB48_487
; %bb.486:
	buffer_load_dword v99, v103, s[0:3], 0 offen
	buffer_load_dword v100, v103, s[0:3], 0 offen offset:4
	ds_read_b64 v[104:105], v102
	s_waitcnt vmcnt(0) lgkmcnt(0)
	v_mul_f64 v[99:100], v[99:100], v[104:105]
	s_cbranch_execz .LBB48_488
	s_branch .LBB48_489
.LBB48_487:
                                        ; implicit-def: $vgpr99_vgpr100
.LBB48_488:
	ds_read_b64 v[99:100], v102
.LBB48_489:
	buffer_load_dword v108, off, s[0:3], 0 offset:8
	buffer_load_dword v109, off, s[0:3], 0 offset:12
	v_mov_b32_e32 v104, 0
	ds_read2_b64 v[104:107], v104 offset0:2 offset1:51
	s_waitcnt vmcnt(0) lgkmcnt(0)
	v_fma_f64 v[106:107], v[108:109], v[106:107], v[99:100]
	v_cndmask_b32_e64 v100, v100, v107, s[6:7]
	v_cndmask_b32_e64 v99, v99, v106, s[6:7]
	v_mul_f64 v[99:100], v[99:100], v[104:105]
	buffer_store_dword v100, off, s[0:3], 0 offset:20
	buffer_store_dword v99, off, s[0:3], 0 offset:16
.LBB48_490:
	s_or_b64 exec, exec, s[8:9]
	buffer_load_dword v99, off, s[0:3], 0 offset:24
	buffer_load_dword v100, off, s[0:3], 0 offset:28
	v_cmp_gt_u32_e32 vcc, 3, v0
	s_waitcnt vmcnt(0)
	ds_write_b64 v102, v[99:100]
	s_waitcnt lgkmcnt(0)
	; wave barrier
	s_and_saveexec_b64 s[8:9], vcc
	s_cbranch_execz .LBB48_498
; %bb.491:
	s_and_b64 vcc, exec, s[4:5]
	s_cbranch_vccnz .LBB48_493
; %bb.492:
	buffer_load_dword v99, v103, s[0:3], 0 offen
	buffer_load_dword v100, v103, s[0:3], 0 offen offset:4
	ds_read_b64 v[104:105], v102
	s_waitcnt vmcnt(0) lgkmcnt(0)
	v_mul_f64 v[99:100], v[99:100], v[104:105]
	s_cbranch_execz .LBB48_494
	s_branch .LBB48_495
.LBB48_493:
                                        ; implicit-def: $vgpr99_vgpr100
.LBB48_494:
	ds_read_b64 v[99:100], v102
.LBB48_495:
	v_cmp_ne_u32_e32 vcc, 2, v0
	s_and_saveexec_b64 s[10:11], vcc
	s_cbranch_execz .LBB48_497
; %bb.496:
	buffer_load_dword v104, v103, s[0:3], 0 offen offset:8
	buffer_load_dword v105, v103, s[0:3], 0 offen offset:12
	buffer_load_dword v106, off, s[0:3], 0 offset:16
	buffer_load_dword v107, off, s[0:3], 0 offset:20
	ds_read_b64 v[108:109], v102 offset:8
	v_mov_b32_e32 v110, 0
	ds_read_b64 v[110:111], v110 offset:416
	s_waitcnt vmcnt(2) lgkmcnt(1)
	v_fma_f64 v[99:100], v[104:105], v[108:109], v[99:100]
	s_waitcnt vmcnt(0) lgkmcnt(0)
	v_fma_f64 v[104:105], v[106:107], v[110:111], v[99:100]
	v_cndmask_b32_e64 v100, v100, v105, s[6:7]
	v_cndmask_b32_e64 v99, v99, v104, s[6:7]
.LBB48_497:
	s_or_b64 exec, exec, s[10:11]
	v_mov_b32_e32 v104, 0
	ds_read_b64 v[104:105], v104 offset:24
	s_waitcnt lgkmcnt(0)
	v_mul_f64 v[99:100], v[99:100], v[104:105]
	buffer_store_dword v100, off, s[0:3], 0 offset:28
	buffer_store_dword v99, off, s[0:3], 0 offset:24
.LBB48_498:
	s_or_b64 exec, exec, s[8:9]
	buffer_load_dword v99, off, s[0:3], 0 offset:32
	buffer_load_dword v100, off, s[0:3], 0 offset:36
	v_cmp_gt_u32_e32 vcc, 4, v0
	s_waitcnt vmcnt(0)
	ds_write_b64 v102, v[99:100]
	s_waitcnt lgkmcnt(0)
	; wave barrier
	s_and_saveexec_b64 s[6:7], vcc
	s_cbranch_execz .LBB48_508
; %bb.499:
	s_and_b64 vcc, exec, s[4:5]
	s_cbranch_vccnz .LBB48_501
; %bb.500:
	buffer_load_dword v99, v103, s[0:3], 0 offen
	buffer_load_dword v100, v103, s[0:3], 0 offen offset:4
	ds_read_b64 v[104:105], v102
	s_waitcnt vmcnt(0) lgkmcnt(0)
	v_mul_f64 v[99:100], v[99:100], v[104:105]
	s_cbranch_execz .LBB48_502
	s_branch .LBB48_503
.LBB48_501:
                                        ; implicit-def: $vgpr99_vgpr100
.LBB48_502:
	ds_read_b64 v[99:100], v102
.LBB48_503:
	v_cmp_ne_u32_e32 vcc, 3, v0
	s_and_saveexec_b64 s[8:9], vcc
	s_cbranch_execz .LBB48_507
; %bb.504:
	s_mov_b32 s10, 0
	v_add_u32_e32 v104, 0x198, v101
	v_add3_u32 v105, v101, s10, 8
	s_mov_b64 s[10:11], 0
	v_mov_b32_e32 v106, v0
.LBB48_505:                             ; =>This Inner Loop Header: Depth=1
	buffer_load_dword v107, v105, s[0:3], 0 offen
	buffer_load_dword v108, v105, s[0:3], 0 offen offset:4
	ds_read_b64 v[109:110], v104
	v_add_u32_e32 v106, 1, v106
	v_cmp_lt_u32_e32 vcc, 2, v106
	v_add_u32_e32 v104, 8, v104
	s_or_b64 s[10:11], vcc, s[10:11]
	v_add_u32_e32 v105, 8, v105
	s_waitcnt vmcnt(0) lgkmcnt(0)
	v_fma_f64 v[99:100], v[107:108], v[109:110], v[99:100]
	s_andn2_b64 exec, exec, s[10:11]
	s_cbranch_execnz .LBB48_505
; %bb.506:
	s_or_b64 exec, exec, s[10:11]
.LBB48_507:
	s_or_b64 exec, exec, s[8:9]
	v_mov_b32_e32 v104, 0
	ds_read_b64 v[104:105], v104 offset:32
	s_waitcnt lgkmcnt(0)
	v_mul_f64 v[99:100], v[99:100], v[104:105]
	buffer_store_dword v100, off, s[0:3], 0 offset:36
	buffer_store_dword v99, off, s[0:3], 0 offset:32
.LBB48_508:
	s_or_b64 exec, exec, s[6:7]
	buffer_load_dword v99, off, s[0:3], 0 offset:40
	buffer_load_dword v100, off, s[0:3], 0 offset:44
	v_cmp_gt_u32_e32 vcc, 5, v0
	s_waitcnt vmcnt(0)
	ds_write_b64 v102, v[99:100]
	s_waitcnt lgkmcnt(0)
	; wave barrier
	s_and_saveexec_b64 s[6:7], vcc
	s_cbranch_execz .LBB48_518
; %bb.509:
	s_and_b64 vcc, exec, s[4:5]
	s_cbranch_vccnz .LBB48_511
; %bb.510:
	buffer_load_dword v99, v103, s[0:3], 0 offen
	buffer_load_dword v100, v103, s[0:3], 0 offen offset:4
	ds_read_b64 v[104:105], v102
	s_waitcnt vmcnt(0) lgkmcnt(0)
	v_mul_f64 v[99:100], v[99:100], v[104:105]
	s_cbranch_execz .LBB48_512
	s_branch .LBB48_513
.LBB48_511:
                                        ; implicit-def: $vgpr99_vgpr100
.LBB48_512:
	ds_read_b64 v[99:100], v102
.LBB48_513:
	v_cmp_ne_u32_e32 vcc, 4, v0
	s_and_saveexec_b64 s[8:9], vcc
	s_cbranch_execz .LBB48_517
; %bb.514:
	s_mov_b32 s10, 0
	v_add_u32_e32 v104, 0x198, v101
	v_add3_u32 v105, v101, s10, 8
	s_mov_b64 s[10:11], 0
	v_mov_b32_e32 v106, v0
.LBB48_515:                             ; =>This Inner Loop Header: Depth=1
	buffer_load_dword v107, v105, s[0:3], 0 offen
	buffer_load_dword v108, v105, s[0:3], 0 offen offset:4
	ds_read_b64 v[109:110], v104
	v_add_u32_e32 v106, 1, v106
	v_cmp_lt_u32_e32 vcc, 3, v106
	v_add_u32_e32 v104, 8, v104
	s_or_b64 s[10:11], vcc, s[10:11]
	v_add_u32_e32 v105, 8, v105
	s_waitcnt vmcnt(0) lgkmcnt(0)
	v_fma_f64 v[99:100], v[107:108], v[109:110], v[99:100]
	s_andn2_b64 exec, exec, s[10:11]
	s_cbranch_execnz .LBB48_515
; %bb.516:
	s_or_b64 exec, exec, s[10:11]
.LBB48_517:
	s_or_b64 exec, exec, s[8:9]
	v_mov_b32_e32 v104, 0
	ds_read_b64 v[104:105], v104 offset:40
	s_waitcnt lgkmcnt(0)
	v_mul_f64 v[99:100], v[99:100], v[104:105]
	buffer_store_dword v100, off, s[0:3], 0 offset:44
	buffer_store_dword v99, off, s[0:3], 0 offset:40
.LBB48_518:
	;; [unrolled: 59-line block ×43, first 2 shown]
	s_or_b64 exec, exec, s[6:7]
	buffer_load_dword v99, off, s[0:3], 0 offset:376
	buffer_load_dword v100, off, s[0:3], 0 offset:380
	v_cmp_gt_u32_e64 s[6:7], 47, v0
	s_waitcnt vmcnt(0)
	ds_write_b64 v102, v[99:100]
	s_waitcnt lgkmcnt(0)
	; wave barrier
	s_and_saveexec_b64 s[8:9], s[6:7]
	s_cbranch_execz .LBB48_938
; %bb.929:
	s_and_b64 vcc, exec, s[4:5]
	s_cbranch_vccnz .LBB48_931
; %bb.930:
	buffer_load_dword v99, v103, s[0:3], 0 offen
	buffer_load_dword v100, v103, s[0:3], 0 offen offset:4
	ds_read_b64 v[104:105], v102
	s_waitcnt vmcnt(0) lgkmcnt(0)
	v_mul_f64 v[99:100], v[99:100], v[104:105]
	s_cbranch_execz .LBB48_932
	s_branch .LBB48_933
.LBB48_931:
                                        ; implicit-def: $vgpr99_vgpr100
.LBB48_932:
	ds_read_b64 v[99:100], v102
.LBB48_933:
	v_cmp_ne_u32_e32 vcc, 46, v0
	s_and_saveexec_b64 s[10:11], vcc
	s_cbranch_execz .LBB48_937
; %bb.934:
	s_mov_b32 s12, 0
	v_add_u32_e32 v104, 0x198, v101
	v_add3_u32 v105, v101, s12, 8
	s_mov_b64 s[12:13], 0
	v_mov_b32_e32 v106, v0
.LBB48_935:                             ; =>This Inner Loop Header: Depth=1
	buffer_load_dword v107, v105, s[0:3], 0 offen
	buffer_load_dword v108, v105, s[0:3], 0 offen offset:4
	ds_read_b64 v[109:110], v104
	v_add_u32_e32 v106, 1, v106
	v_cmp_lt_u32_e32 vcc, 45, v106
	v_add_u32_e32 v104, 8, v104
	s_or_b64 s[12:13], vcc, s[12:13]
	v_add_u32_e32 v105, 8, v105
	s_waitcnt vmcnt(0) lgkmcnt(0)
	v_fma_f64 v[99:100], v[107:108], v[109:110], v[99:100]
	s_andn2_b64 exec, exec, s[12:13]
	s_cbranch_execnz .LBB48_935
; %bb.936:
	s_or_b64 exec, exec, s[12:13]
.LBB48_937:
	s_or_b64 exec, exec, s[10:11]
	v_mov_b32_e32 v104, 0
	ds_read_b64 v[104:105], v104 offset:376
	s_waitcnt lgkmcnt(0)
	v_mul_f64 v[99:100], v[99:100], v[104:105]
	buffer_store_dword v100, off, s[0:3], 0 offset:380
	buffer_store_dword v99, off, s[0:3], 0 offset:376
.LBB48_938:
	s_or_b64 exec, exec, s[8:9]
	buffer_load_dword v99, off, s[0:3], 0 offset:384
	buffer_load_dword v100, off, s[0:3], 0 offset:388
	v_cmp_ne_u32_e32 vcc, 48, v0
	s_waitcnt vmcnt(0)
	ds_write_b64 v102, v[99:100]
	s_waitcnt lgkmcnt(0)
	; wave barrier
	s_and_saveexec_b64 s[8:9], vcc
	s_cbranch_execz .LBB48_948
; %bb.939:
	s_and_b64 vcc, exec, s[4:5]
	s_cbranch_vccnz .LBB48_941
; %bb.940:
	buffer_load_dword v99, v103, s[0:3], 0 offen
	buffer_load_dword v100, v103, s[0:3], 0 offen offset:4
	ds_read_b64 v[103:104], v102
	s_waitcnt vmcnt(0) lgkmcnt(0)
	v_mul_f64 v[99:100], v[99:100], v[103:104]
	s_cbranch_execz .LBB48_942
	s_branch .LBB48_943
.LBB48_941:
                                        ; implicit-def: $vgpr99_vgpr100
.LBB48_942:
	ds_read_b64 v[99:100], v102
.LBB48_943:
	s_and_saveexec_b64 s[4:5], s[6:7]
	s_cbranch_execz .LBB48_947
; %bb.944:
	s_mov_b32 s6, 0
	v_add_u32_e32 v102, 0x198, v101
	v_add3_u32 v101, v101, s6, 8
	s_mov_b64 s[6:7], 0
.LBB48_945:                             ; =>This Inner Loop Header: Depth=1
	buffer_load_dword v103, v101, s[0:3], 0 offen
	buffer_load_dword v104, v101, s[0:3], 0 offen offset:4
	ds_read_b64 v[105:106], v102
	v_add_u32_e32 v0, 1, v0
	v_cmp_lt_u32_e32 vcc, 46, v0
	v_add_u32_e32 v102, 8, v102
	s_or_b64 s[6:7], vcc, s[6:7]
	v_add_u32_e32 v101, 8, v101
	s_waitcnt vmcnt(0) lgkmcnt(0)
	v_fma_f64 v[99:100], v[103:104], v[105:106], v[99:100]
	s_andn2_b64 exec, exec, s[6:7]
	s_cbranch_execnz .LBB48_945
; %bb.946:
	s_or_b64 exec, exec, s[6:7]
.LBB48_947:
	s_or_b64 exec, exec, s[4:5]
	v_mov_b32_e32 v0, 0
	ds_read_b64 v[101:102], v0 offset:384
	s_waitcnt lgkmcnt(0)
	v_mul_f64 v[99:100], v[99:100], v[101:102]
	buffer_store_dword v100, off, s[0:3], 0 offset:388
	buffer_store_dword v99, off, s[0:3], 0 offset:384
.LBB48_948:
	s_or_b64 exec, exec, s[8:9]
.LBB48_949:
	buffer_load_dword v99, off, s[0:3], 0
	buffer_load_dword v100, off, s[0:3], 0 offset:4
	buffer_load_dword v101, off, s[0:3], 0 offset:8
	;; [unrolled: 1-line block ×23, first 2 shown]
	s_waitcnt vmcnt(22)
	global_store_dwordx2 v[95:96], v[99:100], off
	s_waitcnt vmcnt(21)
	global_store_dwordx2 v[97:98], v[101:102], off
	buffer_load_dword v95, off, s[0:3], 0 offset:96
	buffer_load_dword v96, off, s[0:3], 0 offset:100
	s_nop 0
	buffer_load_dword v97, off, s[0:3], 0 offset:104
	buffer_load_dword v98, off, s[0:3], 0 offset:108
	;; [unrolled: 1-line block ×6, first 2 shown]
	s_waitcnt vmcnt(28)
	global_store_dwordx2 v[1:2], v[103:104], off
	buffer_load_dword v0, off, s[0:3], 0 offset:128
	s_nop 0
	buffer_load_dword v1, off, s[0:3], 0 offset:132
	buffer_load_dword v103, off, s[0:3], 0 offset:136
	;; [unrolled: 1-line block ×3, first 2 shown]
	s_waitcnt vmcnt(31)
	global_store_dwordx2 v[3:4], v[105:106], off
	buffer_load_dword v2, off, s[0:3], 0 offset:144
	s_nop 0
	buffer_load_dword v3, off, s[0:3], 0 offset:148
	buffer_load_dword v105, off, s[0:3], 0 offset:152
	;; [unrolled: 1-line block ×3, first 2 shown]
	s_waitcnt vmcnt(34)
	global_store_dwordx2 v[5:6], v[107:108], off
	s_waitcnt vmcnt(33)
	global_store_dwordx2 v[11:12], v[109:110], off
	buffer_load_dword v4, off, s[0:3], 0 offset:160
	buffer_load_dword v5, off, s[0:3], 0 offset:164
	s_nop 0
	buffer_load_dword v11, off, s[0:3], 0 offset:168
	buffer_load_dword v12, off, s[0:3], 0 offset:172
	;; [unrolled: 1-line block ×6, first 2 shown]
	s_waitcnt vmcnt(40)
	global_store_dwordx2 v[7:8], v[111:112], off
	s_waitcnt vmcnt(39)
	global_store_dwordx2 v[13:14], v[113:114], off
	buffer_load_dword v6, off, s[0:3], 0 offset:192
	buffer_load_dword v7, off, s[0:3], 0 offset:196
	s_nop 0
	buffer_load_dword v13, off, s[0:3], 0 offset:200
	buffer_load_dword v14, off, s[0:3], 0 offset:204
	;; [unrolled: 1-line block ×6, first 2 shown]
	s_waitcnt vmcnt(40)
	global_store_dwordx2 v[9:10], v[115:116], off
	global_store_dwordx2 v[15:16], v[117:118], off
	;; [unrolled: 1-line block ×4, first 2 shown]
	s_waitcnt vmcnt(40)
	global_store_dwordx2 v[25:26], v[95:96], off
	s_waitcnt vmcnt(39)
	global_store_dwordx2 v[29:30], v[97:98], off
	;; [unrolled: 2-line block ×6, first 2 shown]
	buffer_load_dword v0, off, s[0:3], 0 offset:224
	buffer_load_dword v1, off, s[0:3], 0 offset:228
	;; [unrolled: 1-line block ×42, first 2 shown]
	s_waitcnt vmcnt(62)
	global_store_dwordx2 v[19:20], v[2:3], off
	global_store_dwordx2 v[23:24], v[105:106], off
	global_store_dwordx2 v[27:28], v[4:5], off
	global_store_dwordx2 v[31:32], v[11:12], off
	global_store_dwordx2 v[35:36], v[107:108], off
	global_store_dwordx2 v[39:40], v[109:110], off
	s_waitcnt vmcnt(62)
	global_store_dwordx2 v[43:44], v[6:7], off
	global_store_dwordx2 v[47:48], v[13:14], off
	s_waitcnt vmcnt(62)
	global_store_dwordx2 v[49:50], v[111:112], off
	s_waitcnt vmcnt(61)
	;; [unrolled: 2-line block ×23, first 2 shown]
	global_store_dwordx2 v[93:94], v[123:124], off
.LBB48_950:
	s_endpgm
	.section	.rodata,"a",@progbits
	.p2align	6, 0x0
	.amdhsa_kernel _ZN9rocsolver6v33100L18trti2_kernel_smallILi49EdPdEEv13rocblas_fill_17rocblas_diagonal_T1_iil
		.amdhsa_group_segment_fixed_size 792
		.amdhsa_private_segment_fixed_size 400
		.amdhsa_kernarg_size 32
		.amdhsa_user_sgpr_count 6
		.amdhsa_user_sgpr_private_segment_buffer 1
		.amdhsa_user_sgpr_dispatch_ptr 0
		.amdhsa_user_sgpr_queue_ptr 0
		.amdhsa_user_sgpr_kernarg_segment_ptr 1
		.amdhsa_user_sgpr_dispatch_id 0
		.amdhsa_user_sgpr_flat_scratch_init 0
		.amdhsa_user_sgpr_private_segment_size 0
		.amdhsa_uses_dynamic_stack 0
		.amdhsa_system_sgpr_private_segment_wavefront_offset 1
		.amdhsa_system_sgpr_workgroup_id_x 1
		.amdhsa_system_sgpr_workgroup_id_y 0
		.amdhsa_system_sgpr_workgroup_id_z 0
		.amdhsa_system_sgpr_workgroup_info 0
		.amdhsa_system_vgpr_workitem_id 0
		.amdhsa_next_free_vgpr 126
		.amdhsa_next_free_sgpr 62
		.amdhsa_reserve_vcc 1
		.amdhsa_reserve_flat_scratch 0
		.amdhsa_float_round_mode_32 0
		.amdhsa_float_round_mode_16_64 0
		.amdhsa_float_denorm_mode_32 3
		.amdhsa_float_denorm_mode_16_64 3
		.amdhsa_dx10_clamp 1
		.amdhsa_ieee_mode 1
		.amdhsa_fp16_overflow 0
		.amdhsa_exception_fp_ieee_invalid_op 0
		.amdhsa_exception_fp_denorm_src 0
		.amdhsa_exception_fp_ieee_div_zero 0
		.amdhsa_exception_fp_ieee_overflow 0
		.amdhsa_exception_fp_ieee_underflow 0
		.amdhsa_exception_fp_ieee_inexact 0
		.amdhsa_exception_int_div_zero 0
	.end_amdhsa_kernel
	.section	.text._ZN9rocsolver6v33100L18trti2_kernel_smallILi49EdPdEEv13rocblas_fill_17rocblas_diagonal_T1_iil,"axG",@progbits,_ZN9rocsolver6v33100L18trti2_kernel_smallILi49EdPdEEv13rocblas_fill_17rocblas_diagonal_T1_iil,comdat
.Lfunc_end48:
	.size	_ZN9rocsolver6v33100L18trti2_kernel_smallILi49EdPdEEv13rocblas_fill_17rocblas_diagonal_T1_iil, .Lfunc_end48-_ZN9rocsolver6v33100L18trti2_kernel_smallILi49EdPdEEv13rocblas_fill_17rocblas_diagonal_T1_iil
                                        ; -- End function
	.set _ZN9rocsolver6v33100L18trti2_kernel_smallILi49EdPdEEv13rocblas_fill_17rocblas_diagonal_T1_iil.num_vgpr, 126
	.set _ZN9rocsolver6v33100L18trti2_kernel_smallILi49EdPdEEv13rocblas_fill_17rocblas_diagonal_T1_iil.num_agpr, 0
	.set _ZN9rocsolver6v33100L18trti2_kernel_smallILi49EdPdEEv13rocblas_fill_17rocblas_diagonal_T1_iil.numbered_sgpr, 62
	.set _ZN9rocsolver6v33100L18trti2_kernel_smallILi49EdPdEEv13rocblas_fill_17rocblas_diagonal_T1_iil.num_named_barrier, 0
	.set _ZN9rocsolver6v33100L18trti2_kernel_smallILi49EdPdEEv13rocblas_fill_17rocblas_diagonal_T1_iil.private_seg_size, 400
	.set _ZN9rocsolver6v33100L18trti2_kernel_smallILi49EdPdEEv13rocblas_fill_17rocblas_diagonal_T1_iil.uses_vcc, 1
	.set _ZN9rocsolver6v33100L18trti2_kernel_smallILi49EdPdEEv13rocblas_fill_17rocblas_diagonal_T1_iil.uses_flat_scratch, 0
	.set _ZN9rocsolver6v33100L18trti2_kernel_smallILi49EdPdEEv13rocblas_fill_17rocblas_diagonal_T1_iil.has_dyn_sized_stack, 0
	.set _ZN9rocsolver6v33100L18trti2_kernel_smallILi49EdPdEEv13rocblas_fill_17rocblas_diagonal_T1_iil.has_recursion, 0
	.set _ZN9rocsolver6v33100L18trti2_kernel_smallILi49EdPdEEv13rocblas_fill_17rocblas_diagonal_T1_iil.has_indirect_call, 0
	.section	.AMDGPU.csdata,"",@progbits
; Kernel info:
; codeLenInByte = 28844
; TotalNumSgprs: 66
; NumVgprs: 126
; ScratchSize: 400
; MemoryBound: 0
; FloatMode: 240
; IeeeMode: 1
; LDSByteSize: 792 bytes/workgroup (compile time only)
; SGPRBlocks: 8
; VGPRBlocks: 31
; NumSGPRsForWavesPerEU: 66
; NumVGPRsForWavesPerEU: 126
; Occupancy: 2
; WaveLimiterHint : 0
; COMPUTE_PGM_RSRC2:SCRATCH_EN: 1
; COMPUTE_PGM_RSRC2:USER_SGPR: 6
; COMPUTE_PGM_RSRC2:TRAP_HANDLER: 0
; COMPUTE_PGM_RSRC2:TGID_X_EN: 1
; COMPUTE_PGM_RSRC2:TGID_Y_EN: 0
; COMPUTE_PGM_RSRC2:TGID_Z_EN: 0
; COMPUTE_PGM_RSRC2:TIDIG_COMP_CNT: 0
	.section	.text._ZN9rocsolver6v33100L18trti2_kernel_smallILi50EdPdEEv13rocblas_fill_17rocblas_diagonal_T1_iil,"axG",@progbits,_ZN9rocsolver6v33100L18trti2_kernel_smallILi50EdPdEEv13rocblas_fill_17rocblas_diagonal_T1_iil,comdat
	.globl	_ZN9rocsolver6v33100L18trti2_kernel_smallILi50EdPdEEv13rocblas_fill_17rocblas_diagonal_T1_iil ; -- Begin function _ZN9rocsolver6v33100L18trti2_kernel_smallILi50EdPdEEv13rocblas_fill_17rocblas_diagonal_T1_iil
	.p2align	8
	.type	_ZN9rocsolver6v33100L18trti2_kernel_smallILi50EdPdEEv13rocblas_fill_17rocblas_diagonal_T1_iil,@function
_ZN9rocsolver6v33100L18trti2_kernel_smallILi50EdPdEEv13rocblas_fill_17rocblas_diagonal_T1_iil: ; @_ZN9rocsolver6v33100L18trti2_kernel_smallILi50EdPdEEv13rocblas_fill_17rocblas_diagonal_T1_iil
; %bb.0:
	s_add_u32 s0, s0, s7
	s_addc_u32 s1, s1, 0
	v_cmp_gt_u32_e32 vcc, 50, v0
	s_and_saveexec_b64 s[8:9], vcc
	s_cbranch_execz .LBB49_970
; %bb.1:
	s_load_dwordx8 s[8:15], s[4:5], 0x0
	s_ashr_i32 s7, s6, 31
	v_lshlrev_b32_e32 v103, 3, v0
	s_waitcnt lgkmcnt(0)
	s_ashr_i32 s5, s12, 31
	s_mov_b32 s4, s12
	s_mul_hi_u32 s12, s14, s6
	s_mul_i32 s7, s14, s7
	s_add_i32 s7, s12, s7
	s_mul_i32 s12, s15, s6
	s_add_i32 s7, s7, s12
	s_mul_i32 s6, s14, s6
	s_lshl_b64 s[6:7], s[6:7], 3
	s_add_u32 s6, s10, s6
	s_addc_u32 s7, s11, s7
	s_lshl_b64 s[4:5], s[4:5], 3
	s_add_u32 s4, s6, s4
	s_addc_u32 s5, s7, s5
	s_add_i32 s6, s13, s13
	v_add_u32_e32 v3, s6, v0
	v_ashrrev_i32_e32 v4, 31, v3
	v_lshlrev_b64 v[1:2], 3, v[3:4]
	v_mov_b32_e32 v4, s5
	v_add_co_u32_e32 v1, vcc, s4, v1
	v_add_u32_e32 v3, s13, v3
	v_addc_co_u32_e32 v2, vcc, v4, v2, vcc
	v_ashrrev_i32_e32 v4, 31, v3
	v_lshlrev_b64 v[4:5], 3, v[3:4]
	v_mov_b32_e32 v6, s5
	v_add_co_u32_e32 v7, vcc, s4, v4
	v_addc_co_u32_e32 v8, vcc, v6, v5, vcc
	v_add_u32_e32 v5, s13, v3
	v_ashrrev_i32_e32 v6, 31, v5
	v_lshlrev_b64 v[3:4], 3, v[5:6]
	v_mov_b32_e32 v6, s5
	v_add_co_u32_e32 v3, vcc, s4, v3
	v_add_u32_e32 v5, s13, v5
	v_addc_co_u32_e32 v4, vcc, v6, v4, vcc
	v_ashrrev_i32_e32 v6, 31, v5
	v_lshlrev_b64 v[9:10], 3, v[5:6]
	v_mov_b32_e32 v6, s5
	v_add_co_u32_e32 v11, vcc, s4, v9
	v_add_u32_e32 v9, s13, v5
	v_addc_co_u32_e32 v12, vcc, v6, v10, vcc
	;; [unrolled: 6-line block ×3, first 2 shown]
	v_ashrrev_i32_e32 v10, 31, v9
	v_lshlrev_b64 v[13:14], 3, v[9:10]
	v_add_u32_e32 v15, s13, v9
	v_mov_b32_e32 v10, s5
	v_add_co_u32_e32 v13, vcc, s4, v13
	v_ashrrev_i32_e32 v16, 31, v15
	v_addc_co_u32_e32 v14, vcc, v10, v14, vcc
	v_lshlrev_b64 v[9:10], 3, v[15:16]
	v_add_u32_e32 v17, s13, v15
	v_mov_b32_e32 v16, s5
	v_add_co_u32_e32 v9, vcc, s4, v9
	v_ashrrev_i32_e32 v18, 31, v17
	v_addc_co_u32_e32 v10, vcc, v16, v10, vcc
	v_lshlrev_b64 v[15:16], 3, v[17:18]
	v_add_u32_e32 v19, s13, v17
	v_mov_b32_e32 v18, s5
	v_add_co_u32_e32 v15, vcc, s4, v15
	v_ashrrev_i32_e32 v20, 31, v19
	v_addc_co_u32_e32 v16, vcc, v18, v16, vcc
	v_lshlrev_b64 v[17:18], 3, v[19:20]
	v_mov_b32_e32 v21, s5
	v_add_co_u32_e32 v17, vcc, s4, v17
	v_addc_co_u32_e32 v18, vcc, v21, v18, vcc
	v_add_u32_e32 v21, s13, v19
	v_ashrrev_i32_e32 v22, 31, v21
	v_lshlrev_b64 v[19:20], 3, v[21:22]
	v_add_u32_e32 v21, s13, v21
	v_mov_b32_e32 v23, s5
	v_add_co_u32_e32 v19, vcc, s4, v19
	v_ashrrev_i32_e32 v22, 31, v21
	v_addc_co_u32_e32 v20, vcc, v23, v20, vcc
	v_lshlrev_b64 v[23:24], 3, v[21:22]
	v_add_u32_e32 v21, s13, v21
	v_mov_b32_e32 v25, s5
	v_add_co_u32_e32 v23, vcc, s4, v23
	v_ashrrev_i32_e32 v22, 31, v21
	v_addc_co_u32_e32 v24, vcc, v25, v24, vcc
	;; [unrolled: 6-line block ×4, first 2 shown]
	v_lshlrev_b64 v[25:26], 3, v[21:22]
	v_add_u32_e32 v21, s13, v21
	v_add_co_u32_e32 v35, vcc, s4, v25
	v_ashrrev_i32_e32 v22, 31, v21
	v_addc_co_u32_e32 v36, vcc, v29, v26, vcc
	v_lshlrev_b64 v[25:26], 3, v[21:22]
	v_add_u32_e32 v21, s13, v21
	v_add_co_u32_e32 v39, vcc, s4, v25
	v_ashrrev_i32_e32 v22, 31, v21
	v_addc_co_u32_e32 v40, vcc, v29, v26, vcc
	;; [unrolled: 5-line block ×3, first 2 shown]
	v_lshlrev_b64 v[25:26], 3, v[21:22]
	v_mov_b32_e32 v33, s5
	v_add_co_u32_e32 v47, vcc, s4, v25
	v_add_u32_e32 v25, s13, v21
	v_addc_co_u32_e32 v48, vcc, v29, v26, vcc
	v_ashrrev_i32_e32 v26, 31, v25
	v_lshlrev_b64 v[21:22], 3, v[25:26]
	v_mov_b32_e32 v37, s5
	v_add_co_u32_e32 v21, vcc, s4, v21
	v_addc_co_u32_e32 v22, vcc, v29, v22, vcc
	v_add_u32_e32 v29, s13, v25
	v_ashrrev_i32_e32 v30, 31, v29
	v_lshlrev_b64 v[25:26], 3, v[29:30]
	v_mov_b32_e32 v41, s5
	v_add_co_u32_e32 v25, vcc, s4, v25
	v_addc_co_u32_e32 v26, vcc, v33, v26, vcc
	v_add_u32_e32 v33, s13, v29
	;; [unrolled: 6-line block ×20, first 2 shown]
	v_ashrrev_i32_e32 v78, 31, v77
	v_lshlrev_b64 v[75:76], 3, v[77:78]
	global_load_dwordx2 v[101:102], v103, s[4:5]
	global_load_dwordx2 v[106:107], v[1:2], off
	v_add_co_u32_e32 v75, vcc, s4, v75
	v_addc_co_u32_e32 v76, vcc, v79, v76, vcc
	v_add_u32_e32 v79, s13, v77
	v_ashrrev_i32_e32 v80, 31, v79
	v_lshlrev_b64 v[77:78], 3, v[79:80]
	s_ashr_i32 s7, s13, 31
	v_add_co_u32_e32 v77, vcc, s4, v77
	v_addc_co_u32_e32 v78, vcc, v81, v78, vcc
	v_add_u32_e32 v81, s13, v79
	v_ashrrev_i32_e32 v82, 31, v81
	v_lshlrev_b64 v[79:80], 3, v[81:82]
	v_mov_b32_e32 v82, s5
	v_add_co_u32_e32 v97, vcc, s4, v103
	s_mov_b32 s6, s13
	v_addc_co_u32_e32 v98, vcc, 0, v82, vcc
	s_lshl_b64 s[6:7], s[6:7], 3
	v_mov_b32_e32 v82, s7
	v_add_co_u32_e32 v99, vcc, s6, v97
	v_addc_co_u32_e32 v100, vcc, v98, v82, vcc
	global_load_dwordx2 v[104:105], v[99:100], off
	global_load_dwordx2 v[108:109], v[7:8], off
	;; [unrolled: 1-line block ×7, first 2 shown]
	v_mov_b32_e32 v83, s5
	v_add_co_u32_e32 v79, vcc, s4, v79
	v_addc_co_u32_e32 v80, vcc, v83, v80, vcc
	v_add_u32_e32 v83, s13, v81
	v_ashrrev_i32_e32 v84, 31, v83
	v_lshlrev_b64 v[81:82], 3, v[83:84]
	v_mov_b32_e32 v85, s5
	v_add_co_u32_e32 v81, vcc, s4, v81
	v_addc_co_u32_e32 v82, vcc, v85, v82, vcc
	v_add_u32_e32 v85, s13, v83
	v_ashrrev_i32_e32 v86, 31, v85
	v_lshlrev_b64 v[83:84], 3, v[85:86]
	;; [unrolled: 6-line block ×7, first 2 shown]
	v_add_u32_e32 v95, s13, v95
	v_ashrrev_i32_e32 v96, 31, v95
	v_mov_b32_e32 v120, s5
	v_add_co_u32_e32 v93, vcc, s4, v93
	v_lshlrev_b64 v[95:96], 3, v[95:96]
	v_addc_co_u32_e32 v94, vcc, v120, v94, vcc
	v_add_co_u32_e32 v95, vcc, s4, v95
	v_addc_co_u32_e32 v96, vcc, v120, v96, vcc
	global_load_dwordx2 v[120:121], v[95:96], off
	s_waitcnt vmcnt(9)
	buffer_store_dword v102, off, s[0:3], 0 offset:4
	buffer_store_dword v101, off, s[0:3], 0
	global_load_dwordx2 v[101:102], v[15:16], off
	s_cmpk_lg_i32 s9, 0x84
	global_load_dwordx2 v[122:123], v[17:18], off
	s_cselect_b64 s[10:11], -1, 0
	s_waitcnt vmcnt(11)
	buffer_store_dword v105, off, s[0:3], 0 offset:12
	buffer_store_dword v104, off, s[0:3], 0 offset:8
	global_load_dwordx2 v[104:105], v[19:20], off
	s_nop 0
	buffer_store_dword v107, off, s[0:3], 0 offset:20
	buffer_store_dword v106, off, s[0:3], 0 offset:16
	global_load_dwordx2 v[106:107], v[23:24], off
	s_waitcnt vmcnt(16)
	buffer_store_dword v109, off, s[0:3], 0 offset:28
	buffer_store_dword v108, off, s[0:3], 0 offset:24
	global_load_dwordx2 v[108:109], v[27:28], off
	s_waitcnt vmcnt(18)
	;; [unrolled: 4-line block ×7, first 2 shown]
	buffer_store_dword v101, off, s[0:3], 0 offset:72
	buffer_store_dword v102, off, s[0:3], 0 offset:76
	s_waitcnt vmcnt(26)
	buffer_store_dword v122, off, s[0:3], 0 offset:80
	buffer_store_dword v123, off, s[0:3], 0 offset:84
	s_waitcnt vmcnt(25)
	buffer_store_dword v104, off, s[0:3], 0 offset:88
	global_load_dwordx2 v[101:102], v[21:22], off
	global_load_dwordx2 v[122:123], v[29:30], off
	s_cmpk_eq_i32 s9, 0x84
	buffer_store_dword v105, off, s[0:3], 0 offset:92
	global_load_dwordx2 v[104:105], v[25:26], off
	s_waitcnt vmcnt(27)
	buffer_store_dword v106, off, s[0:3], 0 offset:96
	buffer_store_dword v107, off, s[0:3], 0 offset:100
	global_load_dwordx2 v[106:107], v[33:34], off
	s_waitcnt vmcnt(27)
	buffer_store_dword v108, off, s[0:3], 0 offset:104
	;; [unrolled: 4-line block ×8, first 2 shown]
	buffer_store_dword v101, off, s[0:3], 0 offset:152
	s_waitcnt vmcnt(23)
	buffer_store_dword v105, off, s[0:3], 0 offset:164
	buffer_store_dword v104, off, s[0:3], 0 offset:160
	;; [unrolled: 1-line block ×4, first 2 shown]
	s_waitcnt vmcnt(24)
	buffer_store_dword v106, off, s[0:3], 0 offset:176
	global_load_dwordx2 v[101:102], v[55:56], off
	global_load_dwordx2 v[104:105], v[57:58], off
	;; [unrolled: 1-line block ×3, first 2 shown]
	s_nop 0
	buffer_store_dword v107, off, s[0:3], 0 offset:180
	global_load_dwordx2 v[106:107], v[59:60], off
	s_waitcnt vmcnt(27)
	buffer_store_dword v108, off, s[0:3], 0 offset:184
	buffer_store_dword v109, off, s[0:3], 0 offset:188
	global_load_dwordx2 v[108:109], v[61:62], off
	s_waitcnt vmcnt(27)
	buffer_store_dword v110, off, s[0:3], 0 offset:192
	;; [unrolled: 4-line block ×7, first 2 shown]
	buffer_store_dword v102, off, s[0:3], 0 offset:236
	s_waitcnt vmcnt(23)
	buffer_store_dword v104, off, s[0:3], 0 offset:240
	buffer_store_dword v105, off, s[0:3], 0 offset:244
	s_waitcnt vmcnt(22)
	buffer_store_dword v107, off, s[0:3], 0 offset:252
	;; [unrolled: 3-line block ×3, first 2 shown]
	buffer_store_dword v108, off, s[0:3], 0 offset:256
	buffer_store_dword v122, off, s[0:3], 0 offset:264
	;; [unrolled: 1-line block ×3, first 2 shown]
	s_waitcnt vmcnt(22)
	buffer_store_dword v110, off, s[0:3], 0 offset:272
	global_load_dwordx2 v[101:102], v[75:76], off
	global_load_dwordx2 v[104:105], v[77:78], off
	;; [unrolled: 1-line block ×5, first 2 shown]
	s_nop 0
	buffer_store_dword v111, off, s[0:3], 0 offset:276
	global_load_dwordx2 v[110:111], v[83:84], off
	s_waitcnt vmcnt(27)
	buffer_store_dword v112, off, s[0:3], 0 offset:280
	buffer_store_dword v113, off, s[0:3], 0 offset:284
	global_load_dwordx2 v[112:113], v[85:86], off
	s_waitcnt vmcnt(27)
	buffer_store_dword v114, off, s[0:3], 0 offset:288
	;; [unrolled: 4-line block ×5, first 2 shown]
	buffer_store_dword v102, off, s[0:3], 0 offset:316
	s_waitcnt vmcnt(19)
	buffer_store_dword v104, off, s[0:3], 0 offset:320
	buffer_store_dword v105, off, s[0:3], 0 offset:324
	s_waitcnt vmcnt(20)
	buffer_store_dword v106, off, s[0:3], 0 offset:328
	;; [unrolled: 3-line block ×7, first 2 shown]
	buffer_store_dword v117, off, s[0:3], 0 offset:372
	buffer_store_dword v122, off, s[0:3], 0 offset:376
	;; [unrolled: 1-line block ×3, first 2 shown]
	s_waitcnt vmcnt(18)
	buffer_store_dword v118, off, s[0:3], 0 offset:384
	buffer_store_dword v119, off, s[0:3], 0 offset:388
	;; [unrolled: 1-line block ×3, first 2 shown]
	v_mov_b32_e32 v101, 0
	v_mov_b32_e32 v102, 0xbff00000
	buffer_store_dword v120, off, s[0:3], 0 offset:392
	s_cbranch_scc1 .LBB49_3
; %bb.2:
	v_mov_b32_e32 v101, 0
	v_lshl_add_u32 v112, v0, 3, v101
	buffer_load_dword v101, v112, s[0:3], 0 offen
	buffer_load_dword v102, v112, s[0:3], 0 offen offset:4
	s_waitcnt vmcnt(0)
	v_div_scale_f64 v[104:105], s[4:5], v[101:102], v[101:102], 1.0
	v_rcp_f64_e32 v[106:107], v[104:105]
	v_fma_f64 v[108:109], -v[104:105], v[106:107], 1.0
	v_fma_f64 v[106:107], v[106:107], v[108:109], v[106:107]
	v_div_scale_f64 v[108:109], vcc, 1.0, v[101:102], 1.0
	v_fma_f64 v[110:111], -v[104:105], v[106:107], 1.0
	v_fma_f64 v[106:107], v[106:107], v[110:111], v[106:107]
	v_mul_f64 v[110:111], v[108:109], v[106:107]
	v_fma_f64 v[104:105], -v[104:105], v[110:111], v[108:109]
	v_div_fmas_f64 v[104:105], v[104:105], v[106:107], v[110:111]
	v_div_fixup_f64 v[101:102], v[104:105], v[101:102], 1.0
	buffer_store_dword v101, v112, s[0:3], 0 offen
	buffer_store_dword v102, v112, s[0:3], 0 offen offset:4
	v_xor_b32_e32 v102, 0x80000000, v102
.LBB49_3:
	s_cmpk_eq_i32 s8, 0x79
	v_add_u32_e32 v104, 0x190, v103
	v_mov_b32_e32 v105, v103
	s_mov_b64 s[4:5], -1
	ds_write_b64 v103, v[101:102]
	s_cbranch_scc1 .LBB49_487
; %bb.4:
	buffer_load_dword v101, off, s[0:3], 0 offset:384
	buffer_load_dword v102, off, s[0:3], 0 offset:388
	s_movk_i32 s12, 0x48
	s_movk_i32 s13, 0x50
	;; [unrolled: 1-line block ×39, first 2 shown]
	v_cmp_eq_u32_e64 s[4:5], 49, v0
	s_waitcnt vmcnt(0)
	ds_write_b64 v104, v[101:102]
	s_waitcnt lgkmcnt(0)
	; wave barrier
	s_and_saveexec_b64 s[6:7], s[4:5]
	s_cbranch_execz .LBB49_10
; %bb.5:
	s_and_b64 vcc, exec, s[10:11]
	s_cbranch_vccz .LBB49_7
; %bb.6:
	buffer_load_dword v101, v105, s[0:3], 0 offen
	buffer_load_dword v102, v105, s[0:3], 0 offen offset:4
	ds_read_b64 v[106:107], v104
	s_waitcnt vmcnt(0) lgkmcnt(0)
	v_mul_f64 v[101:102], v[101:102], v[106:107]
	s_cbranch_execz .LBB49_8
	s_branch .LBB49_9
.LBB49_7:
                                        ; implicit-def: $vgpr101_vgpr102
.LBB49_8:
	ds_read_b64 v[101:102], v104
.LBB49_9:
	v_mov_b32_e32 v106, 0
	ds_read_b64 v[106:107], v106 offset:384
	s_waitcnt lgkmcnt(0)
	v_mul_f64 v[101:102], v[101:102], v[106:107]
	buffer_store_dword v102, off, s[0:3], 0 offset:388
	buffer_store_dword v101, off, s[0:3], 0 offset:384
.LBB49_10:
	s_or_b64 exec, exec, s[6:7]
	buffer_load_dword v101, off, s[0:3], 0 offset:376
	buffer_load_dword v102, off, s[0:3], 0 offset:380
	s_or_b32 s14, 0, 8
	s_mov_b32 s15, 16
	s_mov_b32 s16, 24
	;; [unrolled: 1-line block ×9, first 2 shown]
	v_cmp_lt_u32_e64 s[6:7], 47, v0
	s_waitcnt vmcnt(0)
	ds_write_b64 v104, v[101:102]
	s_waitcnt lgkmcnt(0)
	; wave barrier
	s_and_saveexec_b64 s[8:9], s[6:7]
	s_cbranch_execz .LBB49_16
; %bb.11:
	s_andn2_b64 vcc, exec, s[10:11]
	s_cbranch_vccnz .LBB49_13
; %bb.12:
	buffer_load_dword v101, v105, s[0:3], 0 offen
	buffer_load_dword v102, v105, s[0:3], 0 offen offset:4
	ds_read_b64 v[106:107], v104
	s_waitcnt vmcnt(0) lgkmcnt(0)
	v_mul_f64 v[101:102], v[101:102], v[106:107]
	s_cbranch_execz .LBB49_14
	s_branch .LBB49_15
.LBB49_13:
                                        ; implicit-def: $vgpr101_vgpr102
.LBB49_14:
	ds_read_b64 v[101:102], v104
.LBB49_15:
	buffer_load_dword v110, off, s[0:3], 0 offset:384
	buffer_load_dword v111, off, s[0:3], 0 offset:388
	v_mov_b32_e32 v106, 0
	ds_read2_b64 v[106:109], v106 offset0:47 offset1:98
	s_waitcnt vmcnt(0) lgkmcnt(0)
	v_fma_f64 v[108:109], v[110:111], v[108:109], v[101:102]
	v_cndmask_b32_e64 v102, v102, v109, s[4:5]
	v_cndmask_b32_e64 v101, v101, v108, s[4:5]
	v_mul_f64 v[101:102], v[101:102], v[106:107]
	buffer_store_dword v102, off, s[0:3], 0 offset:380
	buffer_store_dword v101, off, s[0:3], 0 offset:376
.LBB49_16:
	s_or_b64 exec, exec, s[8:9]
	buffer_load_dword v101, off, s[0:3], 0 offset:368
	buffer_load_dword v102, off, s[0:3], 0 offset:372
	v_cmp_lt_u32_e64 s[4:5], 46, v0
	s_waitcnt vmcnt(0)
	ds_write_b64 v104, v[101:102]
	s_waitcnt lgkmcnt(0)
	; wave barrier
	s_and_saveexec_b64 s[8:9], s[4:5]
	s_cbranch_execz .LBB49_26
; %bb.17:
	s_andn2_b64 vcc, exec, s[10:11]
	s_cbranch_vccnz .LBB49_19
; %bb.18:
	buffer_load_dword v101, v105, s[0:3], 0 offen
	buffer_load_dword v102, v105, s[0:3], 0 offen offset:4
	ds_read_b64 v[106:107], v104
	s_waitcnt vmcnt(0) lgkmcnt(0)
	v_mul_f64 v[101:102], v[101:102], v[106:107]
	s_cbranch_execz .LBB49_20
	s_branch .LBB49_21
.LBB49_19:
                                        ; implicit-def: $vgpr101_vgpr102
.LBB49_20:
	ds_read_b64 v[101:102], v104
.LBB49_21:
	s_and_saveexec_b64 s[12:13], s[6:7]
	s_cbranch_execz .LBB49_25
; %bb.22:
	v_subrev_u32_e32 v106, 47, v0
	s_movk_i32 s62, 0x308
	s_mov_b64 s[6:7], 0
.LBB49_23:                              ; =>This Inner Loop Header: Depth=1
	v_mov_b32_e32 v108, s61
	buffer_load_dword v107, v108, s[0:3], 0 offen
	s_nop 0
	buffer_load_dword v108, v108, s[0:3], 0 offen offset:4
	v_mov_b32_e32 v109, s62
	ds_read_b64 v[109:110], v109
	v_add_u32_e32 v106, -1, v106
	s_add_i32 s62, s62, 8
	s_add_i32 s61, s61, 8
	v_cmp_eq_u32_e32 vcc, 0, v106
	s_or_b64 s[6:7], vcc, s[6:7]
	s_waitcnt vmcnt(0) lgkmcnt(0)
	v_fma_f64 v[101:102], v[107:108], v[109:110], v[101:102]
	s_andn2_b64 exec, exec, s[6:7]
	s_cbranch_execnz .LBB49_23
; %bb.24:
	s_or_b64 exec, exec, s[6:7]
.LBB49_25:
	s_or_b64 exec, exec, s[12:13]
	v_mov_b32_e32 v106, 0
	ds_read_b64 v[106:107], v106 offset:368
	s_waitcnt lgkmcnt(0)
	v_mul_f64 v[101:102], v[101:102], v[106:107]
	buffer_store_dword v102, off, s[0:3], 0 offset:372
	buffer_store_dword v101, off, s[0:3], 0 offset:368
.LBB49_26:
	s_or_b64 exec, exec, s[8:9]
	buffer_load_dword v101, off, s[0:3], 0 offset:360
	buffer_load_dword v102, off, s[0:3], 0 offset:364
	v_cmp_lt_u32_e64 s[6:7], 45, v0
	s_waitcnt vmcnt(0)
	ds_write_b64 v104, v[101:102]
	s_waitcnt lgkmcnt(0)
	; wave barrier
	s_and_saveexec_b64 s[8:9], s[6:7]
	s_cbranch_execz .LBB49_36
; %bb.27:
	s_andn2_b64 vcc, exec, s[10:11]
	s_cbranch_vccnz .LBB49_29
; %bb.28:
	buffer_load_dword v101, v105, s[0:3], 0 offen
	buffer_load_dword v102, v105, s[0:3], 0 offen offset:4
	ds_read_b64 v[106:107], v104
	s_waitcnt vmcnt(0) lgkmcnt(0)
	v_mul_f64 v[101:102], v[101:102], v[106:107]
	s_cbranch_execz .LBB49_30
	s_branch .LBB49_31
.LBB49_29:
                                        ; implicit-def: $vgpr101_vgpr102
.LBB49_30:
	ds_read_b64 v[101:102], v104
.LBB49_31:
	s_and_saveexec_b64 s[12:13], s[4:5]
	s_cbranch_execz .LBB49_35
; %bb.32:
	v_subrev_u32_e32 v106, 46, v0
	s_movk_i32 s61, 0x300
	s_mov_b64 s[4:5], 0
.LBB49_33:                              ; =>This Inner Loop Header: Depth=1
	v_mov_b32_e32 v108, s60
	buffer_load_dword v107, v108, s[0:3], 0 offen
	s_nop 0
	buffer_load_dword v108, v108, s[0:3], 0 offen offset:4
	v_mov_b32_e32 v109, s61
	ds_read_b64 v[109:110], v109
	v_add_u32_e32 v106, -1, v106
	s_add_i32 s61, s61, 8
	s_add_i32 s60, s60, 8
	v_cmp_eq_u32_e32 vcc, 0, v106
	s_or_b64 s[4:5], vcc, s[4:5]
	s_waitcnt vmcnt(0) lgkmcnt(0)
	v_fma_f64 v[101:102], v[107:108], v[109:110], v[101:102]
	s_andn2_b64 exec, exec, s[4:5]
	s_cbranch_execnz .LBB49_33
; %bb.34:
	s_or_b64 exec, exec, s[4:5]
.LBB49_35:
	s_or_b64 exec, exec, s[12:13]
	v_mov_b32_e32 v106, 0
	ds_read_b64 v[106:107], v106 offset:360
	s_waitcnt lgkmcnt(0)
	v_mul_f64 v[101:102], v[101:102], v[106:107]
	buffer_store_dword v102, off, s[0:3], 0 offset:364
	buffer_store_dword v101, off, s[0:3], 0 offset:360
.LBB49_36:
	;; [unrolled: 59-line block ×8, first 2 shown]
	s_or_b64 exec, exec, s[8:9]
	buffer_load_dword v101, off, s[0:3], 0 offset:304
	buffer_load_dword v102, off, s[0:3], 0 offset:308
	v_cmp_lt_u32_e64 s[4:5], 38, v0
	s_waitcnt vmcnt(0)
	ds_write_b64 v104, v[101:102]
	s_waitcnt lgkmcnt(0)
	; wave barrier
	s_and_saveexec_b64 s[8:9], s[4:5]
	s_cbranch_execz .LBB49_106
; %bb.97:
	s_andn2_b64 vcc, exec, s[10:11]
	s_cbranch_vccnz .LBB49_99
; %bb.98:
	buffer_load_dword v101, v105, s[0:3], 0 offen
	buffer_load_dword v102, v105, s[0:3], 0 offen offset:4
	ds_read_b64 v[106:107], v104
	s_waitcnt vmcnt(0) lgkmcnt(0)
	v_mul_f64 v[101:102], v[101:102], v[106:107]
	s_cbranch_execz .LBB49_100
	s_branch .LBB49_101
.LBB49_99:
                                        ; implicit-def: $vgpr101_vgpr102
.LBB49_100:
	ds_read_b64 v[101:102], v104
.LBB49_101:
	s_and_saveexec_b64 s[12:13], s[6:7]
	s_cbranch_execz .LBB49_105
; %bb.102:
	v_subrev_u32_e32 v106, 39, v0
	s_movk_i32 s54, 0x2c8
	s_mov_b64 s[6:7], 0
.LBB49_103:                             ; =>This Inner Loop Header: Depth=1
	v_mov_b32_e32 v108, s53
	buffer_load_dword v107, v108, s[0:3], 0 offen
	s_nop 0
	buffer_load_dword v108, v108, s[0:3], 0 offen offset:4
	v_mov_b32_e32 v109, s54
	ds_read_b64 v[109:110], v109
	v_add_u32_e32 v106, -1, v106
	s_add_i32 s54, s54, 8
	s_add_i32 s53, s53, 8
	v_cmp_eq_u32_e32 vcc, 0, v106
	s_or_b64 s[6:7], vcc, s[6:7]
	s_waitcnt vmcnt(0) lgkmcnt(0)
	v_fma_f64 v[101:102], v[107:108], v[109:110], v[101:102]
	s_andn2_b64 exec, exec, s[6:7]
	s_cbranch_execnz .LBB49_103
; %bb.104:
	s_or_b64 exec, exec, s[6:7]
.LBB49_105:
	s_or_b64 exec, exec, s[12:13]
	v_mov_b32_e32 v106, 0
	ds_read_b64 v[106:107], v106 offset:304
	s_waitcnt lgkmcnt(0)
	v_mul_f64 v[101:102], v[101:102], v[106:107]
	buffer_store_dword v102, off, s[0:3], 0 offset:308
	buffer_store_dword v101, off, s[0:3], 0 offset:304
.LBB49_106:
	s_or_b64 exec, exec, s[8:9]
	buffer_load_dword v101, off, s[0:3], 0 offset:296
	buffer_load_dword v102, off, s[0:3], 0 offset:300
	v_cmp_lt_u32_e64 s[6:7], 37, v0
	s_waitcnt vmcnt(0)
	ds_write_b64 v104, v[101:102]
	s_waitcnt lgkmcnt(0)
	; wave barrier
	s_and_saveexec_b64 s[8:9], s[6:7]
	s_cbranch_execz .LBB49_116
; %bb.107:
	s_andn2_b64 vcc, exec, s[10:11]
	s_cbranch_vccnz .LBB49_109
; %bb.108:
	buffer_load_dword v101, v105, s[0:3], 0 offen
	buffer_load_dword v102, v105, s[0:3], 0 offen offset:4
	ds_read_b64 v[106:107], v104
	s_waitcnt vmcnt(0) lgkmcnt(0)
	v_mul_f64 v[101:102], v[101:102], v[106:107]
	s_cbranch_execz .LBB49_110
	s_branch .LBB49_111
.LBB49_109:
                                        ; implicit-def: $vgpr101_vgpr102
.LBB49_110:
	ds_read_b64 v[101:102], v104
.LBB49_111:
	s_and_saveexec_b64 s[12:13], s[4:5]
	s_cbranch_execz .LBB49_115
; %bb.112:
	v_subrev_u32_e32 v106, 38, v0
	s_movk_i32 s53, 0x2c0
	s_mov_b64 s[4:5], 0
.LBB49_113:                             ; =>This Inner Loop Header: Depth=1
	v_mov_b32_e32 v108, s52
	buffer_load_dword v107, v108, s[0:3], 0 offen
	s_nop 0
	buffer_load_dword v108, v108, s[0:3], 0 offen offset:4
	v_mov_b32_e32 v109, s53
	ds_read_b64 v[109:110], v109
	v_add_u32_e32 v106, -1, v106
	s_add_i32 s53, s53, 8
	s_add_i32 s52, s52, 8
	v_cmp_eq_u32_e32 vcc, 0, v106
	s_or_b64 s[4:5], vcc, s[4:5]
	s_waitcnt vmcnt(0) lgkmcnt(0)
	v_fma_f64 v[101:102], v[107:108], v[109:110], v[101:102]
	s_andn2_b64 exec, exec, s[4:5]
	s_cbranch_execnz .LBB49_113
; %bb.114:
	s_or_b64 exec, exec, s[4:5]
.LBB49_115:
	s_or_b64 exec, exec, s[12:13]
	v_mov_b32_e32 v106, 0
	ds_read_b64 v[106:107], v106 offset:296
	s_waitcnt lgkmcnt(0)
	v_mul_f64 v[101:102], v[101:102], v[106:107]
	buffer_store_dword v102, off, s[0:3], 0 offset:300
	buffer_store_dword v101, off, s[0:3], 0 offset:296
.LBB49_116:
	;; [unrolled: 59-line block ×3, first 2 shown]
	s_or_b64 exec, exec, s[4:5]
	buffer_load_dword v101, off, s[0:3], 0 offset:280
	buffer_load_dword v102, off, s[0:3], 0 offset:284
	v_cmp_lt_u32_e64 s[4:5], 35, v0
	s_waitcnt vmcnt(0)
	ds_write_b64 v104, v[101:102]
	s_waitcnt lgkmcnt(0)
	; wave barrier
	s_and_saveexec_b64 s[6:7], s[4:5]
	s_cbranch_execz .LBB49_136
; %bb.127:
	s_andn2_b64 vcc, exec, s[10:11]
	s_cbranch_vccnz .LBB49_129
; %bb.128:
	buffer_load_dword v101, v105, s[0:3], 0 offen
	buffer_load_dword v102, v105, s[0:3], 0 offen offset:4
	ds_read_b64 v[106:107], v104
	s_waitcnt vmcnt(0) lgkmcnt(0)
	v_mul_f64 v[101:102], v[101:102], v[106:107]
	s_cbranch_execz .LBB49_130
	s_branch .LBB49_131
.LBB49_129:
                                        ; implicit-def: $vgpr101_vgpr102
.LBB49_130:
	ds_read_b64 v[101:102], v104
.LBB49_131:
	s_and_saveexec_b64 s[12:13], s[8:9]
	s_cbranch_execz .LBB49_135
; %bb.132:
	v_subrev_u32_e32 v106, 36, v0
	s_movk_i32 s51, 0x2b0
	s_mov_b64 s[8:9], 0
.LBB49_133:                             ; =>This Inner Loop Header: Depth=1
	v_mov_b32_e32 v109, s50
	buffer_load_dword v107, v109, s[0:3], 0 offen
	buffer_load_dword v108, v109, s[0:3], 0 offen offset:4
	v_mov_b32_e32 v109, s51
	ds_read_b64 v[109:110], v109
	v_add_u32_e32 v106, -1, v106
	s_add_i32 s51, s51, 8
	s_add_i32 s50, s50, 8
	v_cmp_eq_u32_e32 vcc, 0, v106
	s_or_b64 s[8:9], vcc, s[8:9]
	s_waitcnt vmcnt(0) lgkmcnt(0)
	v_fma_f64 v[101:102], v[107:108], v[109:110], v[101:102]
	s_andn2_b64 exec, exec, s[8:9]
	s_cbranch_execnz .LBB49_133
; %bb.134:
	s_or_b64 exec, exec, s[8:9]
.LBB49_135:
	s_or_b64 exec, exec, s[12:13]
	v_mov_b32_e32 v106, 0
	ds_read_b64 v[106:107], v106 offset:280
	s_waitcnt lgkmcnt(0)
	v_mul_f64 v[101:102], v[101:102], v[106:107]
	buffer_store_dword v102, off, s[0:3], 0 offset:284
	buffer_store_dword v101, off, s[0:3], 0 offset:280
.LBB49_136:
	s_or_b64 exec, exec, s[6:7]
	buffer_load_dword v101, off, s[0:3], 0 offset:272
	buffer_load_dword v102, off, s[0:3], 0 offset:276
	v_cmp_lt_u32_e64 s[6:7], 34, v0
	s_waitcnt vmcnt(0)
	ds_write_b64 v104, v[101:102]
	s_waitcnt lgkmcnt(0)
	; wave barrier
	s_and_saveexec_b64 s[8:9], s[6:7]
	s_cbranch_execz .LBB49_146
; %bb.137:
	s_andn2_b64 vcc, exec, s[10:11]
	s_cbranch_vccnz .LBB49_139
; %bb.138:
	buffer_load_dword v101, v105, s[0:3], 0 offen
	buffer_load_dword v102, v105, s[0:3], 0 offen offset:4
	ds_read_b64 v[106:107], v104
	s_waitcnt vmcnt(0) lgkmcnt(0)
	v_mul_f64 v[101:102], v[101:102], v[106:107]
	s_cbranch_execz .LBB49_140
	s_branch .LBB49_141
.LBB49_139:
                                        ; implicit-def: $vgpr101_vgpr102
.LBB49_140:
	ds_read_b64 v[101:102], v104
.LBB49_141:
	s_and_saveexec_b64 s[12:13], s[4:5]
	s_cbranch_execz .LBB49_145
; %bb.142:
	v_subrev_u32_e32 v106, 35, v0
	s_movk_i32 s50, 0x2a8
	s_mov_b64 s[4:5], 0
.LBB49_143:                             ; =>This Inner Loop Header: Depth=1
	v_mov_b32_e32 v109, s49
	buffer_load_dword v107, v109, s[0:3], 0 offen
	buffer_load_dword v108, v109, s[0:3], 0 offen offset:4
	v_mov_b32_e32 v109, s50
	ds_read_b64 v[109:110], v109
	v_add_u32_e32 v106, -1, v106
	s_add_i32 s50, s50, 8
	s_add_i32 s49, s49, 8
	v_cmp_eq_u32_e32 vcc, 0, v106
	s_or_b64 s[4:5], vcc, s[4:5]
	s_waitcnt vmcnt(0) lgkmcnt(0)
	v_fma_f64 v[101:102], v[107:108], v[109:110], v[101:102]
	s_andn2_b64 exec, exec, s[4:5]
	s_cbranch_execnz .LBB49_143
; %bb.144:
	s_or_b64 exec, exec, s[4:5]
.LBB49_145:
	s_or_b64 exec, exec, s[12:13]
	v_mov_b32_e32 v106, 0
	ds_read_b64 v[106:107], v106 offset:272
	s_waitcnt lgkmcnt(0)
	v_mul_f64 v[101:102], v[101:102], v[106:107]
	buffer_store_dword v102, off, s[0:3], 0 offset:276
	buffer_store_dword v101, off, s[0:3], 0 offset:272
.LBB49_146:
	;; [unrolled: 58-line block ×20, first 2 shown]
	s_or_b64 exec, exec, s[8:9]
	buffer_load_dword v101, off, s[0:3], 0 offset:120
	buffer_load_dword v102, off, s[0:3], 0 offset:124
	v_cmp_lt_u32_e64 s[4:5], 15, v0
	s_waitcnt vmcnt(0)
	ds_write_b64 v104, v[101:102]
	s_waitcnt lgkmcnt(0)
	; wave barrier
	s_and_saveexec_b64 s[8:9], s[4:5]
	s_cbranch_execz .LBB49_336
; %bb.327:
	s_andn2_b64 vcc, exec, s[10:11]
	s_cbranch_vccnz .LBB49_329
; %bb.328:
	buffer_load_dword v101, v105, s[0:3], 0 offen
	buffer_load_dword v102, v105, s[0:3], 0 offen offset:4
	ds_read_b64 v[106:107], v104
	s_waitcnt vmcnt(0) lgkmcnt(0)
	v_mul_f64 v[101:102], v[101:102], v[106:107]
	s_cbranch_execz .LBB49_330
	s_branch .LBB49_331
.LBB49_329:
                                        ; implicit-def: $vgpr101_vgpr102
.LBB49_330:
	ds_read_b64 v[101:102], v104
.LBB49_331:
	s_and_saveexec_b64 s[12:13], s[6:7]
	s_cbranch_execz .LBB49_335
; %bb.332:
	v_add_u32_e32 v106, -16, v0
	s_movk_i32 s30, 0x210
	s_mov_b64 s[6:7], 0
.LBB49_333:                             ; =>This Inner Loop Header: Depth=1
	v_mov_b32_e32 v109, s29
	buffer_load_dword v107, v109, s[0:3], 0 offen
	buffer_load_dword v108, v109, s[0:3], 0 offen offset:4
	v_mov_b32_e32 v109, s30
	ds_read_b64 v[109:110], v109
	v_add_u32_e32 v106, -1, v106
	s_add_i32 s30, s30, 8
	s_add_i32 s29, s29, 8
	v_cmp_eq_u32_e32 vcc, 0, v106
	s_or_b64 s[6:7], vcc, s[6:7]
	s_waitcnt vmcnt(0) lgkmcnt(0)
	v_fma_f64 v[101:102], v[107:108], v[109:110], v[101:102]
	s_andn2_b64 exec, exec, s[6:7]
	s_cbranch_execnz .LBB49_333
; %bb.334:
	s_or_b64 exec, exec, s[6:7]
.LBB49_335:
	s_or_b64 exec, exec, s[12:13]
	v_mov_b32_e32 v106, 0
	ds_read_b64 v[106:107], v106 offset:120
	s_waitcnt lgkmcnt(0)
	v_mul_f64 v[101:102], v[101:102], v[106:107]
	buffer_store_dword v102, off, s[0:3], 0 offset:124
	buffer_store_dword v101, off, s[0:3], 0 offset:120
.LBB49_336:
	s_or_b64 exec, exec, s[8:9]
	buffer_load_dword v101, off, s[0:3], 0 offset:112
	buffer_load_dword v102, off, s[0:3], 0 offset:116
	v_cmp_lt_u32_e64 s[6:7], 14, v0
	s_waitcnt vmcnt(0)
	ds_write_b64 v104, v[101:102]
	s_waitcnt lgkmcnt(0)
	; wave barrier
	s_and_saveexec_b64 s[8:9], s[6:7]
	s_cbranch_execz .LBB49_346
; %bb.337:
	s_andn2_b64 vcc, exec, s[10:11]
	s_cbranch_vccnz .LBB49_339
; %bb.338:
	buffer_load_dword v101, v105, s[0:3], 0 offen
	buffer_load_dword v102, v105, s[0:3], 0 offen offset:4
	ds_read_b64 v[106:107], v104
	s_waitcnt vmcnt(0) lgkmcnt(0)
	v_mul_f64 v[101:102], v[101:102], v[106:107]
	s_cbranch_execz .LBB49_340
	s_branch .LBB49_341
.LBB49_339:
                                        ; implicit-def: $vgpr101_vgpr102
.LBB49_340:
	ds_read_b64 v[101:102], v104
.LBB49_341:
	s_and_saveexec_b64 s[12:13], s[4:5]
	s_cbranch_execz .LBB49_345
; %bb.342:
	v_add_u32_e32 v106, -15, v0
	s_movk_i32 s29, 0x208
	s_mov_b64 s[4:5], 0
.LBB49_343:                             ; =>This Inner Loop Header: Depth=1
	v_mov_b32_e32 v109, s28
	buffer_load_dword v107, v109, s[0:3], 0 offen
	buffer_load_dword v108, v109, s[0:3], 0 offen offset:4
	v_mov_b32_e32 v109, s29
	ds_read_b64 v[109:110], v109
	v_add_u32_e32 v106, -1, v106
	s_add_i32 s29, s29, 8
	s_add_i32 s28, s28, 8
	v_cmp_eq_u32_e32 vcc, 0, v106
	s_or_b64 s[4:5], vcc, s[4:5]
	s_waitcnt vmcnt(0) lgkmcnt(0)
	v_fma_f64 v[101:102], v[107:108], v[109:110], v[101:102]
	s_andn2_b64 exec, exec, s[4:5]
	s_cbranch_execnz .LBB49_343
; %bb.344:
	s_or_b64 exec, exec, s[4:5]
.LBB49_345:
	s_or_b64 exec, exec, s[12:13]
	v_mov_b32_e32 v106, 0
	ds_read_b64 v[106:107], v106 offset:112
	s_waitcnt lgkmcnt(0)
	v_mul_f64 v[101:102], v[101:102], v[106:107]
	buffer_store_dword v102, off, s[0:3], 0 offset:116
	buffer_store_dword v101, off, s[0:3], 0 offset:112
.LBB49_346:
	;; [unrolled: 58-line block ×15, first 2 shown]
	s_or_b64 exec, exec, s[8:9]
	buffer_load_dword v101, off, s[0:3], 0
	buffer_load_dword v102, off, s[0:3], 0 offset:4
	v_cmp_ne_u32_e32 vcc, 0, v0
	s_waitcnt vmcnt(0)
	ds_write_b64 v104, v[101:102]
	s_waitcnt lgkmcnt(0)
	; wave barrier
	s_and_saveexec_b64 s[6:7], vcc
	s_cbranch_execz .LBB49_486
; %bb.477:
	s_andn2_b64 vcc, exec, s[10:11]
	s_cbranch_vccnz .LBB49_479
; %bb.478:
	buffer_load_dword v101, v105, s[0:3], 0 offen
	buffer_load_dword v102, v105, s[0:3], 0 offen offset:4
	ds_read_b64 v[106:107], v104
	s_waitcnt vmcnt(0) lgkmcnt(0)
	v_mul_f64 v[101:102], v[101:102], v[106:107]
	s_cbranch_execz .LBB49_480
	s_branch .LBB49_481
.LBB49_479:
                                        ; implicit-def: $vgpr101_vgpr102
.LBB49_480:
	ds_read_b64 v[101:102], v104
.LBB49_481:
	s_and_saveexec_b64 s[8:9], s[4:5]
	s_cbranch_execz .LBB49_485
; %bb.482:
	v_add_u32_e32 v106, -1, v0
	s_movk_i32 s12, 0x198
	s_mov_b64 s[4:5], 0
.LBB49_483:                             ; =>This Inner Loop Header: Depth=1
	v_mov_b32_e32 v109, s14
	buffer_load_dword v107, v109, s[0:3], 0 offen
	buffer_load_dword v108, v109, s[0:3], 0 offen offset:4
	v_mov_b32_e32 v109, s12
	ds_read_b64 v[109:110], v109
	v_add_u32_e32 v106, -1, v106
	s_add_i32 s12, s12, 8
	s_add_i32 s14, s14, 8
	v_cmp_eq_u32_e32 vcc, 0, v106
	s_or_b64 s[4:5], vcc, s[4:5]
	s_waitcnt vmcnt(0) lgkmcnt(0)
	v_fma_f64 v[101:102], v[107:108], v[109:110], v[101:102]
	s_andn2_b64 exec, exec, s[4:5]
	s_cbranch_execnz .LBB49_483
; %bb.484:
	s_or_b64 exec, exec, s[4:5]
.LBB49_485:
	s_or_b64 exec, exec, s[8:9]
	v_mov_b32_e32 v106, 0
	ds_read_b64 v[106:107], v106
	s_waitcnt lgkmcnt(0)
	v_mul_f64 v[101:102], v[101:102], v[106:107]
	buffer_store_dword v102, off, s[0:3], 0 offset:4
	buffer_store_dword v101, off, s[0:3], 0
.LBB49_486:
	s_or_b64 exec, exec, s[6:7]
	s_mov_b64 s[4:5], 0
.LBB49_487:
	s_and_b64 vcc, exec, s[4:5]
	s_cbranch_vccz .LBB49_969
; %bb.488:
	buffer_load_dword v101, off, s[0:3], 0 offset:8
	buffer_load_dword v102, off, s[0:3], 0 offset:12
	v_cmp_eq_u32_e64 s[6:7], 0, v0
	s_waitcnt vmcnt(0)
	ds_write_b64 v104, v[101:102]
	s_waitcnt lgkmcnt(0)
	; wave barrier
	s_and_saveexec_b64 s[4:5], s[6:7]
	s_cbranch_execz .LBB49_494
; %bb.489:
	s_and_b64 vcc, exec, s[10:11]
	s_cbranch_vccz .LBB49_491
; %bb.490:
	buffer_load_dword v101, v105, s[0:3], 0 offen
	buffer_load_dword v102, v105, s[0:3], 0 offen offset:4
	ds_read_b64 v[106:107], v104
	s_waitcnt vmcnt(0) lgkmcnt(0)
	v_mul_f64 v[101:102], v[101:102], v[106:107]
	s_cbranch_execz .LBB49_492
	s_branch .LBB49_493
.LBB49_491:
                                        ; implicit-def: $vgpr101_vgpr102
.LBB49_492:
	ds_read_b64 v[101:102], v104
.LBB49_493:
	v_mov_b32_e32 v106, 0
	ds_read_b64 v[106:107], v106 offset:8
	s_waitcnt lgkmcnt(0)
	v_mul_f64 v[101:102], v[101:102], v[106:107]
	buffer_store_dword v102, off, s[0:3], 0 offset:12
	buffer_store_dword v101, off, s[0:3], 0 offset:8
.LBB49_494:
	s_or_b64 exec, exec, s[4:5]
	buffer_load_dword v101, off, s[0:3], 0 offset:16
	buffer_load_dword v102, off, s[0:3], 0 offset:20
	v_cndmask_b32_e64 v106, 0, 1, s[10:11]
	v_cmp_gt_u32_e32 vcc, 2, v0
	v_cmp_ne_u32_e64 s[4:5], 1, v106
	s_waitcnt vmcnt(0)
	ds_write_b64 v104, v[101:102]
	s_waitcnt lgkmcnt(0)
	; wave barrier
	s_and_saveexec_b64 s[8:9], vcc
	s_cbranch_execz .LBB49_500
; %bb.495:
	s_and_b64 vcc, exec, s[4:5]
	s_cbranch_vccnz .LBB49_497
; %bb.496:
	buffer_load_dword v101, v105, s[0:3], 0 offen
	buffer_load_dword v102, v105, s[0:3], 0 offen offset:4
	ds_read_b64 v[106:107], v104
	s_waitcnt vmcnt(0) lgkmcnt(0)
	v_mul_f64 v[101:102], v[101:102], v[106:107]
	s_cbranch_execz .LBB49_498
	s_branch .LBB49_499
.LBB49_497:
                                        ; implicit-def: $vgpr101_vgpr102
.LBB49_498:
	ds_read_b64 v[101:102], v104
.LBB49_499:
	buffer_load_dword v110, off, s[0:3], 0 offset:8
	buffer_load_dword v111, off, s[0:3], 0 offset:12
	v_mov_b32_e32 v106, 0
	ds_read2_b64 v[106:109], v106 offset0:2 offset1:51
	s_waitcnt vmcnt(0) lgkmcnt(0)
	v_fma_f64 v[108:109], v[110:111], v[108:109], v[101:102]
	v_cndmask_b32_e64 v102, v102, v109, s[6:7]
	v_cndmask_b32_e64 v101, v101, v108, s[6:7]
	v_mul_f64 v[101:102], v[101:102], v[106:107]
	buffer_store_dword v102, off, s[0:3], 0 offset:20
	buffer_store_dword v101, off, s[0:3], 0 offset:16
.LBB49_500:
	s_or_b64 exec, exec, s[8:9]
	buffer_load_dword v101, off, s[0:3], 0 offset:24
	buffer_load_dword v102, off, s[0:3], 0 offset:28
	v_cmp_gt_u32_e32 vcc, 3, v0
	s_waitcnt vmcnt(0)
	ds_write_b64 v104, v[101:102]
	s_waitcnt lgkmcnt(0)
	; wave barrier
	s_and_saveexec_b64 s[8:9], vcc
	s_cbranch_execz .LBB49_508
; %bb.501:
	s_and_b64 vcc, exec, s[4:5]
	s_cbranch_vccnz .LBB49_503
; %bb.502:
	buffer_load_dword v101, v105, s[0:3], 0 offen
	buffer_load_dword v102, v105, s[0:3], 0 offen offset:4
	ds_read_b64 v[106:107], v104
	s_waitcnt vmcnt(0) lgkmcnt(0)
	v_mul_f64 v[101:102], v[101:102], v[106:107]
	s_cbranch_execz .LBB49_504
	s_branch .LBB49_505
.LBB49_503:
                                        ; implicit-def: $vgpr101_vgpr102
.LBB49_504:
	ds_read_b64 v[101:102], v104
.LBB49_505:
	v_cmp_ne_u32_e32 vcc, 2, v0
	s_and_saveexec_b64 s[10:11], vcc
	s_cbranch_execz .LBB49_507
; %bb.506:
	buffer_load_dword v106, v105, s[0:3], 0 offen offset:8
	buffer_load_dword v107, v105, s[0:3], 0 offen offset:12
	buffer_load_dword v108, off, s[0:3], 0 offset:16
	buffer_load_dword v109, off, s[0:3], 0 offset:20
	ds_read_b64 v[110:111], v104 offset:8
	v_mov_b32_e32 v112, 0
	ds_read_b64 v[112:113], v112 offset:416
	s_waitcnt vmcnt(2) lgkmcnt(1)
	v_fma_f64 v[101:102], v[106:107], v[110:111], v[101:102]
	s_waitcnt vmcnt(0) lgkmcnt(0)
	v_fma_f64 v[106:107], v[108:109], v[112:113], v[101:102]
	v_cndmask_b32_e64 v102, v102, v107, s[6:7]
	v_cndmask_b32_e64 v101, v101, v106, s[6:7]
.LBB49_507:
	s_or_b64 exec, exec, s[10:11]
	v_mov_b32_e32 v106, 0
	ds_read_b64 v[106:107], v106 offset:24
	s_waitcnt lgkmcnt(0)
	v_mul_f64 v[101:102], v[101:102], v[106:107]
	buffer_store_dword v102, off, s[0:3], 0 offset:28
	buffer_store_dword v101, off, s[0:3], 0 offset:24
.LBB49_508:
	s_or_b64 exec, exec, s[8:9]
	buffer_load_dword v101, off, s[0:3], 0 offset:32
	buffer_load_dword v102, off, s[0:3], 0 offset:36
	v_cmp_gt_u32_e32 vcc, 4, v0
	s_waitcnt vmcnt(0)
	ds_write_b64 v104, v[101:102]
	s_waitcnt lgkmcnt(0)
	; wave barrier
	s_and_saveexec_b64 s[6:7], vcc
	s_cbranch_execz .LBB49_518
; %bb.509:
	s_and_b64 vcc, exec, s[4:5]
	s_cbranch_vccnz .LBB49_511
; %bb.510:
	buffer_load_dword v101, v105, s[0:3], 0 offen
	buffer_load_dword v102, v105, s[0:3], 0 offen offset:4
	ds_read_b64 v[106:107], v104
	s_waitcnt vmcnt(0) lgkmcnt(0)
	v_mul_f64 v[101:102], v[101:102], v[106:107]
	s_cbranch_execz .LBB49_512
	s_branch .LBB49_513
.LBB49_511:
                                        ; implicit-def: $vgpr101_vgpr102
.LBB49_512:
	ds_read_b64 v[101:102], v104
.LBB49_513:
	v_cmp_ne_u32_e32 vcc, 3, v0
	s_and_saveexec_b64 s[8:9], vcc
	s_cbranch_execz .LBB49_517
; %bb.514:
	s_mov_b32 s10, 0
	v_add_u32_e32 v106, 0x198, v103
	v_add3_u32 v107, v103, s10, 8
	s_mov_b64 s[10:11], 0
	v_mov_b32_e32 v108, v0
.LBB49_515:                             ; =>This Inner Loop Header: Depth=1
	buffer_load_dword v109, v107, s[0:3], 0 offen
	buffer_load_dword v110, v107, s[0:3], 0 offen offset:4
	ds_read_b64 v[111:112], v106
	v_add_u32_e32 v108, 1, v108
	v_cmp_lt_u32_e32 vcc, 2, v108
	v_add_u32_e32 v106, 8, v106
	s_or_b64 s[10:11], vcc, s[10:11]
	v_add_u32_e32 v107, 8, v107
	s_waitcnt vmcnt(0) lgkmcnt(0)
	v_fma_f64 v[101:102], v[109:110], v[111:112], v[101:102]
	s_andn2_b64 exec, exec, s[10:11]
	s_cbranch_execnz .LBB49_515
; %bb.516:
	s_or_b64 exec, exec, s[10:11]
.LBB49_517:
	s_or_b64 exec, exec, s[8:9]
	v_mov_b32_e32 v106, 0
	ds_read_b64 v[106:107], v106 offset:32
	s_waitcnt lgkmcnt(0)
	v_mul_f64 v[101:102], v[101:102], v[106:107]
	buffer_store_dword v102, off, s[0:3], 0 offset:36
	buffer_store_dword v101, off, s[0:3], 0 offset:32
.LBB49_518:
	s_or_b64 exec, exec, s[6:7]
	buffer_load_dword v101, off, s[0:3], 0 offset:40
	buffer_load_dword v102, off, s[0:3], 0 offset:44
	v_cmp_gt_u32_e32 vcc, 5, v0
	s_waitcnt vmcnt(0)
	ds_write_b64 v104, v[101:102]
	s_waitcnt lgkmcnt(0)
	; wave barrier
	s_and_saveexec_b64 s[6:7], vcc
	s_cbranch_execz .LBB49_528
; %bb.519:
	s_and_b64 vcc, exec, s[4:5]
	s_cbranch_vccnz .LBB49_521
; %bb.520:
	buffer_load_dword v101, v105, s[0:3], 0 offen
	buffer_load_dword v102, v105, s[0:3], 0 offen offset:4
	ds_read_b64 v[106:107], v104
	s_waitcnt vmcnt(0) lgkmcnt(0)
	v_mul_f64 v[101:102], v[101:102], v[106:107]
	s_cbranch_execz .LBB49_522
	s_branch .LBB49_523
.LBB49_521:
                                        ; implicit-def: $vgpr101_vgpr102
.LBB49_522:
	ds_read_b64 v[101:102], v104
.LBB49_523:
	v_cmp_ne_u32_e32 vcc, 4, v0
	s_and_saveexec_b64 s[8:9], vcc
	s_cbranch_execz .LBB49_527
; %bb.524:
	s_mov_b32 s10, 0
	v_add_u32_e32 v106, 0x198, v103
	v_add3_u32 v107, v103, s10, 8
	s_mov_b64 s[10:11], 0
	v_mov_b32_e32 v108, v0
.LBB49_525:                             ; =>This Inner Loop Header: Depth=1
	buffer_load_dword v109, v107, s[0:3], 0 offen
	buffer_load_dword v110, v107, s[0:3], 0 offen offset:4
	ds_read_b64 v[111:112], v106
	v_add_u32_e32 v108, 1, v108
	v_cmp_lt_u32_e32 vcc, 3, v108
	v_add_u32_e32 v106, 8, v106
	s_or_b64 s[10:11], vcc, s[10:11]
	v_add_u32_e32 v107, 8, v107
	s_waitcnt vmcnt(0) lgkmcnt(0)
	v_fma_f64 v[101:102], v[109:110], v[111:112], v[101:102]
	s_andn2_b64 exec, exec, s[10:11]
	s_cbranch_execnz .LBB49_525
; %bb.526:
	s_or_b64 exec, exec, s[10:11]
.LBB49_527:
	s_or_b64 exec, exec, s[8:9]
	v_mov_b32_e32 v106, 0
	ds_read_b64 v[106:107], v106 offset:40
	s_waitcnt lgkmcnt(0)
	v_mul_f64 v[101:102], v[101:102], v[106:107]
	buffer_store_dword v102, off, s[0:3], 0 offset:44
	buffer_store_dword v101, off, s[0:3], 0 offset:40
.LBB49_528:
	;; [unrolled: 59-line block ×44, first 2 shown]
	s_or_b64 exec, exec, s[6:7]
	buffer_load_dword v101, off, s[0:3], 0 offset:384
	buffer_load_dword v102, off, s[0:3], 0 offset:388
	v_cmp_gt_u32_e64 s[6:7], 48, v0
	s_waitcnt vmcnt(0)
	ds_write_b64 v104, v[101:102]
	s_waitcnt lgkmcnt(0)
	; wave barrier
	s_and_saveexec_b64 s[8:9], s[6:7]
	s_cbranch_execz .LBB49_958
; %bb.949:
	s_and_b64 vcc, exec, s[4:5]
	s_cbranch_vccnz .LBB49_951
; %bb.950:
	buffer_load_dword v101, v105, s[0:3], 0 offen
	buffer_load_dword v102, v105, s[0:3], 0 offen offset:4
	ds_read_b64 v[106:107], v104
	s_waitcnt vmcnt(0) lgkmcnt(0)
	v_mul_f64 v[101:102], v[101:102], v[106:107]
	s_cbranch_execz .LBB49_952
	s_branch .LBB49_953
.LBB49_951:
                                        ; implicit-def: $vgpr101_vgpr102
.LBB49_952:
	ds_read_b64 v[101:102], v104
.LBB49_953:
	v_cmp_ne_u32_e32 vcc, 47, v0
	s_and_saveexec_b64 s[10:11], vcc
	s_cbranch_execz .LBB49_957
; %bb.954:
	s_mov_b32 s12, 0
	v_add_u32_e32 v106, 0x198, v103
	v_add3_u32 v107, v103, s12, 8
	s_mov_b64 s[12:13], 0
	v_mov_b32_e32 v108, v0
.LBB49_955:                             ; =>This Inner Loop Header: Depth=1
	buffer_load_dword v109, v107, s[0:3], 0 offen
	buffer_load_dword v110, v107, s[0:3], 0 offen offset:4
	ds_read_b64 v[111:112], v106
	v_add_u32_e32 v108, 1, v108
	v_cmp_lt_u32_e32 vcc, 46, v108
	v_add_u32_e32 v106, 8, v106
	s_or_b64 s[12:13], vcc, s[12:13]
	v_add_u32_e32 v107, 8, v107
	s_waitcnt vmcnt(0) lgkmcnt(0)
	v_fma_f64 v[101:102], v[109:110], v[111:112], v[101:102]
	s_andn2_b64 exec, exec, s[12:13]
	s_cbranch_execnz .LBB49_955
; %bb.956:
	s_or_b64 exec, exec, s[12:13]
.LBB49_957:
	s_or_b64 exec, exec, s[10:11]
	v_mov_b32_e32 v106, 0
	ds_read_b64 v[106:107], v106 offset:384
	s_waitcnt lgkmcnt(0)
	v_mul_f64 v[101:102], v[101:102], v[106:107]
	buffer_store_dword v102, off, s[0:3], 0 offset:388
	buffer_store_dword v101, off, s[0:3], 0 offset:384
.LBB49_958:
	s_or_b64 exec, exec, s[8:9]
	buffer_load_dword v101, off, s[0:3], 0 offset:392
	buffer_load_dword v102, off, s[0:3], 0 offset:396
	v_cmp_ne_u32_e32 vcc, 49, v0
	s_waitcnt vmcnt(0)
	ds_write_b64 v104, v[101:102]
	s_waitcnt lgkmcnt(0)
	; wave barrier
	s_and_saveexec_b64 s[8:9], vcc
	s_cbranch_execz .LBB49_968
; %bb.959:
	s_and_b64 vcc, exec, s[4:5]
	s_cbranch_vccnz .LBB49_961
; %bb.960:
	buffer_load_dword v101, v105, s[0:3], 0 offen
	buffer_load_dword v102, v105, s[0:3], 0 offen offset:4
	ds_read_b64 v[105:106], v104
	s_waitcnt vmcnt(0) lgkmcnt(0)
	v_mul_f64 v[101:102], v[101:102], v[105:106]
	s_cbranch_execz .LBB49_962
	s_branch .LBB49_963
.LBB49_961:
                                        ; implicit-def: $vgpr101_vgpr102
.LBB49_962:
	ds_read_b64 v[101:102], v104
.LBB49_963:
	s_and_saveexec_b64 s[4:5], s[6:7]
	s_cbranch_execz .LBB49_967
; %bb.964:
	s_mov_b32 s6, 0
	v_add_u32_e32 v104, 0x198, v103
	v_add3_u32 v103, v103, s6, 8
	s_mov_b64 s[6:7], 0
.LBB49_965:                             ; =>This Inner Loop Header: Depth=1
	buffer_load_dword v105, v103, s[0:3], 0 offen
	buffer_load_dword v106, v103, s[0:3], 0 offen offset:4
	ds_read_b64 v[107:108], v104
	v_add_u32_e32 v0, 1, v0
	v_cmp_lt_u32_e32 vcc, 47, v0
	v_add_u32_e32 v104, 8, v104
	s_or_b64 s[6:7], vcc, s[6:7]
	v_add_u32_e32 v103, 8, v103
	s_waitcnt vmcnt(0) lgkmcnt(0)
	v_fma_f64 v[101:102], v[105:106], v[107:108], v[101:102]
	s_andn2_b64 exec, exec, s[6:7]
	s_cbranch_execnz .LBB49_965
; %bb.966:
	s_or_b64 exec, exec, s[6:7]
.LBB49_967:
	s_or_b64 exec, exec, s[4:5]
	v_mov_b32_e32 v0, 0
	ds_read_b64 v[103:104], v0 offset:392
	s_waitcnt lgkmcnt(0)
	v_mul_f64 v[101:102], v[101:102], v[103:104]
	buffer_store_dword v102, off, s[0:3], 0 offset:396
	buffer_store_dword v101, off, s[0:3], 0 offset:392
.LBB49_968:
	s_or_b64 exec, exec, s[8:9]
.LBB49_969:
	buffer_load_dword v101, off, s[0:3], 0
	buffer_load_dword v102, off, s[0:3], 0 offset:4
	buffer_load_dword v103, off, s[0:3], 0 offset:8
	;; [unrolled: 1-line block ×23, first 2 shown]
	s_waitcnt vmcnt(22)
	global_store_dwordx2 v[97:98], v[101:102], off
	s_waitcnt vmcnt(21)
	global_store_dwordx2 v[99:100], v[103:104], off
	buffer_load_dword v97, off, s[0:3], 0 offset:96
	buffer_load_dword v98, off, s[0:3], 0 offset:100
	s_nop 0
	buffer_load_dword v99, off, s[0:3], 0 offset:104
	buffer_load_dword v100, off, s[0:3], 0 offset:108
	buffer_load_dword v101, off, s[0:3], 0 offset:112
	buffer_load_dword v102, off, s[0:3], 0 offset:116
	buffer_load_dword v103, off, s[0:3], 0 offset:120
	buffer_load_dword v104, off, s[0:3], 0 offset:124
	s_waitcnt vmcnt(28)
	global_store_dwordx2 v[1:2], v[105:106], off
	s_waitcnt vmcnt(27)
	global_store_dwordx2 v[7:8], v[107:108], off
	buffer_load_dword v0, off, s[0:3], 0 offset:128
	buffer_load_dword v1, off, s[0:3], 0 offset:132
	s_nop 0
	buffer_load_dword v7, off, s[0:3], 0 offset:136
	buffer_load_dword v8, off, s[0:3], 0 offset:140
	buffer_load_dword v105, off, s[0:3], 0 offset:144
	buffer_load_dword v106, off, s[0:3], 0 offset:148
	buffer_load_dword v107, off, s[0:3], 0 offset:152
	buffer_load_dword v108, off, s[0:3], 0 offset:156
	;; [unrolled: 13-line block ×4, first 2 shown]
	s_waitcnt vmcnt(40)
	global_store_dwordx2 v[9:10], v[117:118], off
	global_store_dwordx2 v[15:16], v[119:120], off
	;; [unrolled: 1-line block ×4, first 2 shown]
	s_waitcnt vmcnt(40)
	global_store_dwordx2 v[23:24], v[97:98], off
	s_waitcnt vmcnt(39)
	global_store_dwordx2 v[27:28], v[99:100], off
	;; [unrolled: 2-line block ×7, first 2 shown]
	buffer_load_dword v0, off, s[0:3], 0 offset:224
	buffer_load_dword v1, off, s[0:3], 0 offset:228
	;; [unrolled: 1-line block ×44, first 2 shown]
	s_waitcnt vmcnt(62)
	global_store_dwordx2 v[21:22], v[107:108], off
	global_store_dwordx2 v[25:26], v[2:3], off
	;; [unrolled: 1-line block ×5, first 2 shown]
	s_waitcnt vmcnt(62)
	global_store_dwordx2 v[41:42], v[4:5], off
	global_store_dwordx2 v[45:46], v[13:14], off
	;; [unrolled: 1-line block ×3, first 2 shown]
	s_waitcnt vmcnt(62)
	global_store_dwordx2 v[51:52], v[115:116], off
	s_waitcnt vmcnt(51)
	global_store_dwordx2 v[53:54], v[0:1], off
	;; [unrolled: 2-line block ×23, first 2 shown]
.LBB49_970:
	s_endpgm
	.section	.rodata,"a",@progbits
	.p2align	6, 0x0
	.amdhsa_kernel _ZN9rocsolver6v33100L18trti2_kernel_smallILi50EdPdEEv13rocblas_fill_17rocblas_diagonal_T1_iil
		.amdhsa_group_segment_fixed_size 800
		.amdhsa_private_segment_fixed_size 416
		.amdhsa_kernarg_size 32
		.amdhsa_user_sgpr_count 6
		.amdhsa_user_sgpr_private_segment_buffer 1
		.amdhsa_user_sgpr_dispatch_ptr 0
		.amdhsa_user_sgpr_queue_ptr 0
		.amdhsa_user_sgpr_kernarg_segment_ptr 1
		.amdhsa_user_sgpr_dispatch_id 0
		.amdhsa_user_sgpr_flat_scratch_init 0
		.amdhsa_user_sgpr_private_segment_size 0
		.amdhsa_uses_dynamic_stack 0
		.amdhsa_system_sgpr_private_segment_wavefront_offset 1
		.amdhsa_system_sgpr_workgroup_id_x 1
		.amdhsa_system_sgpr_workgroup_id_y 0
		.amdhsa_system_sgpr_workgroup_id_z 0
		.amdhsa_system_sgpr_workgroup_info 0
		.amdhsa_system_vgpr_workitem_id 0
		.amdhsa_next_free_vgpr 125
		.amdhsa_next_free_sgpr 63
		.amdhsa_reserve_vcc 1
		.amdhsa_reserve_flat_scratch 0
		.amdhsa_float_round_mode_32 0
		.amdhsa_float_round_mode_16_64 0
		.amdhsa_float_denorm_mode_32 3
		.amdhsa_float_denorm_mode_16_64 3
		.amdhsa_dx10_clamp 1
		.amdhsa_ieee_mode 1
		.amdhsa_fp16_overflow 0
		.amdhsa_exception_fp_ieee_invalid_op 0
		.amdhsa_exception_fp_denorm_src 0
		.amdhsa_exception_fp_ieee_div_zero 0
		.amdhsa_exception_fp_ieee_overflow 0
		.amdhsa_exception_fp_ieee_underflow 0
		.amdhsa_exception_fp_ieee_inexact 0
		.amdhsa_exception_int_div_zero 0
	.end_amdhsa_kernel
	.section	.text._ZN9rocsolver6v33100L18trti2_kernel_smallILi50EdPdEEv13rocblas_fill_17rocblas_diagonal_T1_iil,"axG",@progbits,_ZN9rocsolver6v33100L18trti2_kernel_smallILi50EdPdEEv13rocblas_fill_17rocblas_diagonal_T1_iil,comdat
.Lfunc_end49:
	.size	_ZN9rocsolver6v33100L18trti2_kernel_smallILi50EdPdEEv13rocblas_fill_17rocblas_diagonal_T1_iil, .Lfunc_end49-_ZN9rocsolver6v33100L18trti2_kernel_smallILi50EdPdEEv13rocblas_fill_17rocblas_diagonal_T1_iil
                                        ; -- End function
	.set _ZN9rocsolver6v33100L18trti2_kernel_smallILi50EdPdEEv13rocblas_fill_17rocblas_diagonal_T1_iil.num_vgpr, 125
	.set _ZN9rocsolver6v33100L18trti2_kernel_smallILi50EdPdEEv13rocblas_fill_17rocblas_diagonal_T1_iil.num_agpr, 0
	.set _ZN9rocsolver6v33100L18trti2_kernel_smallILi50EdPdEEv13rocblas_fill_17rocblas_diagonal_T1_iil.numbered_sgpr, 63
	.set _ZN9rocsolver6v33100L18trti2_kernel_smallILi50EdPdEEv13rocblas_fill_17rocblas_diagonal_T1_iil.num_named_barrier, 0
	.set _ZN9rocsolver6v33100L18trti2_kernel_smallILi50EdPdEEv13rocblas_fill_17rocblas_diagonal_T1_iil.private_seg_size, 416
	.set _ZN9rocsolver6v33100L18trti2_kernel_smallILi50EdPdEEv13rocblas_fill_17rocblas_diagonal_T1_iil.uses_vcc, 1
	.set _ZN9rocsolver6v33100L18trti2_kernel_smallILi50EdPdEEv13rocblas_fill_17rocblas_diagonal_T1_iil.uses_flat_scratch, 0
	.set _ZN9rocsolver6v33100L18trti2_kernel_smallILi50EdPdEEv13rocblas_fill_17rocblas_diagonal_T1_iil.has_dyn_sized_stack, 0
	.set _ZN9rocsolver6v33100L18trti2_kernel_smallILi50EdPdEEv13rocblas_fill_17rocblas_diagonal_T1_iil.has_recursion, 0
	.set _ZN9rocsolver6v33100L18trti2_kernel_smallILi50EdPdEEv13rocblas_fill_17rocblas_diagonal_T1_iil.has_indirect_call, 0
	.section	.AMDGPU.csdata,"",@progbits
; Kernel info:
; codeLenInByte = 29436
; TotalNumSgprs: 67
; NumVgprs: 125
; ScratchSize: 416
; MemoryBound: 0
; FloatMode: 240
; IeeeMode: 1
; LDSByteSize: 800 bytes/workgroup (compile time only)
; SGPRBlocks: 8
; VGPRBlocks: 31
; NumSGPRsForWavesPerEU: 67
; NumVGPRsForWavesPerEU: 125
; Occupancy: 2
; WaveLimiterHint : 0
; COMPUTE_PGM_RSRC2:SCRATCH_EN: 1
; COMPUTE_PGM_RSRC2:USER_SGPR: 6
; COMPUTE_PGM_RSRC2:TRAP_HANDLER: 0
; COMPUTE_PGM_RSRC2:TGID_X_EN: 1
; COMPUTE_PGM_RSRC2:TGID_Y_EN: 0
; COMPUTE_PGM_RSRC2:TGID_Z_EN: 0
; COMPUTE_PGM_RSRC2:TIDIG_COMP_CNT: 0
	.section	.text._ZN9rocsolver6v33100L18trti2_kernel_smallILi51EdPdEEv13rocblas_fill_17rocblas_diagonal_T1_iil,"axG",@progbits,_ZN9rocsolver6v33100L18trti2_kernel_smallILi51EdPdEEv13rocblas_fill_17rocblas_diagonal_T1_iil,comdat
	.globl	_ZN9rocsolver6v33100L18trti2_kernel_smallILi51EdPdEEv13rocblas_fill_17rocblas_diagonal_T1_iil ; -- Begin function _ZN9rocsolver6v33100L18trti2_kernel_smallILi51EdPdEEv13rocblas_fill_17rocblas_diagonal_T1_iil
	.p2align	8
	.type	_ZN9rocsolver6v33100L18trti2_kernel_smallILi51EdPdEEv13rocblas_fill_17rocblas_diagonal_T1_iil,@function
_ZN9rocsolver6v33100L18trti2_kernel_smallILi51EdPdEEv13rocblas_fill_17rocblas_diagonal_T1_iil: ; @_ZN9rocsolver6v33100L18trti2_kernel_smallILi51EdPdEEv13rocblas_fill_17rocblas_diagonal_T1_iil
; %bb.0:
	s_add_u32 s0, s0, s7
	s_addc_u32 s1, s1, 0
	v_cmp_gt_u32_e32 vcc, 51, v0
	s_and_saveexec_b64 s[8:9], vcc
	s_cbranch_execz .LBB50_990
; %bb.1:
	s_load_dwordx8 s[8:15], s[4:5], 0x0
	s_ashr_i32 s7, s6, 31
	v_lshlrev_b32_e32 v105, 3, v0
	s_waitcnt lgkmcnt(0)
	s_ashr_i32 s5, s12, 31
	s_mov_b32 s4, s12
	s_mul_hi_u32 s12, s14, s6
	s_mul_i32 s7, s14, s7
	s_add_i32 s7, s12, s7
	s_mul_i32 s12, s15, s6
	s_add_i32 s7, s7, s12
	s_mul_i32 s6, s14, s6
	s_lshl_b64 s[6:7], s[6:7], 3
	s_add_u32 s6, s10, s6
	s_addc_u32 s7, s11, s7
	s_lshl_b64 s[4:5], s[4:5], 3
	s_add_u32 s4, s6, s4
	s_addc_u32 s5, s7, s5
	s_add_i32 s6, s13, s13
	v_add_u32_e32 v1, s6, v0
	v_ashrrev_i32_e32 v2, 31, v1
	v_lshlrev_b64 v[2:3], 3, v[1:2]
	v_mov_b32_e32 v4, s5
	v_add_co_u32_e32 v5, vcc, s4, v2
	v_addc_co_u32_e32 v6, vcc, v4, v3, vcc
	v_add_u32_e32 v3, s13, v1
	v_ashrrev_i32_e32 v4, 31, v3
	v_lshlrev_b64 v[1:2], 3, v[3:4]
	v_mov_b32_e32 v4, s5
	v_add_co_u32_e32 v1, vcc, s4, v1
	v_add_u32_e32 v3, s13, v3
	v_addc_co_u32_e32 v2, vcc, v4, v2, vcc
	v_ashrrev_i32_e32 v4, 31, v3
	v_lshlrev_b64 v[7:8], 3, v[3:4]
	v_mov_b32_e32 v4, s5
	v_add_co_u32_e32 v9, vcc, s4, v7
	v_add_u32_e32 v7, s13, v3
	v_addc_co_u32_e32 v10, vcc, v4, v8, vcc
	;; [unrolled: 6-line block ×5, first 2 shown]
	v_ashrrev_i32_e32 v12, 31, v11
	v_lshlrev_b64 v[15:16], 3, v[11:12]
	v_add_u32_e32 v17, s13, v11
	v_mov_b32_e32 v12, s5
	v_add_co_u32_e32 v15, vcc, s4, v15
	v_ashrrev_i32_e32 v18, 31, v17
	v_addc_co_u32_e32 v16, vcc, v12, v16, vcc
	v_lshlrev_b64 v[11:12], 3, v[17:18]
	v_add_u32_e32 v19, s13, v17
	v_mov_b32_e32 v18, s5
	v_add_co_u32_e32 v11, vcc, s4, v11
	v_ashrrev_i32_e32 v20, 31, v19
	v_addc_co_u32_e32 v12, vcc, v18, v12, vcc
	v_lshlrev_b64 v[17:18], 3, v[19:20]
	v_mov_b32_e32 v21, s5
	v_add_co_u32_e32 v17, vcc, s4, v17
	v_addc_co_u32_e32 v18, vcc, v21, v18, vcc
	v_add_u32_e32 v21, s13, v19
	v_ashrrev_i32_e32 v22, 31, v21
	v_lshlrev_b64 v[19:20], 3, v[21:22]
	v_add_u32_e32 v21, s13, v21
	v_mov_b32_e32 v23, s5
	v_add_co_u32_e32 v19, vcc, s4, v19
	v_ashrrev_i32_e32 v22, 31, v21
	v_addc_co_u32_e32 v20, vcc, v23, v20, vcc
	v_lshlrev_b64 v[23:24], 3, v[21:22]
	v_add_u32_e32 v21, s13, v21
	v_mov_b32_e32 v25, s5
	v_add_co_u32_e32 v23, vcc, s4, v23
	v_ashrrev_i32_e32 v22, 31, v21
	v_addc_co_u32_e32 v24, vcc, v25, v24, vcc
	;; [unrolled: 6-line block ×4, first 2 shown]
	v_lshlrev_b64 v[25:26], 3, v[21:22]
	v_add_u32_e32 v21, s13, v21
	v_add_co_u32_e32 v35, vcc, s4, v25
	v_ashrrev_i32_e32 v22, 31, v21
	v_addc_co_u32_e32 v36, vcc, v29, v26, vcc
	v_lshlrev_b64 v[25:26], 3, v[21:22]
	v_add_u32_e32 v21, s13, v21
	v_add_co_u32_e32 v39, vcc, s4, v25
	v_ashrrev_i32_e32 v22, 31, v21
	v_addc_co_u32_e32 v40, vcc, v29, v26, vcc
	;; [unrolled: 5-line block ×4, first 2 shown]
	v_lshlrev_b64 v[25:26], 3, v[21:22]
	v_mov_b32_e32 v33, s5
	v_add_co_u32_e32 v51, vcc, s4, v25
	v_add_u32_e32 v25, s13, v21
	v_addc_co_u32_e32 v52, vcc, v29, v26, vcc
	v_ashrrev_i32_e32 v26, 31, v25
	v_lshlrev_b64 v[21:22], 3, v[25:26]
	v_mov_b32_e32 v37, s5
	v_add_co_u32_e32 v21, vcc, s4, v21
	v_addc_co_u32_e32 v22, vcc, v29, v22, vcc
	v_add_u32_e32 v29, s13, v25
	v_ashrrev_i32_e32 v30, 31, v29
	v_lshlrev_b64 v[25:26], 3, v[29:30]
	v_mov_b32_e32 v41, s5
	v_add_co_u32_e32 v25, vcc, s4, v25
	v_addc_co_u32_e32 v26, vcc, v33, v26, vcc
	v_add_u32_e32 v33, s13, v29
	;; [unrolled: 6-line block ×20, first 2 shown]
	v_ashrrev_i32_e32 v80, 31, v79
	v_lshlrev_b64 v[77:78], 3, v[79:80]
	s_ashr_i32 s7, s13, 31
	v_add_co_u32_e32 v77, vcc, s4, v77
	v_addc_co_u32_e32 v78, vcc, v81, v78, vcc
	v_add_u32_e32 v81, s13, v79
	v_ashrrev_i32_e32 v82, 31, v81
	v_lshlrev_b64 v[79:80], 3, v[81:82]
	s_mov_b32 s6, s13
	v_add_co_u32_e32 v79, vcc, s4, v79
	v_addc_co_u32_e32 v80, vcc, v83, v80, vcc
	v_add_u32_e32 v83, s13, v81
	v_ashrrev_i32_e32 v84, 31, v83
	v_lshlrev_b64 v[81:82], 3, v[83:84]
	v_mov_b32_e32 v84, s5
	v_add_co_u32_e32 v101, vcc, s4, v105
	v_addc_co_u32_e32 v102, vcc, 0, v84, vcc
	s_lshl_b64 s[6:7], s[6:7], 3
	v_mov_b32_e32 v84, s7
	v_add_co_u32_e32 v99, vcc, s6, v101
	global_load_dwordx2 v[103:104], v105, s[4:5]
	global_load_dwordx2 v[108:109], v[5:6], off
	global_load_dwordx2 v[110:111], v[1:2], off
	v_addc_co_u32_e32 v100, vcc, v102, v84, vcc
	global_load_dwordx2 v[106:107], v[99:100], off
	global_load_dwordx2 v[112:113], v[9:10], off
	;; [unrolled: 1-line block ×4, first 2 shown]
	v_mov_b32_e32 v85, s5
	v_add_co_u32_e32 v81, vcc, s4, v81
	v_addc_co_u32_e32 v82, vcc, v85, v82, vcc
	v_add_u32_e32 v85, s13, v83
	v_ashrrev_i32_e32 v86, 31, v85
	v_lshlrev_b64 v[83:84], 3, v[85:86]
	v_mov_b32_e32 v87, s5
	v_add_co_u32_e32 v83, vcc, s4, v83
	v_addc_co_u32_e32 v84, vcc, v87, v84, vcc
	v_add_u32_e32 v87, s13, v85
	v_ashrrev_i32_e32 v88, 31, v87
	v_lshlrev_b64 v[85:86], 3, v[87:88]
	;; [unrolled: 6-line block ×7, first 2 shown]
	v_add_u32_e32 v97, s13, v97
	v_mov_b32_e32 v114, s5
	v_add_co_u32_e32 v95, vcc, s4, v95
	v_ashrrev_i32_e32 v98, 31, v97
	v_addc_co_u32_e32 v96, vcc, v114, v96, vcc
	global_load_dwordx2 v[114:115], v[3:4], off
	v_lshlrev_b64 v[97:98], 3, v[97:98]
	v_mov_b32_e32 v120, s5
	v_add_co_u32_e32 v97, vcc, s4, v97
	v_addc_co_u32_e32 v98, vcc, v120, v98, vcc
	global_load_dwordx2 v[120:121], v[15:16], off
	global_load_dwordx2 v[122:123], v[97:98], off
	s_waitcnt vmcnt(9)
	buffer_store_dword v104, off, s[0:3], 0 offset:4
	buffer_store_dword v103, off, s[0:3], 0
	global_load_dwordx2 v[103:104], v[11:12], off
	s_waitcnt vmcnt(9)
	buffer_store_dword v107, off, s[0:3], 0 offset:12
	buffer_store_dword v106, off, s[0:3], 0 offset:8
	global_load_dwordx2 v[106:107], v[17:18], off
	s_nop 0
	buffer_store_dword v109, off, s[0:3], 0 offset:20
	buffer_store_dword v108, off, s[0:3], 0 offset:16
	global_load_dwordx2 v[108:109], v[19:20], off
	s_nop 0
	buffer_store_dword v111, off, s[0:3], 0 offset:28
	buffer_store_dword v110, off, s[0:3], 0 offset:24
	global_load_dwordx2 v[110:111], v[23:24], off
	s_waitcnt vmcnt(17)
	buffer_store_dword v113, off, s[0:3], 0 offset:36
	buffer_store_dword v112, off, s[0:3], 0 offset:32
	global_load_dwordx2 v[112:113], v[27:28], off
	s_waitcnt vmcnt(17)
	buffer_store_dword v115, off, s[0:3], 0 offset:44
	buffer_store_dword v114, off, s[0:3], 0 offset:40
	;; [unrolled: 1-line block ×3, first 2 shown]
	global_load_dwordx2 v[114:115], v[31:32], off
	s_cmpk_lg_i32 s9, 0x84
	buffer_store_dword v116, off, s[0:3], 0 offset:48
	global_load_dwordx2 v[116:117], v[35:36], off
	s_nop 0
	buffer_store_dword v119, off, s[0:3], 0 offset:60
	buffer_store_dword v118, off, s[0:3], 0 offset:56
	global_load_dwordx2 v[118:119], v[39:40], off
	s_waitcnt vmcnt(25)
	buffer_store_dword v121, off, s[0:3], 0 offset:68
	buffer_store_dword v120, off, s[0:3], 0 offset:64
	global_load_dwordx2 v[120:121], v[43:44], off
	s_waitcnt vmcnt(24)
	;; [unrolled: 4-line block ×7, first 2 shown]
	buffer_store_dword v115, off, s[0:3], 0 offset:116
	buffer_store_dword v114, off, s[0:3], 0 offset:112
	s_waitcnt vmcnt(23)
	buffer_store_dword v116, off, s[0:3], 0 offset:120
	buffer_store_dword v117, off, s[0:3], 0 offset:124
	global_load_dwordx2 v[114:115], v[33:34], off
	s_nop 0
	global_load_dwordx2 v[116:117], v[37:38], off
	s_cselect_b64 s[10:11], -1, 0
	s_waitcnt vmcnt(24)
	buffer_store_dword v118, off, s[0:3], 0 offset:128
	buffer_store_dword v119, off, s[0:3], 0 offset:132
	global_load_dwordx2 v[118:119], v[41:42], off
	s_waitcnt vmcnt(24)
	buffer_store_dword v120, off, s[0:3], 0 offset:136
	buffer_store_dword v121, off, s[0:3], 0 offset:140
	global_load_dwordx2 v[120:121], v[45:46], off
	;; [unrolled: 4-line block ×7, first 2 shown]
	s_waitcnt vmcnt(22)
	buffer_store_dword v114, off, s[0:3], 0 offset:184
	buffer_store_dword v115, off, s[0:3], 0 offset:188
	s_waitcnt vmcnt(23)
	buffer_store_dword v116, off, s[0:3], 0 offset:192
	buffer_store_dword v117, off, s[0:3], 0 offset:196
	;; [unrolled: 3-line block ×3, first 2 shown]
	global_load_dwordx2 v[114:115], v[61:62], off
	global_load_dwordx2 v[116:117], v[63:64], off
	s_nop 0
	global_load_dwordx2 v[118:119], v[65:66], off
	s_cmpk_eq_i32 s9, 0x84
	s_waitcnt vmcnt(24)
	buffer_store_dword v121, off, s[0:3], 0 offset:212
	buffer_store_dword v120, off, s[0:3], 0 offset:208
	s_waitcnt vmcnt(23)
	buffer_store_dword v103, off, s[0:3], 0 offset:216
	global_load_dwordx2 v[120:121], v[67:68], off
	s_nop 0
	buffer_store_dword v104, off, s[0:3], 0 offset:220
	global_load_dwordx2 v[103:104], v[69:70], off
	s_waitcnt vmcnt(24)
	buffer_store_dword v106, off, s[0:3], 0 offset:224
	buffer_store_dword v107, off, s[0:3], 0 offset:228
	global_load_dwordx2 v[106:107], v[71:72], off
	s_waitcnt vmcnt(24)
	buffer_store_dword v108, off, s[0:3], 0 offset:232
	buffer_store_dword v109, off, s[0:3], 0 offset:236
	global_load_dwordx2 v[108:109], v[73:74], off
	s_waitcnt vmcnt(24)
	buffer_store_dword v110, off, s[0:3], 0 offset:240
	buffer_store_dword v111, off, s[0:3], 0 offset:244
	global_load_dwordx2 v[110:111], v[75:76], off
	s_waitcnt vmcnt(24)
	buffer_store_dword v113, off, s[0:3], 0 offset:252
	buffer_store_dword v112, off, s[0:3], 0 offset:248
	global_load_dwordx2 v[112:113], v[77:78], off
	s_waitcnt vmcnt(20)
	buffer_store_dword v115, off, s[0:3], 0 offset:260
	buffer_store_dword v114, off, s[0:3], 0 offset:256
	s_waitcnt vmcnt(21)
	buffer_store_dword v116, off, s[0:3], 0 offset:264
	buffer_store_dword v117, off, s[0:3], 0 offset:268
	s_waitcnt vmcnt(22)
	buffer_store_dword v118, off, s[0:3], 0 offset:272
	;; [unrolled: 3-line block ×4, first 2 shown]
	buffer_store_dword v104, off, s[0:3], 0 offset:292
	global_load_dwordx2 v[103:104], v[79:80], off
	s_nop 0
	global_load_dwordx2 v[114:115], v[81:82], off
	global_load_dwordx2 v[116:117], v[85:86], off
	;; [unrolled: 1-line block ×4, first 2 shown]
	s_waitcnt vmcnt(24)
	buffer_store_dword v107, off, s[0:3], 0 offset:300
	buffer_store_dword v106, off, s[0:3], 0 offset:296
	global_load_dwordx2 v[106:107], v[83:84], off
	s_waitcnt vmcnt(24)
	buffer_store_dword v109, off, s[0:3], 0 offset:308
	buffer_store_dword v108, off, s[0:3], 0 offset:304
	global_load_dwordx2 v[108:109], v[87:88], off
	;; [unrolled: 4-line block ×4, first 2 shown]
	s_waitcnt vmcnt(16)
	buffer_store_dword v103, off, s[0:3], 0 offset:328
	buffer_store_dword v104, off, s[0:3], 0 offset:332
	s_waitcnt vmcnt(17)
	buffer_store_dword v114, off, s[0:3], 0 offset:336
	buffer_store_dword v115, off, s[0:3], 0 offset:340
	;; [unrolled: 3-line block ×3, first 2 shown]
	buffer_store_dword v117, off, s[0:3], 0 offset:356
	buffer_store_dword v116, off, s[0:3], 0 offset:352
	s_waitcnt vmcnt(14)
	buffer_store_dword v108, off, s[0:3], 0 offset:360
	buffer_store_dword v109, off, s[0:3], 0 offset:364
	buffer_store_dword v118, off, s[0:3], 0 offset:368
	buffer_store_dword v119, off, s[0:3], 0 offset:372
	s_waitcnt vmcnt(15)
	buffer_store_dword v110, off, s[0:3], 0 offset:376
	buffer_store_dword v111, off, s[0:3], 0 offset:380
	;; [unrolled: 5-line block ×3, first 2 shown]
	buffer_store_dword v123, off, s[0:3], 0 offset:404
	v_mov_b32_e32 v103, 0
	v_mov_b32_e32 v104, 0xbff00000
	buffer_store_dword v122, off, s[0:3], 0 offset:400
	s_cbranch_scc1 .LBB50_3
; %bb.2:
	v_mov_b32_e32 v103, 0
	v_lshl_add_u32 v114, v0, 3, v103
	buffer_load_dword v103, v114, s[0:3], 0 offen
	buffer_load_dword v104, v114, s[0:3], 0 offen offset:4
	s_waitcnt vmcnt(0)
	v_div_scale_f64 v[106:107], s[4:5], v[103:104], v[103:104], 1.0
	v_rcp_f64_e32 v[108:109], v[106:107]
	v_fma_f64 v[110:111], -v[106:107], v[108:109], 1.0
	v_fma_f64 v[108:109], v[108:109], v[110:111], v[108:109]
	v_div_scale_f64 v[110:111], vcc, 1.0, v[103:104], 1.0
	v_fma_f64 v[112:113], -v[106:107], v[108:109], 1.0
	v_fma_f64 v[108:109], v[108:109], v[112:113], v[108:109]
	v_mul_f64 v[112:113], v[110:111], v[108:109]
	v_fma_f64 v[106:107], -v[106:107], v[112:113], v[110:111]
	v_div_fmas_f64 v[106:107], v[106:107], v[108:109], v[112:113]
	v_div_fixup_f64 v[103:104], v[106:107], v[103:104], 1.0
	buffer_store_dword v103, v114, s[0:3], 0 offen
	buffer_store_dword v104, v114, s[0:3], 0 offen offset:4
	v_xor_b32_e32 v104, 0x80000000, v104
.LBB50_3:
	s_cmpk_eq_i32 s8, 0x79
	v_add_u32_e32 v106, 0x1a0, v105
	v_mov_b32_e32 v107, v105
	s_mov_b64 s[4:5], -1
	ds_write_b64 v105, v[103:104]
	s_cbranch_scc1 .LBB50_497
; %bb.4:
	buffer_load_dword v103, off, s[0:3], 0 offset:392
	buffer_load_dword v104, off, s[0:3], 0 offset:396
	s_movk_i32 s12, 0x48
	s_movk_i32 s13, 0x50
	;; [unrolled: 1-line block ×40, first 2 shown]
	v_cmp_eq_u32_e64 s[4:5], 50, v0
	s_waitcnt vmcnt(0)
	ds_write_b64 v106, v[103:104]
	s_waitcnt lgkmcnt(0)
	; wave barrier
	s_and_saveexec_b64 s[6:7], s[4:5]
	s_cbranch_execz .LBB50_10
; %bb.5:
	s_and_b64 vcc, exec, s[10:11]
	s_cbranch_vccz .LBB50_7
; %bb.6:
	buffer_load_dword v103, v107, s[0:3], 0 offen
	buffer_load_dword v104, v107, s[0:3], 0 offen offset:4
	ds_read_b64 v[108:109], v106
	s_waitcnt vmcnt(0) lgkmcnt(0)
	v_mul_f64 v[103:104], v[103:104], v[108:109]
	s_cbranch_execz .LBB50_8
	s_branch .LBB50_9
.LBB50_7:
                                        ; implicit-def: $vgpr103_vgpr104
.LBB50_8:
	ds_read_b64 v[103:104], v106
.LBB50_9:
	v_mov_b32_e32 v108, 0
	ds_read_b64 v[108:109], v108 offset:392
	s_waitcnt lgkmcnt(0)
	v_mul_f64 v[103:104], v[103:104], v[108:109]
	buffer_store_dword v104, off, s[0:3], 0 offset:396
	buffer_store_dword v103, off, s[0:3], 0 offset:392
.LBB50_10:
	s_or_b64 exec, exec, s[6:7]
	buffer_load_dword v103, off, s[0:3], 0 offset:384
	buffer_load_dword v104, off, s[0:3], 0 offset:388
	s_or_b32 s14, 0, 8
	s_mov_b32 s15, 16
	s_mov_b32 s16, 24
	;; [unrolled: 1-line block ×9, first 2 shown]
	v_cmp_lt_u32_e64 s[6:7], 48, v0
	s_waitcnt vmcnt(0)
	ds_write_b64 v106, v[103:104]
	s_waitcnt lgkmcnt(0)
	; wave barrier
	s_and_saveexec_b64 s[8:9], s[6:7]
	s_cbranch_execz .LBB50_16
; %bb.11:
	s_andn2_b64 vcc, exec, s[10:11]
	s_cbranch_vccnz .LBB50_13
; %bb.12:
	buffer_load_dword v103, v107, s[0:3], 0 offen
	buffer_load_dword v104, v107, s[0:3], 0 offen offset:4
	ds_read_b64 v[108:109], v106
	s_waitcnt vmcnt(0) lgkmcnt(0)
	v_mul_f64 v[103:104], v[103:104], v[108:109]
	s_cbranch_execz .LBB50_14
	s_branch .LBB50_15
.LBB50_13:
                                        ; implicit-def: $vgpr103_vgpr104
.LBB50_14:
	ds_read_b64 v[103:104], v106
.LBB50_15:
	buffer_load_dword v112, off, s[0:3], 0 offset:392
	buffer_load_dword v113, off, s[0:3], 0 offset:396
	v_mov_b32_e32 v108, 0
	ds_read2_b64 v[108:111], v108 offset0:48 offset1:101
	s_waitcnt vmcnt(0) lgkmcnt(0)
	v_fma_f64 v[110:111], v[112:113], v[110:111], v[103:104]
	v_cndmask_b32_e64 v104, v104, v111, s[4:5]
	v_cndmask_b32_e64 v103, v103, v110, s[4:5]
	v_mul_f64 v[103:104], v[103:104], v[108:109]
	buffer_store_dword v104, off, s[0:3], 0 offset:388
	buffer_store_dword v103, off, s[0:3], 0 offset:384
.LBB50_16:
	s_or_b64 exec, exec, s[8:9]
	buffer_load_dword v103, off, s[0:3], 0 offset:376
	buffer_load_dword v104, off, s[0:3], 0 offset:380
	v_cmp_lt_u32_e64 s[4:5], 47, v0
	s_waitcnt vmcnt(0)
	ds_write_b64 v106, v[103:104]
	s_waitcnt lgkmcnt(0)
	; wave barrier
	s_and_saveexec_b64 s[8:9], s[4:5]
	s_cbranch_execz .LBB50_26
; %bb.17:
	s_andn2_b64 vcc, exec, s[10:11]
	s_cbranch_vccnz .LBB50_19
; %bb.18:
	buffer_load_dword v103, v107, s[0:3], 0 offen
	buffer_load_dword v104, v107, s[0:3], 0 offen offset:4
	ds_read_b64 v[108:109], v106
	s_waitcnt vmcnt(0) lgkmcnt(0)
	v_mul_f64 v[103:104], v[103:104], v[108:109]
	s_cbranch_execz .LBB50_20
	s_branch .LBB50_21
.LBB50_19:
                                        ; implicit-def: $vgpr103_vgpr104
.LBB50_20:
	ds_read_b64 v[103:104], v106
.LBB50_21:
	s_and_saveexec_b64 s[12:13], s[6:7]
	s_cbranch_execz .LBB50_25
; %bb.22:
	v_subrev_u32_e32 v108, 48, v0
	s_movk_i32 s63, 0x320
	s_mov_b64 s[6:7], 0
.LBB50_23:                              ; =>This Inner Loop Header: Depth=1
	v_mov_b32_e32 v110, s62
	buffer_load_dword v109, v110, s[0:3], 0 offen
	s_nop 0
	buffer_load_dword v110, v110, s[0:3], 0 offen offset:4
	v_mov_b32_e32 v111, s63
	ds_read_b64 v[111:112], v111
	v_add_u32_e32 v108, -1, v108
	s_add_i32 s63, s63, 8
	s_add_i32 s62, s62, 8
	v_cmp_eq_u32_e32 vcc, 0, v108
	s_or_b64 s[6:7], vcc, s[6:7]
	s_waitcnt vmcnt(0) lgkmcnt(0)
	v_fma_f64 v[103:104], v[109:110], v[111:112], v[103:104]
	s_andn2_b64 exec, exec, s[6:7]
	s_cbranch_execnz .LBB50_23
; %bb.24:
	s_or_b64 exec, exec, s[6:7]
.LBB50_25:
	s_or_b64 exec, exec, s[12:13]
	v_mov_b32_e32 v108, 0
	ds_read_b64 v[108:109], v108 offset:376
	s_waitcnt lgkmcnt(0)
	v_mul_f64 v[103:104], v[103:104], v[108:109]
	buffer_store_dword v104, off, s[0:3], 0 offset:380
	buffer_store_dword v103, off, s[0:3], 0 offset:376
.LBB50_26:
	s_or_b64 exec, exec, s[8:9]
	buffer_load_dword v103, off, s[0:3], 0 offset:368
	buffer_load_dword v104, off, s[0:3], 0 offset:372
	v_cmp_lt_u32_e64 s[6:7], 46, v0
	s_waitcnt vmcnt(0)
	ds_write_b64 v106, v[103:104]
	s_waitcnt lgkmcnt(0)
	; wave barrier
	s_and_saveexec_b64 s[8:9], s[6:7]
	s_cbranch_execz .LBB50_36
; %bb.27:
	s_andn2_b64 vcc, exec, s[10:11]
	s_cbranch_vccnz .LBB50_29
; %bb.28:
	buffer_load_dword v103, v107, s[0:3], 0 offen
	buffer_load_dword v104, v107, s[0:3], 0 offen offset:4
	ds_read_b64 v[108:109], v106
	s_waitcnt vmcnt(0) lgkmcnt(0)
	v_mul_f64 v[103:104], v[103:104], v[108:109]
	s_cbranch_execz .LBB50_30
	s_branch .LBB50_31
.LBB50_29:
                                        ; implicit-def: $vgpr103_vgpr104
.LBB50_30:
	ds_read_b64 v[103:104], v106
.LBB50_31:
	s_and_saveexec_b64 s[12:13], s[4:5]
	s_cbranch_execz .LBB50_35
; %bb.32:
	v_subrev_u32_e32 v108, 47, v0
	s_movk_i32 s62, 0x318
	s_mov_b64 s[4:5], 0
.LBB50_33:                              ; =>This Inner Loop Header: Depth=1
	v_mov_b32_e32 v110, s61
	buffer_load_dword v109, v110, s[0:3], 0 offen
	s_nop 0
	buffer_load_dword v110, v110, s[0:3], 0 offen offset:4
	v_mov_b32_e32 v111, s62
	ds_read_b64 v[111:112], v111
	v_add_u32_e32 v108, -1, v108
	s_add_i32 s62, s62, 8
	s_add_i32 s61, s61, 8
	v_cmp_eq_u32_e32 vcc, 0, v108
	s_or_b64 s[4:5], vcc, s[4:5]
	s_waitcnt vmcnt(0) lgkmcnt(0)
	v_fma_f64 v[103:104], v[109:110], v[111:112], v[103:104]
	s_andn2_b64 exec, exec, s[4:5]
	s_cbranch_execnz .LBB50_33
; %bb.34:
	s_or_b64 exec, exec, s[4:5]
.LBB50_35:
	s_or_b64 exec, exec, s[12:13]
	v_mov_b32_e32 v108, 0
	ds_read_b64 v[108:109], v108 offset:368
	s_waitcnt lgkmcnt(0)
	v_mul_f64 v[103:104], v[103:104], v[108:109]
	buffer_store_dword v104, off, s[0:3], 0 offset:372
	buffer_store_dword v103, off, s[0:3], 0 offset:368
.LBB50_36:
	;; [unrolled: 59-line block ×8, first 2 shown]
	s_or_b64 exec, exec, s[8:9]
	buffer_load_dword v103, off, s[0:3], 0 offset:312
	buffer_load_dword v104, off, s[0:3], 0 offset:316
	v_cmp_lt_u32_e64 s[4:5], 39, v0
	s_waitcnt vmcnt(0)
	ds_write_b64 v106, v[103:104]
	s_waitcnt lgkmcnt(0)
	; wave barrier
	s_and_saveexec_b64 s[8:9], s[4:5]
	s_cbranch_execz .LBB50_106
; %bb.97:
	s_andn2_b64 vcc, exec, s[10:11]
	s_cbranch_vccnz .LBB50_99
; %bb.98:
	buffer_load_dword v103, v107, s[0:3], 0 offen
	buffer_load_dword v104, v107, s[0:3], 0 offen offset:4
	ds_read_b64 v[108:109], v106
	s_waitcnt vmcnt(0) lgkmcnt(0)
	v_mul_f64 v[103:104], v[103:104], v[108:109]
	s_cbranch_execz .LBB50_100
	s_branch .LBB50_101
.LBB50_99:
                                        ; implicit-def: $vgpr103_vgpr104
.LBB50_100:
	ds_read_b64 v[103:104], v106
.LBB50_101:
	s_and_saveexec_b64 s[12:13], s[6:7]
	s_cbranch_execz .LBB50_105
; %bb.102:
	v_subrev_u32_e32 v108, 40, v0
	s_movk_i32 s55, 0x2e0
	s_mov_b64 s[6:7], 0
.LBB50_103:                             ; =>This Inner Loop Header: Depth=1
	v_mov_b32_e32 v110, s54
	buffer_load_dword v109, v110, s[0:3], 0 offen
	s_nop 0
	buffer_load_dword v110, v110, s[0:3], 0 offen offset:4
	v_mov_b32_e32 v111, s55
	ds_read_b64 v[111:112], v111
	v_add_u32_e32 v108, -1, v108
	s_add_i32 s55, s55, 8
	s_add_i32 s54, s54, 8
	v_cmp_eq_u32_e32 vcc, 0, v108
	s_or_b64 s[6:7], vcc, s[6:7]
	s_waitcnt vmcnt(0) lgkmcnt(0)
	v_fma_f64 v[103:104], v[109:110], v[111:112], v[103:104]
	s_andn2_b64 exec, exec, s[6:7]
	s_cbranch_execnz .LBB50_103
; %bb.104:
	s_or_b64 exec, exec, s[6:7]
.LBB50_105:
	s_or_b64 exec, exec, s[12:13]
	v_mov_b32_e32 v108, 0
	ds_read_b64 v[108:109], v108 offset:312
	s_waitcnt lgkmcnt(0)
	v_mul_f64 v[103:104], v[103:104], v[108:109]
	buffer_store_dword v104, off, s[0:3], 0 offset:316
	buffer_store_dword v103, off, s[0:3], 0 offset:312
.LBB50_106:
	s_or_b64 exec, exec, s[8:9]
	buffer_load_dword v103, off, s[0:3], 0 offset:304
	buffer_load_dword v104, off, s[0:3], 0 offset:308
	v_cmp_lt_u32_e64 s[6:7], 38, v0
	s_waitcnt vmcnt(0)
	ds_write_b64 v106, v[103:104]
	s_waitcnt lgkmcnt(0)
	; wave barrier
	s_and_saveexec_b64 s[8:9], s[6:7]
	s_cbranch_execz .LBB50_116
; %bb.107:
	s_andn2_b64 vcc, exec, s[10:11]
	s_cbranch_vccnz .LBB50_109
; %bb.108:
	buffer_load_dword v103, v107, s[0:3], 0 offen
	buffer_load_dword v104, v107, s[0:3], 0 offen offset:4
	ds_read_b64 v[108:109], v106
	s_waitcnt vmcnt(0) lgkmcnt(0)
	v_mul_f64 v[103:104], v[103:104], v[108:109]
	s_cbranch_execz .LBB50_110
	s_branch .LBB50_111
.LBB50_109:
                                        ; implicit-def: $vgpr103_vgpr104
.LBB50_110:
	ds_read_b64 v[103:104], v106
.LBB50_111:
	s_and_saveexec_b64 s[12:13], s[4:5]
	s_cbranch_execz .LBB50_115
; %bb.112:
	v_subrev_u32_e32 v108, 39, v0
	s_movk_i32 s54, 0x2d8
	s_mov_b64 s[4:5], 0
.LBB50_113:                             ; =>This Inner Loop Header: Depth=1
	v_mov_b32_e32 v110, s53
	buffer_load_dword v109, v110, s[0:3], 0 offen
	s_nop 0
	buffer_load_dword v110, v110, s[0:3], 0 offen offset:4
	v_mov_b32_e32 v111, s54
	ds_read_b64 v[111:112], v111
	v_add_u32_e32 v108, -1, v108
	s_add_i32 s54, s54, 8
	s_add_i32 s53, s53, 8
	v_cmp_eq_u32_e32 vcc, 0, v108
	s_or_b64 s[4:5], vcc, s[4:5]
	s_waitcnt vmcnt(0) lgkmcnt(0)
	v_fma_f64 v[103:104], v[109:110], v[111:112], v[103:104]
	s_andn2_b64 exec, exec, s[4:5]
	s_cbranch_execnz .LBB50_113
; %bb.114:
	s_or_b64 exec, exec, s[4:5]
.LBB50_115:
	s_or_b64 exec, exec, s[12:13]
	v_mov_b32_e32 v108, 0
	ds_read_b64 v[108:109], v108 offset:304
	s_waitcnt lgkmcnt(0)
	v_mul_f64 v[103:104], v[103:104], v[108:109]
	buffer_store_dword v104, off, s[0:3], 0 offset:308
	buffer_store_dword v103, off, s[0:3], 0 offset:304
.LBB50_116:
	;; [unrolled: 59-line block ×4, first 2 shown]
	s_or_b64 exec, exec, s[8:9]
	buffer_load_dword v103, off, s[0:3], 0 offset:280
	buffer_load_dword v104, off, s[0:3], 0 offset:284
	v_cmp_lt_u32_e64 s[4:5], 35, v0
	s_waitcnt vmcnt(0)
	ds_write_b64 v106, v[103:104]
	s_waitcnt lgkmcnt(0)
	; wave barrier
	s_and_saveexec_b64 s[8:9], s[4:5]
	s_cbranch_execz .LBB50_146
; %bb.137:
	s_andn2_b64 vcc, exec, s[10:11]
	s_cbranch_vccnz .LBB50_139
; %bb.138:
	buffer_load_dword v103, v107, s[0:3], 0 offen
	buffer_load_dword v104, v107, s[0:3], 0 offen offset:4
	ds_read_b64 v[108:109], v106
	s_waitcnt vmcnt(0) lgkmcnt(0)
	v_mul_f64 v[103:104], v[103:104], v[108:109]
	s_cbranch_execz .LBB50_140
	s_branch .LBB50_141
.LBB50_139:
                                        ; implicit-def: $vgpr103_vgpr104
.LBB50_140:
	ds_read_b64 v[103:104], v106
.LBB50_141:
	s_and_saveexec_b64 s[12:13], s[6:7]
	s_cbranch_execz .LBB50_145
; %bb.142:
	v_subrev_u32_e32 v108, 36, v0
	s_movk_i32 s51, 0x2c0
	s_mov_b64 s[6:7], 0
.LBB50_143:                             ; =>This Inner Loop Header: Depth=1
	v_mov_b32_e32 v111, s50
	buffer_load_dword v109, v111, s[0:3], 0 offen
	buffer_load_dword v110, v111, s[0:3], 0 offen offset:4
	v_mov_b32_e32 v111, s51
	ds_read_b64 v[111:112], v111
	v_add_u32_e32 v108, -1, v108
	s_add_i32 s51, s51, 8
	s_add_i32 s50, s50, 8
	v_cmp_eq_u32_e32 vcc, 0, v108
	s_or_b64 s[6:7], vcc, s[6:7]
	s_waitcnt vmcnt(0) lgkmcnt(0)
	v_fma_f64 v[103:104], v[109:110], v[111:112], v[103:104]
	s_andn2_b64 exec, exec, s[6:7]
	s_cbranch_execnz .LBB50_143
; %bb.144:
	s_or_b64 exec, exec, s[6:7]
.LBB50_145:
	s_or_b64 exec, exec, s[12:13]
	v_mov_b32_e32 v108, 0
	ds_read_b64 v[108:109], v108 offset:280
	s_waitcnt lgkmcnt(0)
	v_mul_f64 v[103:104], v[103:104], v[108:109]
	buffer_store_dword v104, off, s[0:3], 0 offset:284
	buffer_store_dword v103, off, s[0:3], 0 offset:280
.LBB50_146:
	s_or_b64 exec, exec, s[8:9]
	buffer_load_dword v103, off, s[0:3], 0 offset:272
	buffer_load_dword v104, off, s[0:3], 0 offset:276
	v_cmp_lt_u32_e64 s[6:7], 34, v0
	s_waitcnt vmcnt(0)
	ds_write_b64 v106, v[103:104]
	s_waitcnt lgkmcnt(0)
	; wave barrier
	s_and_saveexec_b64 s[8:9], s[6:7]
	s_cbranch_execz .LBB50_156
; %bb.147:
	s_andn2_b64 vcc, exec, s[10:11]
	s_cbranch_vccnz .LBB50_149
; %bb.148:
	buffer_load_dword v103, v107, s[0:3], 0 offen
	buffer_load_dword v104, v107, s[0:3], 0 offen offset:4
	ds_read_b64 v[108:109], v106
	s_waitcnt vmcnt(0) lgkmcnt(0)
	v_mul_f64 v[103:104], v[103:104], v[108:109]
	s_cbranch_execz .LBB50_150
	s_branch .LBB50_151
.LBB50_149:
                                        ; implicit-def: $vgpr103_vgpr104
.LBB50_150:
	ds_read_b64 v[103:104], v106
.LBB50_151:
	s_and_saveexec_b64 s[12:13], s[4:5]
	s_cbranch_execz .LBB50_155
; %bb.152:
	v_subrev_u32_e32 v108, 35, v0
	s_movk_i32 s50, 0x2b8
	s_mov_b64 s[4:5], 0
.LBB50_153:                             ; =>This Inner Loop Header: Depth=1
	v_mov_b32_e32 v111, s49
	buffer_load_dword v109, v111, s[0:3], 0 offen
	buffer_load_dword v110, v111, s[0:3], 0 offen offset:4
	v_mov_b32_e32 v111, s50
	ds_read_b64 v[111:112], v111
	v_add_u32_e32 v108, -1, v108
	s_add_i32 s50, s50, 8
	s_add_i32 s49, s49, 8
	v_cmp_eq_u32_e32 vcc, 0, v108
	s_or_b64 s[4:5], vcc, s[4:5]
	s_waitcnt vmcnt(0) lgkmcnt(0)
	v_fma_f64 v[103:104], v[109:110], v[111:112], v[103:104]
	s_andn2_b64 exec, exec, s[4:5]
	s_cbranch_execnz .LBB50_153
; %bb.154:
	s_or_b64 exec, exec, s[4:5]
.LBB50_155:
	s_or_b64 exec, exec, s[12:13]
	v_mov_b32_e32 v108, 0
	ds_read_b64 v[108:109], v108 offset:272
	s_waitcnt lgkmcnt(0)
	v_mul_f64 v[103:104], v[103:104], v[108:109]
	buffer_store_dword v104, off, s[0:3], 0 offset:276
	buffer_store_dword v103, off, s[0:3], 0 offset:272
.LBB50_156:
	;; [unrolled: 58-line block ×20, first 2 shown]
	s_or_b64 exec, exec, s[8:9]
	buffer_load_dword v103, off, s[0:3], 0 offset:120
	buffer_load_dword v104, off, s[0:3], 0 offset:124
	v_cmp_lt_u32_e64 s[4:5], 15, v0
	s_waitcnt vmcnt(0)
	ds_write_b64 v106, v[103:104]
	s_waitcnt lgkmcnt(0)
	; wave barrier
	s_and_saveexec_b64 s[8:9], s[4:5]
	s_cbranch_execz .LBB50_346
; %bb.337:
	s_andn2_b64 vcc, exec, s[10:11]
	s_cbranch_vccnz .LBB50_339
; %bb.338:
	buffer_load_dword v103, v107, s[0:3], 0 offen
	buffer_load_dword v104, v107, s[0:3], 0 offen offset:4
	ds_read_b64 v[108:109], v106
	s_waitcnt vmcnt(0) lgkmcnt(0)
	v_mul_f64 v[103:104], v[103:104], v[108:109]
	s_cbranch_execz .LBB50_340
	s_branch .LBB50_341
.LBB50_339:
                                        ; implicit-def: $vgpr103_vgpr104
.LBB50_340:
	ds_read_b64 v[103:104], v106
.LBB50_341:
	s_and_saveexec_b64 s[12:13], s[6:7]
	s_cbranch_execz .LBB50_345
; %bb.342:
	v_add_u32_e32 v108, -16, v0
	s_movk_i32 s30, 0x220
	s_mov_b64 s[6:7], 0
.LBB50_343:                             ; =>This Inner Loop Header: Depth=1
	v_mov_b32_e32 v111, s29
	buffer_load_dword v109, v111, s[0:3], 0 offen
	buffer_load_dword v110, v111, s[0:3], 0 offen offset:4
	v_mov_b32_e32 v111, s30
	ds_read_b64 v[111:112], v111
	v_add_u32_e32 v108, -1, v108
	s_add_i32 s30, s30, 8
	s_add_i32 s29, s29, 8
	v_cmp_eq_u32_e32 vcc, 0, v108
	s_or_b64 s[6:7], vcc, s[6:7]
	s_waitcnt vmcnt(0) lgkmcnt(0)
	v_fma_f64 v[103:104], v[109:110], v[111:112], v[103:104]
	s_andn2_b64 exec, exec, s[6:7]
	s_cbranch_execnz .LBB50_343
; %bb.344:
	s_or_b64 exec, exec, s[6:7]
.LBB50_345:
	s_or_b64 exec, exec, s[12:13]
	v_mov_b32_e32 v108, 0
	ds_read_b64 v[108:109], v108 offset:120
	s_waitcnt lgkmcnt(0)
	v_mul_f64 v[103:104], v[103:104], v[108:109]
	buffer_store_dword v104, off, s[0:3], 0 offset:124
	buffer_store_dword v103, off, s[0:3], 0 offset:120
.LBB50_346:
	s_or_b64 exec, exec, s[8:9]
	buffer_load_dword v103, off, s[0:3], 0 offset:112
	buffer_load_dword v104, off, s[0:3], 0 offset:116
	v_cmp_lt_u32_e64 s[6:7], 14, v0
	s_waitcnt vmcnt(0)
	ds_write_b64 v106, v[103:104]
	s_waitcnt lgkmcnt(0)
	; wave barrier
	s_and_saveexec_b64 s[8:9], s[6:7]
	s_cbranch_execz .LBB50_356
; %bb.347:
	s_andn2_b64 vcc, exec, s[10:11]
	s_cbranch_vccnz .LBB50_349
; %bb.348:
	buffer_load_dword v103, v107, s[0:3], 0 offen
	buffer_load_dword v104, v107, s[0:3], 0 offen offset:4
	ds_read_b64 v[108:109], v106
	s_waitcnt vmcnt(0) lgkmcnt(0)
	v_mul_f64 v[103:104], v[103:104], v[108:109]
	s_cbranch_execz .LBB50_350
	s_branch .LBB50_351
.LBB50_349:
                                        ; implicit-def: $vgpr103_vgpr104
.LBB50_350:
	ds_read_b64 v[103:104], v106
.LBB50_351:
	s_and_saveexec_b64 s[12:13], s[4:5]
	s_cbranch_execz .LBB50_355
; %bb.352:
	v_add_u32_e32 v108, -15, v0
	s_movk_i32 s29, 0x218
	s_mov_b64 s[4:5], 0
.LBB50_353:                             ; =>This Inner Loop Header: Depth=1
	v_mov_b32_e32 v111, s28
	buffer_load_dword v109, v111, s[0:3], 0 offen
	buffer_load_dword v110, v111, s[0:3], 0 offen offset:4
	v_mov_b32_e32 v111, s29
	ds_read_b64 v[111:112], v111
	v_add_u32_e32 v108, -1, v108
	s_add_i32 s29, s29, 8
	s_add_i32 s28, s28, 8
	v_cmp_eq_u32_e32 vcc, 0, v108
	s_or_b64 s[4:5], vcc, s[4:5]
	s_waitcnt vmcnt(0) lgkmcnt(0)
	v_fma_f64 v[103:104], v[109:110], v[111:112], v[103:104]
	s_andn2_b64 exec, exec, s[4:5]
	s_cbranch_execnz .LBB50_353
; %bb.354:
	s_or_b64 exec, exec, s[4:5]
.LBB50_355:
	s_or_b64 exec, exec, s[12:13]
	v_mov_b32_e32 v108, 0
	ds_read_b64 v[108:109], v108 offset:112
	s_waitcnt lgkmcnt(0)
	v_mul_f64 v[103:104], v[103:104], v[108:109]
	buffer_store_dword v104, off, s[0:3], 0 offset:116
	buffer_store_dword v103, off, s[0:3], 0 offset:112
.LBB50_356:
	s_or_b64 exec, exec, s[8:9]
	buffer_load_dword v103, off, s[0:3], 0 offset:104
	buffer_load_dword v104, off, s[0:3], 0 offset:108
	v_cmp_lt_u32_e64 s[4:5], 13, v0
	s_waitcnt vmcnt(0)
	ds_write_b64 v106, v[103:104]
	s_waitcnt lgkmcnt(0)
	; wave barrier
	s_and_saveexec_b64 s[8:9], s[4:5]
	s_cbranch_execz .LBB50_366
; %bb.357:
	s_andn2_b64 vcc, exec, s[10:11]
	s_cbranch_vccnz .LBB50_359
; %bb.358:
	buffer_load_dword v103, v107, s[0:3], 0 offen
	buffer_load_dword v104, v107, s[0:3], 0 offen offset:4
	ds_read_b64 v[108:109], v106
	s_waitcnt vmcnt(0) lgkmcnt(0)
	v_mul_f64 v[103:104], v[103:104], v[108:109]
	s_cbranch_execz .LBB50_360
	s_branch .LBB50_361
.LBB50_359:
                                        ; implicit-def: $vgpr103_vgpr104
.LBB50_360:
	ds_read_b64 v[103:104], v106
.LBB50_361:
	s_and_saveexec_b64 s[12:13], s[6:7]
	s_cbranch_execz .LBB50_365
; %bb.362:
	v_add_u32_e32 v108, -14, v0
	s_movk_i32 s28, 0x210
	s_mov_b64 s[6:7], 0
.LBB50_363:                             ; =>This Inner Loop Header: Depth=1
	v_mov_b32_e32 v111, s27
	buffer_load_dword v109, v111, s[0:3], 0 offen
	buffer_load_dword v110, v111, s[0:3], 0 offen offset:4
	v_mov_b32_e32 v111, s28
	ds_read_b64 v[111:112], v111
	v_add_u32_e32 v108, -1, v108
	s_add_i32 s28, s28, 8
	s_add_i32 s27, s27, 8
	v_cmp_eq_u32_e32 vcc, 0, v108
	s_or_b64 s[6:7], vcc, s[6:7]
	s_waitcnt vmcnt(0) lgkmcnt(0)
	v_fma_f64 v[103:104], v[109:110], v[111:112], v[103:104]
	s_andn2_b64 exec, exec, s[6:7]
	s_cbranch_execnz .LBB50_363
; %bb.364:
	s_or_b64 exec, exec, s[6:7]
.LBB50_365:
	s_or_b64 exec, exec, s[12:13]
	v_mov_b32_e32 v108, 0
	ds_read_b64 v[108:109], v108 offset:104
	s_waitcnt lgkmcnt(0)
	v_mul_f64 v[103:104], v[103:104], v[108:109]
	buffer_store_dword v104, off, s[0:3], 0 offset:108
	buffer_store_dword v103, off, s[0:3], 0 offset:104
.LBB50_366:
	s_or_b64 exec, exec, s[8:9]
	buffer_load_dword v103, off, s[0:3], 0 offset:96
	buffer_load_dword v104, off, s[0:3], 0 offset:100
	v_cmp_lt_u32_e64 s[6:7], 12, v0
	s_waitcnt vmcnt(0)
	ds_write_b64 v106, v[103:104]
	s_waitcnt lgkmcnt(0)
	; wave barrier
	s_and_saveexec_b64 s[8:9], s[6:7]
	s_cbranch_execz .LBB50_376
; %bb.367:
	s_andn2_b64 vcc, exec, s[10:11]
	s_cbranch_vccnz .LBB50_369
; %bb.368:
	buffer_load_dword v103, v107, s[0:3], 0 offen
	buffer_load_dword v104, v107, s[0:3], 0 offen offset:4
	ds_read_b64 v[108:109], v106
	s_waitcnt vmcnt(0) lgkmcnt(0)
	v_mul_f64 v[103:104], v[103:104], v[108:109]
	s_cbranch_execz .LBB50_370
	s_branch .LBB50_371
.LBB50_369:
                                        ; implicit-def: $vgpr103_vgpr104
.LBB50_370:
	ds_read_b64 v[103:104], v106
.LBB50_371:
	s_and_saveexec_b64 s[12:13], s[4:5]
	s_cbranch_execz .LBB50_375
; %bb.372:
	v_add_u32_e32 v108, -13, v0
	s_movk_i32 s27, 0x208
	s_mov_b64 s[4:5], 0
.LBB50_373:                             ; =>This Inner Loop Header: Depth=1
	v_mov_b32_e32 v111, s26
	buffer_load_dword v109, v111, s[0:3], 0 offen
	buffer_load_dword v110, v111, s[0:3], 0 offen offset:4
	v_mov_b32_e32 v111, s27
	ds_read_b64 v[111:112], v111
	v_add_u32_e32 v108, -1, v108
	s_add_i32 s27, s27, 8
	s_add_i32 s26, s26, 8
	v_cmp_eq_u32_e32 vcc, 0, v108
	s_or_b64 s[4:5], vcc, s[4:5]
	s_waitcnt vmcnt(0) lgkmcnt(0)
	v_fma_f64 v[103:104], v[109:110], v[111:112], v[103:104]
	s_andn2_b64 exec, exec, s[4:5]
	s_cbranch_execnz .LBB50_373
; %bb.374:
	s_or_b64 exec, exec, s[4:5]
.LBB50_375:
	s_or_b64 exec, exec, s[12:13]
	v_mov_b32_e32 v108, 0
	ds_read_b64 v[108:109], v108 offset:96
	s_waitcnt lgkmcnt(0)
	v_mul_f64 v[103:104], v[103:104], v[108:109]
	buffer_store_dword v104, off, s[0:3], 0 offset:100
	buffer_store_dword v103, off, s[0:3], 0 offset:96
.LBB50_376:
	s_or_b64 exec, exec, s[8:9]
	buffer_load_dword v103, off, s[0:3], 0 offset:88
	buffer_load_dword v104, off, s[0:3], 0 offset:92
	v_cmp_lt_u32_e64 s[4:5], 11, v0
	s_waitcnt vmcnt(0)
	ds_write_b64 v106, v[103:104]
	s_waitcnt lgkmcnt(0)
	; wave barrier
	s_and_saveexec_b64 s[8:9], s[4:5]
	s_cbranch_execz .LBB50_386
; %bb.377:
	s_andn2_b64 vcc, exec, s[10:11]
	s_cbranch_vccnz .LBB50_379
; %bb.378:
	buffer_load_dword v103, v107, s[0:3], 0 offen
	buffer_load_dword v104, v107, s[0:3], 0 offen offset:4
	ds_read_b64 v[108:109], v106
	s_waitcnt vmcnt(0) lgkmcnt(0)
	v_mul_f64 v[103:104], v[103:104], v[108:109]
	s_cbranch_execz .LBB50_380
	s_branch .LBB50_381
.LBB50_379:
                                        ; implicit-def: $vgpr103_vgpr104
.LBB50_380:
	ds_read_b64 v[103:104], v106
.LBB50_381:
	s_and_saveexec_b64 s[12:13], s[6:7]
	s_cbranch_execz .LBB50_385
; %bb.382:
	v_add_u32_e32 v108, -12, v0
	s_movk_i32 s26, 0x200
	s_mov_b64 s[6:7], 0
.LBB50_383:                             ; =>This Inner Loop Header: Depth=1
	v_mov_b32_e32 v111, s25
	buffer_load_dword v109, v111, s[0:3], 0 offen
	buffer_load_dword v110, v111, s[0:3], 0 offen offset:4
	v_mov_b32_e32 v111, s26
	ds_read_b64 v[111:112], v111
	v_add_u32_e32 v108, -1, v108
	s_add_i32 s26, s26, 8
	s_add_i32 s25, s25, 8
	v_cmp_eq_u32_e32 vcc, 0, v108
	s_or_b64 s[6:7], vcc, s[6:7]
	s_waitcnt vmcnt(0) lgkmcnt(0)
	v_fma_f64 v[103:104], v[109:110], v[111:112], v[103:104]
	s_andn2_b64 exec, exec, s[6:7]
	s_cbranch_execnz .LBB50_383
; %bb.384:
	s_or_b64 exec, exec, s[6:7]
.LBB50_385:
	s_or_b64 exec, exec, s[12:13]
	v_mov_b32_e32 v108, 0
	ds_read_b64 v[108:109], v108 offset:88
	s_waitcnt lgkmcnt(0)
	v_mul_f64 v[103:104], v[103:104], v[108:109]
	buffer_store_dword v104, off, s[0:3], 0 offset:92
	buffer_store_dword v103, off, s[0:3], 0 offset:88
.LBB50_386:
	s_or_b64 exec, exec, s[8:9]
	buffer_load_dword v103, off, s[0:3], 0 offset:80
	buffer_load_dword v104, off, s[0:3], 0 offset:84
	v_cmp_lt_u32_e64 s[6:7], 10, v0
	s_waitcnt vmcnt(0)
	ds_write_b64 v106, v[103:104]
	s_waitcnt lgkmcnt(0)
	; wave barrier
	s_and_saveexec_b64 s[8:9], s[6:7]
	s_cbranch_execz .LBB50_396
; %bb.387:
	s_andn2_b64 vcc, exec, s[10:11]
	s_cbranch_vccnz .LBB50_389
; %bb.388:
	buffer_load_dword v103, v107, s[0:3], 0 offen
	buffer_load_dword v104, v107, s[0:3], 0 offen offset:4
	ds_read_b64 v[108:109], v106
	s_waitcnt vmcnt(0) lgkmcnt(0)
	v_mul_f64 v[103:104], v[103:104], v[108:109]
	s_cbranch_execz .LBB50_390
	s_branch .LBB50_391
.LBB50_389:
                                        ; implicit-def: $vgpr103_vgpr104
.LBB50_390:
	ds_read_b64 v[103:104], v106
.LBB50_391:
	s_and_saveexec_b64 s[12:13], s[4:5]
	s_cbranch_execz .LBB50_395
; %bb.392:
	v_add_u32_e32 v108, -11, v0
	s_movk_i32 s25, 0x1f8
	s_mov_b64 s[4:5], 0
.LBB50_393:                             ; =>This Inner Loop Header: Depth=1
	v_mov_b32_e32 v111, s24
	buffer_load_dword v109, v111, s[0:3], 0 offen
	buffer_load_dword v110, v111, s[0:3], 0 offen offset:4
	v_mov_b32_e32 v111, s25
	ds_read_b64 v[111:112], v111
	v_add_u32_e32 v108, -1, v108
	s_add_i32 s25, s25, 8
	s_add_i32 s24, s24, 8
	v_cmp_eq_u32_e32 vcc, 0, v108
	s_or_b64 s[4:5], vcc, s[4:5]
	s_waitcnt vmcnt(0) lgkmcnt(0)
	v_fma_f64 v[103:104], v[109:110], v[111:112], v[103:104]
	s_andn2_b64 exec, exec, s[4:5]
	s_cbranch_execnz .LBB50_393
; %bb.394:
	s_or_b64 exec, exec, s[4:5]
.LBB50_395:
	s_or_b64 exec, exec, s[12:13]
	v_mov_b32_e32 v108, 0
	ds_read_b64 v[108:109], v108 offset:80
	s_waitcnt lgkmcnt(0)
	v_mul_f64 v[103:104], v[103:104], v[108:109]
	buffer_store_dword v104, off, s[0:3], 0 offset:84
	buffer_store_dword v103, off, s[0:3], 0 offset:80
.LBB50_396:
	s_or_b64 exec, exec, s[8:9]
	buffer_load_dword v103, off, s[0:3], 0 offset:72
	buffer_load_dword v104, off, s[0:3], 0 offset:76
	v_cmp_lt_u32_e64 s[4:5], 9, v0
	s_waitcnt vmcnt(0)
	ds_write_b64 v106, v[103:104]
	s_waitcnt lgkmcnt(0)
	; wave barrier
	s_and_saveexec_b64 s[8:9], s[4:5]
	s_cbranch_execz .LBB50_406
; %bb.397:
	s_andn2_b64 vcc, exec, s[10:11]
	s_cbranch_vccnz .LBB50_399
; %bb.398:
	buffer_load_dword v103, v107, s[0:3], 0 offen
	buffer_load_dword v104, v107, s[0:3], 0 offen offset:4
	ds_read_b64 v[108:109], v106
	s_waitcnt vmcnt(0) lgkmcnt(0)
	v_mul_f64 v[103:104], v[103:104], v[108:109]
	s_cbranch_execz .LBB50_400
	s_branch .LBB50_401
.LBB50_399:
                                        ; implicit-def: $vgpr103_vgpr104
.LBB50_400:
	ds_read_b64 v[103:104], v106
.LBB50_401:
	s_and_saveexec_b64 s[12:13], s[6:7]
	s_cbranch_execz .LBB50_405
; %bb.402:
	v_add_u32_e32 v108, -10, v0
	s_movk_i32 s24, 0x1f0
	s_mov_b64 s[6:7], 0
.LBB50_403:                             ; =>This Inner Loop Header: Depth=1
	v_mov_b32_e32 v111, s23
	buffer_load_dword v109, v111, s[0:3], 0 offen
	buffer_load_dword v110, v111, s[0:3], 0 offen offset:4
	v_mov_b32_e32 v111, s24
	ds_read_b64 v[111:112], v111
	v_add_u32_e32 v108, -1, v108
	s_add_i32 s24, s24, 8
	s_add_i32 s23, s23, 8
	v_cmp_eq_u32_e32 vcc, 0, v108
	s_or_b64 s[6:7], vcc, s[6:7]
	s_waitcnt vmcnt(0) lgkmcnt(0)
	v_fma_f64 v[103:104], v[109:110], v[111:112], v[103:104]
	s_andn2_b64 exec, exec, s[6:7]
	s_cbranch_execnz .LBB50_403
; %bb.404:
	s_or_b64 exec, exec, s[6:7]
.LBB50_405:
	s_or_b64 exec, exec, s[12:13]
	v_mov_b32_e32 v108, 0
	ds_read_b64 v[108:109], v108 offset:72
	s_waitcnt lgkmcnt(0)
	v_mul_f64 v[103:104], v[103:104], v[108:109]
	buffer_store_dword v104, off, s[0:3], 0 offset:76
	buffer_store_dword v103, off, s[0:3], 0 offset:72
.LBB50_406:
	s_or_b64 exec, exec, s[8:9]
	buffer_load_dword v103, off, s[0:3], 0 offset:64
	buffer_load_dword v104, off, s[0:3], 0 offset:68
	v_cmp_lt_u32_e64 s[6:7], 8, v0
	s_waitcnt vmcnt(0)
	ds_write_b64 v106, v[103:104]
	s_waitcnt lgkmcnt(0)
	; wave barrier
	s_and_saveexec_b64 s[8:9], s[6:7]
	s_cbranch_execz .LBB50_416
; %bb.407:
	s_andn2_b64 vcc, exec, s[10:11]
	s_cbranch_vccnz .LBB50_409
; %bb.408:
	buffer_load_dword v103, v107, s[0:3], 0 offen
	buffer_load_dword v104, v107, s[0:3], 0 offen offset:4
	ds_read_b64 v[108:109], v106
	s_waitcnt vmcnt(0) lgkmcnt(0)
	v_mul_f64 v[103:104], v[103:104], v[108:109]
	s_cbranch_execz .LBB50_410
	s_branch .LBB50_411
.LBB50_409:
                                        ; implicit-def: $vgpr103_vgpr104
.LBB50_410:
	ds_read_b64 v[103:104], v106
.LBB50_411:
	s_and_saveexec_b64 s[12:13], s[4:5]
	s_cbranch_execz .LBB50_415
; %bb.412:
	v_add_u32_e32 v108, -9, v0
	s_movk_i32 s23, 0x1e8
	s_mov_b64 s[4:5], 0
.LBB50_413:                             ; =>This Inner Loop Header: Depth=1
	v_mov_b32_e32 v111, s22
	buffer_load_dword v109, v111, s[0:3], 0 offen
	buffer_load_dword v110, v111, s[0:3], 0 offen offset:4
	v_mov_b32_e32 v111, s23
	ds_read_b64 v[111:112], v111
	v_add_u32_e32 v108, -1, v108
	s_add_i32 s23, s23, 8
	s_add_i32 s22, s22, 8
	v_cmp_eq_u32_e32 vcc, 0, v108
	s_or_b64 s[4:5], vcc, s[4:5]
	s_waitcnt vmcnt(0) lgkmcnt(0)
	v_fma_f64 v[103:104], v[109:110], v[111:112], v[103:104]
	s_andn2_b64 exec, exec, s[4:5]
	s_cbranch_execnz .LBB50_413
; %bb.414:
	s_or_b64 exec, exec, s[4:5]
.LBB50_415:
	s_or_b64 exec, exec, s[12:13]
	v_mov_b32_e32 v108, 0
	ds_read_b64 v[108:109], v108 offset:64
	s_waitcnt lgkmcnt(0)
	v_mul_f64 v[103:104], v[103:104], v[108:109]
	buffer_store_dword v104, off, s[0:3], 0 offset:68
	buffer_store_dword v103, off, s[0:3], 0 offset:64
.LBB50_416:
	s_or_b64 exec, exec, s[8:9]
	buffer_load_dword v103, off, s[0:3], 0 offset:56
	buffer_load_dword v104, off, s[0:3], 0 offset:60
	v_cmp_lt_u32_e64 s[4:5], 7, v0
	s_waitcnt vmcnt(0)
	ds_write_b64 v106, v[103:104]
	s_waitcnt lgkmcnt(0)
	; wave barrier
	s_and_saveexec_b64 s[8:9], s[4:5]
	s_cbranch_execz .LBB50_426
; %bb.417:
	s_andn2_b64 vcc, exec, s[10:11]
	s_cbranch_vccnz .LBB50_419
; %bb.418:
	buffer_load_dword v103, v107, s[0:3], 0 offen
	buffer_load_dword v104, v107, s[0:3], 0 offen offset:4
	ds_read_b64 v[108:109], v106
	s_waitcnt vmcnt(0) lgkmcnt(0)
	v_mul_f64 v[103:104], v[103:104], v[108:109]
	s_cbranch_execz .LBB50_420
	s_branch .LBB50_421
.LBB50_419:
                                        ; implicit-def: $vgpr103_vgpr104
.LBB50_420:
	ds_read_b64 v[103:104], v106
.LBB50_421:
	s_and_saveexec_b64 s[12:13], s[6:7]
	s_cbranch_execz .LBB50_425
; %bb.422:
	v_add_u32_e32 v108, -8, v0
	s_movk_i32 s22, 0x1e0
	s_mov_b64 s[6:7], 0
.LBB50_423:                             ; =>This Inner Loop Header: Depth=1
	v_mov_b32_e32 v111, s21
	buffer_load_dword v109, v111, s[0:3], 0 offen
	buffer_load_dword v110, v111, s[0:3], 0 offen offset:4
	v_mov_b32_e32 v111, s22
	ds_read_b64 v[111:112], v111
	v_add_u32_e32 v108, -1, v108
	s_add_i32 s22, s22, 8
	s_add_i32 s21, s21, 8
	v_cmp_eq_u32_e32 vcc, 0, v108
	s_or_b64 s[6:7], vcc, s[6:7]
	s_waitcnt vmcnt(0) lgkmcnt(0)
	v_fma_f64 v[103:104], v[109:110], v[111:112], v[103:104]
	s_andn2_b64 exec, exec, s[6:7]
	s_cbranch_execnz .LBB50_423
; %bb.424:
	s_or_b64 exec, exec, s[6:7]
.LBB50_425:
	s_or_b64 exec, exec, s[12:13]
	v_mov_b32_e32 v108, 0
	ds_read_b64 v[108:109], v108 offset:56
	s_waitcnt lgkmcnt(0)
	v_mul_f64 v[103:104], v[103:104], v[108:109]
	buffer_store_dword v104, off, s[0:3], 0 offset:60
	buffer_store_dword v103, off, s[0:3], 0 offset:56
.LBB50_426:
	s_or_b64 exec, exec, s[8:9]
	buffer_load_dword v103, off, s[0:3], 0 offset:48
	buffer_load_dword v104, off, s[0:3], 0 offset:52
	v_cmp_lt_u32_e64 s[6:7], 6, v0
	s_waitcnt vmcnt(0)
	ds_write_b64 v106, v[103:104]
	s_waitcnt lgkmcnt(0)
	; wave barrier
	s_and_saveexec_b64 s[8:9], s[6:7]
	s_cbranch_execz .LBB50_436
; %bb.427:
	s_andn2_b64 vcc, exec, s[10:11]
	s_cbranch_vccnz .LBB50_429
; %bb.428:
	buffer_load_dword v103, v107, s[0:3], 0 offen
	buffer_load_dword v104, v107, s[0:3], 0 offen offset:4
	ds_read_b64 v[108:109], v106
	s_waitcnt vmcnt(0) lgkmcnt(0)
	v_mul_f64 v[103:104], v[103:104], v[108:109]
	s_cbranch_execz .LBB50_430
	s_branch .LBB50_431
.LBB50_429:
                                        ; implicit-def: $vgpr103_vgpr104
.LBB50_430:
	ds_read_b64 v[103:104], v106
.LBB50_431:
	s_and_saveexec_b64 s[12:13], s[4:5]
	s_cbranch_execz .LBB50_435
; %bb.432:
	v_add_u32_e32 v108, -7, v0
	s_movk_i32 s21, 0x1d8
	s_mov_b64 s[4:5], 0
.LBB50_433:                             ; =>This Inner Loop Header: Depth=1
	v_mov_b32_e32 v111, s20
	buffer_load_dword v109, v111, s[0:3], 0 offen
	buffer_load_dword v110, v111, s[0:3], 0 offen offset:4
	v_mov_b32_e32 v111, s21
	ds_read_b64 v[111:112], v111
	v_add_u32_e32 v108, -1, v108
	s_add_i32 s21, s21, 8
	s_add_i32 s20, s20, 8
	v_cmp_eq_u32_e32 vcc, 0, v108
	s_or_b64 s[4:5], vcc, s[4:5]
	s_waitcnt vmcnt(0) lgkmcnt(0)
	v_fma_f64 v[103:104], v[109:110], v[111:112], v[103:104]
	s_andn2_b64 exec, exec, s[4:5]
	s_cbranch_execnz .LBB50_433
; %bb.434:
	s_or_b64 exec, exec, s[4:5]
.LBB50_435:
	s_or_b64 exec, exec, s[12:13]
	v_mov_b32_e32 v108, 0
	ds_read_b64 v[108:109], v108 offset:48
	s_waitcnt lgkmcnt(0)
	v_mul_f64 v[103:104], v[103:104], v[108:109]
	buffer_store_dword v104, off, s[0:3], 0 offset:52
	buffer_store_dword v103, off, s[0:3], 0 offset:48
.LBB50_436:
	s_or_b64 exec, exec, s[8:9]
	buffer_load_dword v103, off, s[0:3], 0 offset:40
	buffer_load_dword v104, off, s[0:3], 0 offset:44
	v_cmp_lt_u32_e64 s[4:5], 5, v0
	s_waitcnt vmcnt(0)
	ds_write_b64 v106, v[103:104]
	s_waitcnt lgkmcnt(0)
	; wave barrier
	s_and_saveexec_b64 s[8:9], s[4:5]
	s_cbranch_execz .LBB50_446
; %bb.437:
	s_andn2_b64 vcc, exec, s[10:11]
	s_cbranch_vccnz .LBB50_439
; %bb.438:
	buffer_load_dword v103, v107, s[0:3], 0 offen
	buffer_load_dword v104, v107, s[0:3], 0 offen offset:4
	ds_read_b64 v[108:109], v106
	s_waitcnt vmcnt(0) lgkmcnt(0)
	v_mul_f64 v[103:104], v[103:104], v[108:109]
	s_cbranch_execz .LBB50_440
	s_branch .LBB50_441
.LBB50_439:
                                        ; implicit-def: $vgpr103_vgpr104
.LBB50_440:
	ds_read_b64 v[103:104], v106
.LBB50_441:
	s_and_saveexec_b64 s[12:13], s[6:7]
	s_cbranch_execz .LBB50_445
; %bb.442:
	v_add_u32_e32 v108, -6, v0
	s_movk_i32 s20, 0x1d0
	s_mov_b64 s[6:7], 0
.LBB50_443:                             ; =>This Inner Loop Header: Depth=1
	v_mov_b32_e32 v111, s19
	buffer_load_dword v109, v111, s[0:3], 0 offen
	buffer_load_dword v110, v111, s[0:3], 0 offen offset:4
	v_mov_b32_e32 v111, s20
	ds_read_b64 v[111:112], v111
	v_add_u32_e32 v108, -1, v108
	s_add_i32 s20, s20, 8
	s_add_i32 s19, s19, 8
	v_cmp_eq_u32_e32 vcc, 0, v108
	s_or_b64 s[6:7], vcc, s[6:7]
	s_waitcnt vmcnt(0) lgkmcnt(0)
	v_fma_f64 v[103:104], v[109:110], v[111:112], v[103:104]
	s_andn2_b64 exec, exec, s[6:7]
	s_cbranch_execnz .LBB50_443
; %bb.444:
	s_or_b64 exec, exec, s[6:7]
.LBB50_445:
	s_or_b64 exec, exec, s[12:13]
	v_mov_b32_e32 v108, 0
	ds_read_b64 v[108:109], v108 offset:40
	s_waitcnt lgkmcnt(0)
	v_mul_f64 v[103:104], v[103:104], v[108:109]
	buffer_store_dword v104, off, s[0:3], 0 offset:44
	buffer_store_dword v103, off, s[0:3], 0 offset:40
.LBB50_446:
	s_or_b64 exec, exec, s[8:9]
	buffer_load_dword v103, off, s[0:3], 0 offset:32
	buffer_load_dword v104, off, s[0:3], 0 offset:36
	v_cmp_lt_u32_e64 s[6:7], 4, v0
	s_waitcnt vmcnt(0)
	ds_write_b64 v106, v[103:104]
	s_waitcnt lgkmcnt(0)
	; wave barrier
	s_and_saveexec_b64 s[8:9], s[6:7]
	s_cbranch_execz .LBB50_456
; %bb.447:
	s_andn2_b64 vcc, exec, s[10:11]
	s_cbranch_vccnz .LBB50_449
; %bb.448:
	buffer_load_dword v103, v107, s[0:3], 0 offen
	buffer_load_dword v104, v107, s[0:3], 0 offen offset:4
	ds_read_b64 v[108:109], v106
	s_waitcnt vmcnt(0) lgkmcnt(0)
	v_mul_f64 v[103:104], v[103:104], v[108:109]
	s_cbranch_execz .LBB50_450
	s_branch .LBB50_451
.LBB50_449:
                                        ; implicit-def: $vgpr103_vgpr104
.LBB50_450:
	ds_read_b64 v[103:104], v106
.LBB50_451:
	s_and_saveexec_b64 s[12:13], s[4:5]
	s_cbranch_execz .LBB50_455
; %bb.452:
	v_add_u32_e32 v108, -5, v0
	s_movk_i32 s19, 0x1c8
	s_mov_b64 s[4:5], 0
.LBB50_453:                             ; =>This Inner Loop Header: Depth=1
	v_mov_b32_e32 v111, s18
	buffer_load_dword v109, v111, s[0:3], 0 offen
	buffer_load_dword v110, v111, s[0:3], 0 offen offset:4
	v_mov_b32_e32 v111, s19
	ds_read_b64 v[111:112], v111
	v_add_u32_e32 v108, -1, v108
	s_add_i32 s19, s19, 8
	s_add_i32 s18, s18, 8
	v_cmp_eq_u32_e32 vcc, 0, v108
	s_or_b64 s[4:5], vcc, s[4:5]
	s_waitcnt vmcnt(0) lgkmcnt(0)
	v_fma_f64 v[103:104], v[109:110], v[111:112], v[103:104]
	s_andn2_b64 exec, exec, s[4:5]
	s_cbranch_execnz .LBB50_453
; %bb.454:
	s_or_b64 exec, exec, s[4:5]
.LBB50_455:
	s_or_b64 exec, exec, s[12:13]
	v_mov_b32_e32 v108, 0
	ds_read_b64 v[108:109], v108 offset:32
	s_waitcnt lgkmcnt(0)
	v_mul_f64 v[103:104], v[103:104], v[108:109]
	buffer_store_dword v104, off, s[0:3], 0 offset:36
	buffer_store_dword v103, off, s[0:3], 0 offset:32
.LBB50_456:
	s_or_b64 exec, exec, s[8:9]
	buffer_load_dword v103, off, s[0:3], 0 offset:24
	buffer_load_dword v104, off, s[0:3], 0 offset:28
	v_cmp_lt_u32_e64 s[4:5], 3, v0
	s_waitcnt vmcnt(0)
	ds_write_b64 v106, v[103:104]
	s_waitcnt lgkmcnt(0)
	; wave barrier
	s_and_saveexec_b64 s[8:9], s[4:5]
	s_cbranch_execz .LBB50_466
; %bb.457:
	s_andn2_b64 vcc, exec, s[10:11]
	s_cbranch_vccnz .LBB50_459
; %bb.458:
	buffer_load_dword v103, v107, s[0:3], 0 offen
	buffer_load_dword v104, v107, s[0:3], 0 offen offset:4
	ds_read_b64 v[108:109], v106
	s_waitcnt vmcnt(0) lgkmcnt(0)
	v_mul_f64 v[103:104], v[103:104], v[108:109]
	s_cbranch_execz .LBB50_460
	s_branch .LBB50_461
.LBB50_459:
                                        ; implicit-def: $vgpr103_vgpr104
.LBB50_460:
	ds_read_b64 v[103:104], v106
.LBB50_461:
	s_and_saveexec_b64 s[12:13], s[6:7]
	s_cbranch_execz .LBB50_465
; %bb.462:
	v_add_u32_e32 v108, -4, v0
	s_movk_i32 s18, 0x1c0
	s_mov_b64 s[6:7], 0
.LBB50_463:                             ; =>This Inner Loop Header: Depth=1
	v_mov_b32_e32 v111, s17
	buffer_load_dword v109, v111, s[0:3], 0 offen
	buffer_load_dword v110, v111, s[0:3], 0 offen offset:4
	v_mov_b32_e32 v111, s18
	ds_read_b64 v[111:112], v111
	v_add_u32_e32 v108, -1, v108
	s_add_i32 s18, s18, 8
	s_add_i32 s17, s17, 8
	v_cmp_eq_u32_e32 vcc, 0, v108
	s_or_b64 s[6:7], vcc, s[6:7]
	s_waitcnt vmcnt(0) lgkmcnt(0)
	v_fma_f64 v[103:104], v[109:110], v[111:112], v[103:104]
	s_andn2_b64 exec, exec, s[6:7]
	s_cbranch_execnz .LBB50_463
; %bb.464:
	s_or_b64 exec, exec, s[6:7]
.LBB50_465:
	s_or_b64 exec, exec, s[12:13]
	v_mov_b32_e32 v108, 0
	ds_read_b64 v[108:109], v108 offset:24
	s_waitcnt lgkmcnt(0)
	v_mul_f64 v[103:104], v[103:104], v[108:109]
	buffer_store_dword v104, off, s[0:3], 0 offset:28
	buffer_store_dword v103, off, s[0:3], 0 offset:24
.LBB50_466:
	s_or_b64 exec, exec, s[8:9]
	buffer_load_dword v103, off, s[0:3], 0 offset:16
	buffer_load_dword v104, off, s[0:3], 0 offset:20
	v_cmp_lt_u32_e64 s[6:7], 2, v0
	s_waitcnt vmcnt(0)
	ds_write_b64 v106, v[103:104]
	s_waitcnt lgkmcnt(0)
	; wave barrier
	s_and_saveexec_b64 s[8:9], s[6:7]
	s_cbranch_execz .LBB50_476
; %bb.467:
	s_andn2_b64 vcc, exec, s[10:11]
	s_cbranch_vccnz .LBB50_469
; %bb.468:
	buffer_load_dword v103, v107, s[0:3], 0 offen
	buffer_load_dword v104, v107, s[0:3], 0 offen offset:4
	ds_read_b64 v[108:109], v106
	s_waitcnt vmcnt(0) lgkmcnt(0)
	v_mul_f64 v[103:104], v[103:104], v[108:109]
	s_cbranch_execz .LBB50_470
	s_branch .LBB50_471
.LBB50_469:
                                        ; implicit-def: $vgpr103_vgpr104
.LBB50_470:
	ds_read_b64 v[103:104], v106
.LBB50_471:
	s_and_saveexec_b64 s[12:13], s[4:5]
	s_cbranch_execz .LBB50_475
; %bb.472:
	v_add_u32_e32 v108, -3, v0
	s_movk_i32 s17, 0x1b8
	s_mov_b64 s[4:5], 0
.LBB50_473:                             ; =>This Inner Loop Header: Depth=1
	v_mov_b32_e32 v111, s16
	buffer_load_dword v109, v111, s[0:3], 0 offen
	buffer_load_dword v110, v111, s[0:3], 0 offen offset:4
	v_mov_b32_e32 v111, s17
	ds_read_b64 v[111:112], v111
	v_add_u32_e32 v108, -1, v108
	s_add_i32 s17, s17, 8
	s_add_i32 s16, s16, 8
	v_cmp_eq_u32_e32 vcc, 0, v108
	s_or_b64 s[4:5], vcc, s[4:5]
	s_waitcnt vmcnt(0) lgkmcnt(0)
	v_fma_f64 v[103:104], v[109:110], v[111:112], v[103:104]
	s_andn2_b64 exec, exec, s[4:5]
	s_cbranch_execnz .LBB50_473
; %bb.474:
	s_or_b64 exec, exec, s[4:5]
.LBB50_475:
	s_or_b64 exec, exec, s[12:13]
	v_mov_b32_e32 v108, 0
	ds_read_b64 v[108:109], v108 offset:16
	s_waitcnt lgkmcnt(0)
	v_mul_f64 v[103:104], v[103:104], v[108:109]
	buffer_store_dword v104, off, s[0:3], 0 offset:20
	buffer_store_dword v103, off, s[0:3], 0 offset:16
.LBB50_476:
	s_or_b64 exec, exec, s[8:9]
	buffer_load_dword v103, off, s[0:3], 0 offset:8
	buffer_load_dword v104, off, s[0:3], 0 offset:12
	v_cmp_lt_u32_e64 s[4:5], 1, v0
	s_waitcnt vmcnt(0)
	ds_write_b64 v106, v[103:104]
	s_waitcnt lgkmcnt(0)
	; wave barrier
	s_and_saveexec_b64 s[8:9], s[4:5]
	s_cbranch_execz .LBB50_486
; %bb.477:
	s_andn2_b64 vcc, exec, s[10:11]
	s_cbranch_vccnz .LBB50_479
; %bb.478:
	buffer_load_dword v103, v107, s[0:3], 0 offen
	buffer_load_dword v104, v107, s[0:3], 0 offen offset:4
	ds_read_b64 v[108:109], v106
	s_waitcnt vmcnt(0) lgkmcnt(0)
	v_mul_f64 v[103:104], v[103:104], v[108:109]
	s_cbranch_execz .LBB50_480
	s_branch .LBB50_481
.LBB50_479:
                                        ; implicit-def: $vgpr103_vgpr104
.LBB50_480:
	ds_read_b64 v[103:104], v106
.LBB50_481:
	s_and_saveexec_b64 s[12:13], s[6:7]
	s_cbranch_execz .LBB50_485
; %bb.482:
	v_add_u32_e32 v108, -2, v0
	s_movk_i32 s16, 0x1b0
	s_mov_b64 s[6:7], 0
.LBB50_483:                             ; =>This Inner Loop Header: Depth=1
	v_mov_b32_e32 v111, s15
	buffer_load_dword v109, v111, s[0:3], 0 offen
	buffer_load_dword v110, v111, s[0:3], 0 offen offset:4
	v_mov_b32_e32 v111, s16
	ds_read_b64 v[111:112], v111
	v_add_u32_e32 v108, -1, v108
	s_add_i32 s16, s16, 8
	s_add_i32 s15, s15, 8
	v_cmp_eq_u32_e32 vcc, 0, v108
	s_or_b64 s[6:7], vcc, s[6:7]
	s_waitcnt vmcnt(0) lgkmcnt(0)
	v_fma_f64 v[103:104], v[109:110], v[111:112], v[103:104]
	s_andn2_b64 exec, exec, s[6:7]
	s_cbranch_execnz .LBB50_483
; %bb.484:
	s_or_b64 exec, exec, s[6:7]
.LBB50_485:
	s_or_b64 exec, exec, s[12:13]
	v_mov_b32_e32 v108, 0
	ds_read_b64 v[108:109], v108 offset:8
	s_waitcnt lgkmcnt(0)
	v_mul_f64 v[103:104], v[103:104], v[108:109]
	buffer_store_dword v104, off, s[0:3], 0 offset:12
	buffer_store_dword v103, off, s[0:3], 0 offset:8
.LBB50_486:
	s_or_b64 exec, exec, s[8:9]
	buffer_load_dword v103, off, s[0:3], 0
	buffer_load_dword v104, off, s[0:3], 0 offset:4
	v_cmp_ne_u32_e32 vcc, 0, v0
	s_waitcnt vmcnt(0)
	ds_write_b64 v106, v[103:104]
	s_waitcnt lgkmcnt(0)
	; wave barrier
	s_and_saveexec_b64 s[6:7], vcc
	s_cbranch_execz .LBB50_496
; %bb.487:
	s_andn2_b64 vcc, exec, s[10:11]
	s_cbranch_vccnz .LBB50_489
; %bb.488:
	buffer_load_dword v103, v107, s[0:3], 0 offen
	buffer_load_dword v104, v107, s[0:3], 0 offen offset:4
	ds_read_b64 v[108:109], v106
	s_waitcnt vmcnt(0) lgkmcnt(0)
	v_mul_f64 v[103:104], v[103:104], v[108:109]
	s_cbranch_execz .LBB50_490
	s_branch .LBB50_491
.LBB50_489:
                                        ; implicit-def: $vgpr103_vgpr104
.LBB50_490:
	ds_read_b64 v[103:104], v106
.LBB50_491:
	s_and_saveexec_b64 s[8:9], s[4:5]
	s_cbranch_execz .LBB50_495
; %bb.492:
	v_add_u32_e32 v108, -1, v0
	s_movk_i32 s12, 0x1a8
	s_mov_b64 s[4:5], 0
.LBB50_493:                             ; =>This Inner Loop Header: Depth=1
	v_mov_b32_e32 v111, s14
	buffer_load_dword v109, v111, s[0:3], 0 offen
	buffer_load_dword v110, v111, s[0:3], 0 offen offset:4
	v_mov_b32_e32 v111, s12
	ds_read_b64 v[111:112], v111
	v_add_u32_e32 v108, -1, v108
	s_add_i32 s12, s12, 8
	s_add_i32 s14, s14, 8
	v_cmp_eq_u32_e32 vcc, 0, v108
	s_or_b64 s[4:5], vcc, s[4:5]
	s_waitcnt vmcnt(0) lgkmcnt(0)
	v_fma_f64 v[103:104], v[109:110], v[111:112], v[103:104]
	s_andn2_b64 exec, exec, s[4:5]
	s_cbranch_execnz .LBB50_493
; %bb.494:
	s_or_b64 exec, exec, s[4:5]
.LBB50_495:
	s_or_b64 exec, exec, s[8:9]
	v_mov_b32_e32 v108, 0
	ds_read_b64 v[108:109], v108
	s_waitcnt lgkmcnt(0)
	v_mul_f64 v[103:104], v[103:104], v[108:109]
	buffer_store_dword v104, off, s[0:3], 0 offset:4
	buffer_store_dword v103, off, s[0:3], 0
.LBB50_496:
	s_or_b64 exec, exec, s[6:7]
	s_mov_b64 s[4:5], 0
.LBB50_497:
	s_and_b64 vcc, exec, s[4:5]
	s_cbranch_vccz .LBB50_989
; %bb.498:
	buffer_load_dword v103, off, s[0:3], 0 offset:8
	buffer_load_dword v104, off, s[0:3], 0 offset:12
	v_cmp_eq_u32_e64 s[6:7], 0, v0
	s_waitcnt vmcnt(0)
	ds_write_b64 v106, v[103:104]
	s_waitcnt lgkmcnt(0)
	; wave barrier
	s_and_saveexec_b64 s[4:5], s[6:7]
	s_cbranch_execz .LBB50_504
; %bb.499:
	s_and_b64 vcc, exec, s[10:11]
	s_cbranch_vccz .LBB50_501
; %bb.500:
	buffer_load_dword v103, v107, s[0:3], 0 offen
	buffer_load_dword v104, v107, s[0:3], 0 offen offset:4
	ds_read_b64 v[108:109], v106
	s_waitcnt vmcnt(0) lgkmcnt(0)
	v_mul_f64 v[103:104], v[103:104], v[108:109]
	s_cbranch_execz .LBB50_502
	s_branch .LBB50_503
.LBB50_501:
                                        ; implicit-def: $vgpr103_vgpr104
.LBB50_502:
	ds_read_b64 v[103:104], v106
.LBB50_503:
	v_mov_b32_e32 v108, 0
	ds_read_b64 v[108:109], v108 offset:8
	s_waitcnt lgkmcnt(0)
	v_mul_f64 v[103:104], v[103:104], v[108:109]
	buffer_store_dword v104, off, s[0:3], 0 offset:12
	buffer_store_dword v103, off, s[0:3], 0 offset:8
.LBB50_504:
	s_or_b64 exec, exec, s[4:5]
	buffer_load_dword v103, off, s[0:3], 0 offset:16
	buffer_load_dword v104, off, s[0:3], 0 offset:20
	v_cndmask_b32_e64 v108, 0, 1, s[10:11]
	v_cmp_gt_u32_e32 vcc, 2, v0
	v_cmp_ne_u32_e64 s[4:5], 1, v108
	s_waitcnt vmcnt(0)
	ds_write_b64 v106, v[103:104]
	s_waitcnt lgkmcnt(0)
	; wave barrier
	s_and_saveexec_b64 s[8:9], vcc
	s_cbranch_execz .LBB50_510
; %bb.505:
	s_and_b64 vcc, exec, s[4:5]
	s_cbranch_vccnz .LBB50_507
; %bb.506:
	buffer_load_dword v103, v107, s[0:3], 0 offen
	buffer_load_dword v104, v107, s[0:3], 0 offen offset:4
	ds_read_b64 v[108:109], v106
	s_waitcnt vmcnt(0) lgkmcnt(0)
	v_mul_f64 v[103:104], v[103:104], v[108:109]
	s_cbranch_execz .LBB50_508
	s_branch .LBB50_509
.LBB50_507:
                                        ; implicit-def: $vgpr103_vgpr104
.LBB50_508:
	ds_read_b64 v[103:104], v106
.LBB50_509:
	buffer_load_dword v112, off, s[0:3], 0 offset:8
	buffer_load_dword v113, off, s[0:3], 0 offset:12
	v_mov_b32_e32 v108, 0
	ds_read2_b64 v[108:111], v108 offset0:2 offset1:53
	s_waitcnt vmcnt(0) lgkmcnt(0)
	v_fma_f64 v[110:111], v[112:113], v[110:111], v[103:104]
	v_cndmask_b32_e64 v104, v104, v111, s[6:7]
	v_cndmask_b32_e64 v103, v103, v110, s[6:7]
	v_mul_f64 v[103:104], v[103:104], v[108:109]
	buffer_store_dword v104, off, s[0:3], 0 offset:20
	buffer_store_dword v103, off, s[0:3], 0 offset:16
.LBB50_510:
	s_or_b64 exec, exec, s[8:9]
	buffer_load_dword v103, off, s[0:3], 0 offset:24
	buffer_load_dword v104, off, s[0:3], 0 offset:28
	v_cmp_gt_u32_e32 vcc, 3, v0
	s_waitcnt vmcnt(0)
	ds_write_b64 v106, v[103:104]
	s_waitcnt lgkmcnt(0)
	; wave barrier
	s_and_saveexec_b64 s[8:9], vcc
	s_cbranch_execz .LBB50_518
; %bb.511:
	s_and_b64 vcc, exec, s[4:5]
	s_cbranch_vccnz .LBB50_513
; %bb.512:
	buffer_load_dword v103, v107, s[0:3], 0 offen
	buffer_load_dword v104, v107, s[0:3], 0 offen offset:4
	ds_read_b64 v[108:109], v106
	s_waitcnt vmcnt(0) lgkmcnt(0)
	v_mul_f64 v[103:104], v[103:104], v[108:109]
	s_cbranch_execz .LBB50_514
	s_branch .LBB50_515
.LBB50_513:
                                        ; implicit-def: $vgpr103_vgpr104
.LBB50_514:
	ds_read_b64 v[103:104], v106
.LBB50_515:
	v_cmp_ne_u32_e32 vcc, 2, v0
	s_and_saveexec_b64 s[10:11], vcc
	s_cbranch_execz .LBB50_517
; %bb.516:
	buffer_load_dword v108, v107, s[0:3], 0 offen offset:8
	buffer_load_dword v109, v107, s[0:3], 0 offen offset:12
	buffer_load_dword v110, off, s[0:3], 0 offset:16
	buffer_load_dword v111, off, s[0:3], 0 offset:20
	ds_read_b64 v[112:113], v106 offset:8
	v_mov_b32_e32 v114, 0
	ds_read_b64 v[114:115], v114 offset:432
	s_waitcnt vmcnt(2) lgkmcnt(1)
	v_fma_f64 v[103:104], v[108:109], v[112:113], v[103:104]
	s_waitcnt vmcnt(0) lgkmcnt(0)
	v_fma_f64 v[108:109], v[110:111], v[114:115], v[103:104]
	v_cndmask_b32_e64 v104, v104, v109, s[6:7]
	v_cndmask_b32_e64 v103, v103, v108, s[6:7]
.LBB50_517:
	s_or_b64 exec, exec, s[10:11]
	v_mov_b32_e32 v108, 0
	ds_read_b64 v[108:109], v108 offset:24
	s_waitcnt lgkmcnt(0)
	v_mul_f64 v[103:104], v[103:104], v[108:109]
	buffer_store_dword v104, off, s[0:3], 0 offset:28
	buffer_store_dword v103, off, s[0:3], 0 offset:24
.LBB50_518:
	s_or_b64 exec, exec, s[8:9]
	buffer_load_dword v103, off, s[0:3], 0 offset:32
	buffer_load_dword v104, off, s[0:3], 0 offset:36
	v_cmp_gt_u32_e32 vcc, 4, v0
	s_waitcnt vmcnt(0)
	ds_write_b64 v106, v[103:104]
	s_waitcnt lgkmcnt(0)
	; wave barrier
	s_and_saveexec_b64 s[6:7], vcc
	s_cbranch_execz .LBB50_528
; %bb.519:
	s_and_b64 vcc, exec, s[4:5]
	s_cbranch_vccnz .LBB50_521
; %bb.520:
	buffer_load_dword v103, v107, s[0:3], 0 offen
	buffer_load_dword v104, v107, s[0:3], 0 offen offset:4
	ds_read_b64 v[108:109], v106
	s_waitcnt vmcnt(0) lgkmcnt(0)
	v_mul_f64 v[103:104], v[103:104], v[108:109]
	s_cbranch_execz .LBB50_522
	s_branch .LBB50_523
.LBB50_521:
                                        ; implicit-def: $vgpr103_vgpr104
.LBB50_522:
	ds_read_b64 v[103:104], v106
.LBB50_523:
	v_cmp_ne_u32_e32 vcc, 3, v0
	s_and_saveexec_b64 s[8:9], vcc
	s_cbranch_execz .LBB50_527
; %bb.524:
	s_mov_b32 s10, 0
	v_add_u32_e32 v108, 0x1a8, v105
	v_add3_u32 v109, v105, s10, 8
	s_mov_b64 s[10:11], 0
	v_mov_b32_e32 v110, v0
.LBB50_525:                             ; =>This Inner Loop Header: Depth=1
	buffer_load_dword v111, v109, s[0:3], 0 offen
	buffer_load_dword v112, v109, s[0:3], 0 offen offset:4
	ds_read_b64 v[113:114], v108
	v_add_u32_e32 v110, 1, v110
	v_cmp_lt_u32_e32 vcc, 2, v110
	v_add_u32_e32 v108, 8, v108
	s_or_b64 s[10:11], vcc, s[10:11]
	v_add_u32_e32 v109, 8, v109
	s_waitcnt vmcnt(0) lgkmcnt(0)
	v_fma_f64 v[103:104], v[111:112], v[113:114], v[103:104]
	s_andn2_b64 exec, exec, s[10:11]
	s_cbranch_execnz .LBB50_525
; %bb.526:
	s_or_b64 exec, exec, s[10:11]
.LBB50_527:
	s_or_b64 exec, exec, s[8:9]
	v_mov_b32_e32 v108, 0
	ds_read_b64 v[108:109], v108 offset:32
	s_waitcnt lgkmcnt(0)
	v_mul_f64 v[103:104], v[103:104], v[108:109]
	buffer_store_dword v104, off, s[0:3], 0 offset:36
	buffer_store_dword v103, off, s[0:3], 0 offset:32
.LBB50_528:
	s_or_b64 exec, exec, s[6:7]
	buffer_load_dword v103, off, s[0:3], 0 offset:40
	buffer_load_dword v104, off, s[0:3], 0 offset:44
	v_cmp_gt_u32_e32 vcc, 5, v0
	s_waitcnt vmcnt(0)
	ds_write_b64 v106, v[103:104]
	s_waitcnt lgkmcnt(0)
	; wave barrier
	s_and_saveexec_b64 s[6:7], vcc
	s_cbranch_execz .LBB50_538
; %bb.529:
	s_and_b64 vcc, exec, s[4:5]
	s_cbranch_vccnz .LBB50_531
; %bb.530:
	buffer_load_dword v103, v107, s[0:3], 0 offen
	buffer_load_dword v104, v107, s[0:3], 0 offen offset:4
	ds_read_b64 v[108:109], v106
	s_waitcnt vmcnt(0) lgkmcnt(0)
	v_mul_f64 v[103:104], v[103:104], v[108:109]
	s_cbranch_execz .LBB50_532
	s_branch .LBB50_533
.LBB50_531:
                                        ; implicit-def: $vgpr103_vgpr104
.LBB50_532:
	ds_read_b64 v[103:104], v106
.LBB50_533:
	v_cmp_ne_u32_e32 vcc, 4, v0
	s_and_saveexec_b64 s[8:9], vcc
	s_cbranch_execz .LBB50_537
; %bb.534:
	s_mov_b32 s10, 0
	v_add_u32_e32 v108, 0x1a8, v105
	v_add3_u32 v109, v105, s10, 8
	s_mov_b64 s[10:11], 0
	v_mov_b32_e32 v110, v0
.LBB50_535:                             ; =>This Inner Loop Header: Depth=1
	buffer_load_dword v111, v109, s[0:3], 0 offen
	buffer_load_dword v112, v109, s[0:3], 0 offen offset:4
	ds_read_b64 v[113:114], v108
	v_add_u32_e32 v110, 1, v110
	v_cmp_lt_u32_e32 vcc, 3, v110
	v_add_u32_e32 v108, 8, v108
	s_or_b64 s[10:11], vcc, s[10:11]
	v_add_u32_e32 v109, 8, v109
	s_waitcnt vmcnt(0) lgkmcnt(0)
	v_fma_f64 v[103:104], v[111:112], v[113:114], v[103:104]
	s_andn2_b64 exec, exec, s[10:11]
	s_cbranch_execnz .LBB50_535
; %bb.536:
	s_or_b64 exec, exec, s[10:11]
.LBB50_537:
	s_or_b64 exec, exec, s[8:9]
	v_mov_b32_e32 v108, 0
	ds_read_b64 v[108:109], v108 offset:40
	s_waitcnt lgkmcnt(0)
	v_mul_f64 v[103:104], v[103:104], v[108:109]
	buffer_store_dword v104, off, s[0:3], 0 offset:44
	buffer_store_dword v103, off, s[0:3], 0 offset:40
.LBB50_538:
	s_or_b64 exec, exec, s[6:7]
	buffer_load_dword v103, off, s[0:3], 0 offset:48
	buffer_load_dword v104, off, s[0:3], 0 offset:52
	v_cmp_gt_u32_e32 vcc, 6, v0
	s_waitcnt vmcnt(0)
	ds_write_b64 v106, v[103:104]
	s_waitcnt lgkmcnt(0)
	; wave barrier
	s_and_saveexec_b64 s[6:7], vcc
	s_cbranch_execz .LBB50_548
; %bb.539:
	s_and_b64 vcc, exec, s[4:5]
	s_cbranch_vccnz .LBB50_541
; %bb.540:
	buffer_load_dword v103, v107, s[0:3], 0 offen
	buffer_load_dword v104, v107, s[0:3], 0 offen offset:4
	ds_read_b64 v[108:109], v106
	s_waitcnt vmcnt(0) lgkmcnt(0)
	v_mul_f64 v[103:104], v[103:104], v[108:109]
	s_cbranch_execz .LBB50_542
	s_branch .LBB50_543
.LBB50_541:
                                        ; implicit-def: $vgpr103_vgpr104
.LBB50_542:
	ds_read_b64 v[103:104], v106
.LBB50_543:
	v_cmp_ne_u32_e32 vcc, 5, v0
	s_and_saveexec_b64 s[8:9], vcc
	s_cbranch_execz .LBB50_547
; %bb.544:
	s_mov_b32 s10, 0
	v_add_u32_e32 v108, 0x1a8, v105
	v_add3_u32 v109, v105, s10, 8
	s_mov_b64 s[10:11], 0
	v_mov_b32_e32 v110, v0
.LBB50_545:                             ; =>This Inner Loop Header: Depth=1
	buffer_load_dword v111, v109, s[0:3], 0 offen
	buffer_load_dword v112, v109, s[0:3], 0 offen offset:4
	ds_read_b64 v[113:114], v108
	v_add_u32_e32 v110, 1, v110
	v_cmp_lt_u32_e32 vcc, 4, v110
	v_add_u32_e32 v108, 8, v108
	s_or_b64 s[10:11], vcc, s[10:11]
	v_add_u32_e32 v109, 8, v109
	s_waitcnt vmcnt(0) lgkmcnt(0)
	v_fma_f64 v[103:104], v[111:112], v[113:114], v[103:104]
	s_andn2_b64 exec, exec, s[10:11]
	s_cbranch_execnz .LBB50_545
; %bb.546:
	s_or_b64 exec, exec, s[10:11]
.LBB50_547:
	s_or_b64 exec, exec, s[8:9]
	v_mov_b32_e32 v108, 0
	ds_read_b64 v[108:109], v108 offset:48
	s_waitcnt lgkmcnt(0)
	v_mul_f64 v[103:104], v[103:104], v[108:109]
	buffer_store_dword v104, off, s[0:3], 0 offset:52
	buffer_store_dword v103, off, s[0:3], 0 offset:48
.LBB50_548:
	s_or_b64 exec, exec, s[6:7]
	buffer_load_dword v103, off, s[0:3], 0 offset:56
	buffer_load_dword v104, off, s[0:3], 0 offset:60
	v_cmp_gt_u32_e32 vcc, 7, v0
	s_waitcnt vmcnt(0)
	ds_write_b64 v106, v[103:104]
	s_waitcnt lgkmcnt(0)
	; wave barrier
	s_and_saveexec_b64 s[6:7], vcc
	s_cbranch_execz .LBB50_558
; %bb.549:
	s_and_b64 vcc, exec, s[4:5]
	s_cbranch_vccnz .LBB50_551
; %bb.550:
	buffer_load_dword v103, v107, s[0:3], 0 offen
	buffer_load_dword v104, v107, s[0:3], 0 offen offset:4
	ds_read_b64 v[108:109], v106
	s_waitcnt vmcnt(0) lgkmcnt(0)
	v_mul_f64 v[103:104], v[103:104], v[108:109]
	s_cbranch_execz .LBB50_552
	s_branch .LBB50_553
.LBB50_551:
                                        ; implicit-def: $vgpr103_vgpr104
.LBB50_552:
	ds_read_b64 v[103:104], v106
.LBB50_553:
	v_cmp_ne_u32_e32 vcc, 6, v0
	s_and_saveexec_b64 s[8:9], vcc
	s_cbranch_execz .LBB50_557
; %bb.554:
	s_mov_b32 s10, 0
	v_add_u32_e32 v108, 0x1a8, v105
	v_add3_u32 v109, v105, s10, 8
	s_mov_b64 s[10:11], 0
	v_mov_b32_e32 v110, v0
.LBB50_555:                             ; =>This Inner Loop Header: Depth=1
	buffer_load_dword v111, v109, s[0:3], 0 offen
	buffer_load_dword v112, v109, s[0:3], 0 offen offset:4
	ds_read_b64 v[113:114], v108
	v_add_u32_e32 v110, 1, v110
	v_cmp_lt_u32_e32 vcc, 5, v110
	v_add_u32_e32 v108, 8, v108
	s_or_b64 s[10:11], vcc, s[10:11]
	v_add_u32_e32 v109, 8, v109
	s_waitcnt vmcnt(0) lgkmcnt(0)
	v_fma_f64 v[103:104], v[111:112], v[113:114], v[103:104]
	s_andn2_b64 exec, exec, s[10:11]
	s_cbranch_execnz .LBB50_555
; %bb.556:
	s_or_b64 exec, exec, s[10:11]
.LBB50_557:
	s_or_b64 exec, exec, s[8:9]
	v_mov_b32_e32 v108, 0
	ds_read_b64 v[108:109], v108 offset:56
	s_waitcnt lgkmcnt(0)
	v_mul_f64 v[103:104], v[103:104], v[108:109]
	buffer_store_dword v104, off, s[0:3], 0 offset:60
	buffer_store_dword v103, off, s[0:3], 0 offset:56
.LBB50_558:
	s_or_b64 exec, exec, s[6:7]
	buffer_load_dword v103, off, s[0:3], 0 offset:64
	buffer_load_dword v104, off, s[0:3], 0 offset:68
	v_cmp_gt_u32_e32 vcc, 8, v0
	s_waitcnt vmcnt(0)
	ds_write_b64 v106, v[103:104]
	s_waitcnt lgkmcnt(0)
	; wave barrier
	s_and_saveexec_b64 s[6:7], vcc
	s_cbranch_execz .LBB50_568
; %bb.559:
	s_and_b64 vcc, exec, s[4:5]
	s_cbranch_vccnz .LBB50_561
; %bb.560:
	buffer_load_dword v103, v107, s[0:3], 0 offen
	buffer_load_dword v104, v107, s[0:3], 0 offen offset:4
	ds_read_b64 v[108:109], v106
	s_waitcnt vmcnt(0) lgkmcnt(0)
	v_mul_f64 v[103:104], v[103:104], v[108:109]
	s_cbranch_execz .LBB50_562
	s_branch .LBB50_563
.LBB50_561:
                                        ; implicit-def: $vgpr103_vgpr104
.LBB50_562:
	ds_read_b64 v[103:104], v106
.LBB50_563:
	v_cmp_ne_u32_e32 vcc, 7, v0
	s_and_saveexec_b64 s[8:9], vcc
	s_cbranch_execz .LBB50_567
; %bb.564:
	s_mov_b32 s10, 0
	v_add_u32_e32 v108, 0x1a8, v105
	v_add3_u32 v109, v105, s10, 8
	s_mov_b64 s[10:11], 0
	v_mov_b32_e32 v110, v0
.LBB50_565:                             ; =>This Inner Loop Header: Depth=1
	buffer_load_dword v111, v109, s[0:3], 0 offen
	buffer_load_dword v112, v109, s[0:3], 0 offen offset:4
	ds_read_b64 v[113:114], v108
	v_add_u32_e32 v110, 1, v110
	v_cmp_lt_u32_e32 vcc, 6, v110
	v_add_u32_e32 v108, 8, v108
	s_or_b64 s[10:11], vcc, s[10:11]
	v_add_u32_e32 v109, 8, v109
	s_waitcnt vmcnt(0) lgkmcnt(0)
	v_fma_f64 v[103:104], v[111:112], v[113:114], v[103:104]
	s_andn2_b64 exec, exec, s[10:11]
	s_cbranch_execnz .LBB50_565
; %bb.566:
	s_or_b64 exec, exec, s[10:11]
.LBB50_567:
	s_or_b64 exec, exec, s[8:9]
	v_mov_b32_e32 v108, 0
	ds_read_b64 v[108:109], v108 offset:64
	s_waitcnt lgkmcnt(0)
	v_mul_f64 v[103:104], v[103:104], v[108:109]
	buffer_store_dword v104, off, s[0:3], 0 offset:68
	buffer_store_dword v103, off, s[0:3], 0 offset:64
.LBB50_568:
	s_or_b64 exec, exec, s[6:7]
	buffer_load_dword v103, off, s[0:3], 0 offset:72
	buffer_load_dword v104, off, s[0:3], 0 offset:76
	v_cmp_gt_u32_e32 vcc, 9, v0
	s_waitcnt vmcnt(0)
	ds_write_b64 v106, v[103:104]
	s_waitcnt lgkmcnt(0)
	; wave barrier
	s_and_saveexec_b64 s[6:7], vcc
	s_cbranch_execz .LBB50_578
; %bb.569:
	s_and_b64 vcc, exec, s[4:5]
	s_cbranch_vccnz .LBB50_571
; %bb.570:
	buffer_load_dword v103, v107, s[0:3], 0 offen
	buffer_load_dword v104, v107, s[0:3], 0 offen offset:4
	ds_read_b64 v[108:109], v106
	s_waitcnt vmcnt(0) lgkmcnt(0)
	v_mul_f64 v[103:104], v[103:104], v[108:109]
	s_cbranch_execz .LBB50_572
	s_branch .LBB50_573
.LBB50_571:
                                        ; implicit-def: $vgpr103_vgpr104
.LBB50_572:
	ds_read_b64 v[103:104], v106
.LBB50_573:
	v_cmp_ne_u32_e32 vcc, 8, v0
	s_and_saveexec_b64 s[8:9], vcc
	s_cbranch_execz .LBB50_577
; %bb.574:
	s_mov_b32 s10, 0
	v_add_u32_e32 v108, 0x1a8, v105
	v_add3_u32 v109, v105, s10, 8
	s_mov_b64 s[10:11], 0
	v_mov_b32_e32 v110, v0
.LBB50_575:                             ; =>This Inner Loop Header: Depth=1
	buffer_load_dword v111, v109, s[0:3], 0 offen
	buffer_load_dword v112, v109, s[0:3], 0 offen offset:4
	ds_read_b64 v[113:114], v108
	v_add_u32_e32 v110, 1, v110
	v_cmp_lt_u32_e32 vcc, 7, v110
	v_add_u32_e32 v108, 8, v108
	s_or_b64 s[10:11], vcc, s[10:11]
	v_add_u32_e32 v109, 8, v109
	s_waitcnt vmcnt(0) lgkmcnt(0)
	v_fma_f64 v[103:104], v[111:112], v[113:114], v[103:104]
	s_andn2_b64 exec, exec, s[10:11]
	s_cbranch_execnz .LBB50_575
; %bb.576:
	s_or_b64 exec, exec, s[10:11]
.LBB50_577:
	s_or_b64 exec, exec, s[8:9]
	v_mov_b32_e32 v108, 0
	ds_read_b64 v[108:109], v108 offset:72
	s_waitcnt lgkmcnt(0)
	v_mul_f64 v[103:104], v[103:104], v[108:109]
	buffer_store_dword v104, off, s[0:3], 0 offset:76
	buffer_store_dword v103, off, s[0:3], 0 offset:72
.LBB50_578:
	s_or_b64 exec, exec, s[6:7]
	buffer_load_dword v103, off, s[0:3], 0 offset:80
	buffer_load_dword v104, off, s[0:3], 0 offset:84
	v_cmp_gt_u32_e32 vcc, 10, v0
	s_waitcnt vmcnt(0)
	ds_write_b64 v106, v[103:104]
	s_waitcnt lgkmcnt(0)
	; wave barrier
	s_and_saveexec_b64 s[6:7], vcc
	s_cbranch_execz .LBB50_588
; %bb.579:
	s_and_b64 vcc, exec, s[4:5]
	s_cbranch_vccnz .LBB50_581
; %bb.580:
	buffer_load_dword v103, v107, s[0:3], 0 offen
	buffer_load_dword v104, v107, s[0:3], 0 offen offset:4
	ds_read_b64 v[108:109], v106
	s_waitcnt vmcnt(0) lgkmcnt(0)
	v_mul_f64 v[103:104], v[103:104], v[108:109]
	s_cbranch_execz .LBB50_582
	s_branch .LBB50_583
.LBB50_581:
                                        ; implicit-def: $vgpr103_vgpr104
.LBB50_582:
	ds_read_b64 v[103:104], v106
.LBB50_583:
	v_cmp_ne_u32_e32 vcc, 9, v0
	s_and_saveexec_b64 s[8:9], vcc
	s_cbranch_execz .LBB50_587
; %bb.584:
	s_mov_b32 s10, 0
	v_add_u32_e32 v108, 0x1a8, v105
	v_add3_u32 v109, v105, s10, 8
	s_mov_b64 s[10:11], 0
	v_mov_b32_e32 v110, v0
.LBB50_585:                             ; =>This Inner Loop Header: Depth=1
	buffer_load_dword v111, v109, s[0:3], 0 offen
	buffer_load_dword v112, v109, s[0:3], 0 offen offset:4
	ds_read_b64 v[113:114], v108
	v_add_u32_e32 v110, 1, v110
	v_cmp_lt_u32_e32 vcc, 8, v110
	v_add_u32_e32 v108, 8, v108
	s_or_b64 s[10:11], vcc, s[10:11]
	v_add_u32_e32 v109, 8, v109
	s_waitcnt vmcnt(0) lgkmcnt(0)
	v_fma_f64 v[103:104], v[111:112], v[113:114], v[103:104]
	s_andn2_b64 exec, exec, s[10:11]
	s_cbranch_execnz .LBB50_585
; %bb.586:
	s_or_b64 exec, exec, s[10:11]
.LBB50_587:
	s_or_b64 exec, exec, s[8:9]
	v_mov_b32_e32 v108, 0
	ds_read_b64 v[108:109], v108 offset:80
	s_waitcnt lgkmcnt(0)
	v_mul_f64 v[103:104], v[103:104], v[108:109]
	buffer_store_dword v104, off, s[0:3], 0 offset:84
	buffer_store_dword v103, off, s[0:3], 0 offset:80
.LBB50_588:
	s_or_b64 exec, exec, s[6:7]
	buffer_load_dword v103, off, s[0:3], 0 offset:88
	buffer_load_dword v104, off, s[0:3], 0 offset:92
	v_cmp_gt_u32_e32 vcc, 11, v0
	s_waitcnt vmcnt(0)
	ds_write_b64 v106, v[103:104]
	s_waitcnt lgkmcnt(0)
	; wave barrier
	s_and_saveexec_b64 s[6:7], vcc
	s_cbranch_execz .LBB50_598
; %bb.589:
	s_and_b64 vcc, exec, s[4:5]
	s_cbranch_vccnz .LBB50_591
; %bb.590:
	buffer_load_dword v103, v107, s[0:3], 0 offen
	buffer_load_dword v104, v107, s[0:3], 0 offen offset:4
	ds_read_b64 v[108:109], v106
	s_waitcnt vmcnt(0) lgkmcnt(0)
	v_mul_f64 v[103:104], v[103:104], v[108:109]
	s_cbranch_execz .LBB50_592
	s_branch .LBB50_593
.LBB50_591:
                                        ; implicit-def: $vgpr103_vgpr104
.LBB50_592:
	ds_read_b64 v[103:104], v106
.LBB50_593:
	v_cmp_ne_u32_e32 vcc, 10, v0
	s_and_saveexec_b64 s[8:9], vcc
	s_cbranch_execz .LBB50_597
; %bb.594:
	s_mov_b32 s10, 0
	v_add_u32_e32 v108, 0x1a8, v105
	v_add3_u32 v109, v105, s10, 8
	s_mov_b64 s[10:11], 0
	v_mov_b32_e32 v110, v0
.LBB50_595:                             ; =>This Inner Loop Header: Depth=1
	buffer_load_dword v111, v109, s[0:3], 0 offen
	buffer_load_dword v112, v109, s[0:3], 0 offen offset:4
	ds_read_b64 v[113:114], v108
	v_add_u32_e32 v110, 1, v110
	v_cmp_lt_u32_e32 vcc, 9, v110
	v_add_u32_e32 v108, 8, v108
	s_or_b64 s[10:11], vcc, s[10:11]
	v_add_u32_e32 v109, 8, v109
	s_waitcnt vmcnt(0) lgkmcnt(0)
	v_fma_f64 v[103:104], v[111:112], v[113:114], v[103:104]
	s_andn2_b64 exec, exec, s[10:11]
	s_cbranch_execnz .LBB50_595
; %bb.596:
	s_or_b64 exec, exec, s[10:11]
.LBB50_597:
	s_or_b64 exec, exec, s[8:9]
	v_mov_b32_e32 v108, 0
	ds_read_b64 v[108:109], v108 offset:88
	s_waitcnt lgkmcnt(0)
	v_mul_f64 v[103:104], v[103:104], v[108:109]
	buffer_store_dword v104, off, s[0:3], 0 offset:92
	buffer_store_dword v103, off, s[0:3], 0 offset:88
.LBB50_598:
	s_or_b64 exec, exec, s[6:7]
	buffer_load_dword v103, off, s[0:3], 0 offset:96
	buffer_load_dword v104, off, s[0:3], 0 offset:100
	v_cmp_gt_u32_e32 vcc, 12, v0
	s_waitcnt vmcnt(0)
	ds_write_b64 v106, v[103:104]
	s_waitcnt lgkmcnt(0)
	; wave barrier
	s_and_saveexec_b64 s[6:7], vcc
	s_cbranch_execz .LBB50_608
; %bb.599:
	s_and_b64 vcc, exec, s[4:5]
	s_cbranch_vccnz .LBB50_601
; %bb.600:
	buffer_load_dword v103, v107, s[0:3], 0 offen
	buffer_load_dword v104, v107, s[0:3], 0 offen offset:4
	ds_read_b64 v[108:109], v106
	s_waitcnt vmcnt(0) lgkmcnt(0)
	v_mul_f64 v[103:104], v[103:104], v[108:109]
	s_cbranch_execz .LBB50_602
	s_branch .LBB50_603
.LBB50_601:
                                        ; implicit-def: $vgpr103_vgpr104
.LBB50_602:
	ds_read_b64 v[103:104], v106
.LBB50_603:
	v_cmp_ne_u32_e32 vcc, 11, v0
	s_and_saveexec_b64 s[8:9], vcc
	s_cbranch_execz .LBB50_607
; %bb.604:
	s_mov_b32 s10, 0
	v_add_u32_e32 v108, 0x1a8, v105
	v_add3_u32 v109, v105, s10, 8
	s_mov_b64 s[10:11], 0
	v_mov_b32_e32 v110, v0
.LBB50_605:                             ; =>This Inner Loop Header: Depth=1
	buffer_load_dword v111, v109, s[0:3], 0 offen
	buffer_load_dword v112, v109, s[0:3], 0 offen offset:4
	ds_read_b64 v[113:114], v108
	v_add_u32_e32 v110, 1, v110
	v_cmp_lt_u32_e32 vcc, 10, v110
	v_add_u32_e32 v108, 8, v108
	s_or_b64 s[10:11], vcc, s[10:11]
	v_add_u32_e32 v109, 8, v109
	s_waitcnt vmcnt(0) lgkmcnt(0)
	v_fma_f64 v[103:104], v[111:112], v[113:114], v[103:104]
	s_andn2_b64 exec, exec, s[10:11]
	s_cbranch_execnz .LBB50_605
; %bb.606:
	s_or_b64 exec, exec, s[10:11]
.LBB50_607:
	s_or_b64 exec, exec, s[8:9]
	v_mov_b32_e32 v108, 0
	ds_read_b64 v[108:109], v108 offset:96
	s_waitcnt lgkmcnt(0)
	v_mul_f64 v[103:104], v[103:104], v[108:109]
	buffer_store_dword v104, off, s[0:3], 0 offset:100
	buffer_store_dword v103, off, s[0:3], 0 offset:96
.LBB50_608:
	s_or_b64 exec, exec, s[6:7]
	buffer_load_dword v103, off, s[0:3], 0 offset:104
	buffer_load_dword v104, off, s[0:3], 0 offset:108
	v_cmp_gt_u32_e32 vcc, 13, v0
	s_waitcnt vmcnt(0)
	ds_write_b64 v106, v[103:104]
	s_waitcnt lgkmcnt(0)
	; wave barrier
	s_and_saveexec_b64 s[6:7], vcc
	s_cbranch_execz .LBB50_618
; %bb.609:
	s_and_b64 vcc, exec, s[4:5]
	s_cbranch_vccnz .LBB50_611
; %bb.610:
	buffer_load_dword v103, v107, s[0:3], 0 offen
	buffer_load_dword v104, v107, s[0:3], 0 offen offset:4
	ds_read_b64 v[108:109], v106
	s_waitcnt vmcnt(0) lgkmcnt(0)
	v_mul_f64 v[103:104], v[103:104], v[108:109]
	s_cbranch_execz .LBB50_612
	s_branch .LBB50_613
.LBB50_611:
                                        ; implicit-def: $vgpr103_vgpr104
.LBB50_612:
	ds_read_b64 v[103:104], v106
.LBB50_613:
	v_cmp_ne_u32_e32 vcc, 12, v0
	s_and_saveexec_b64 s[8:9], vcc
	s_cbranch_execz .LBB50_617
; %bb.614:
	s_mov_b32 s10, 0
	v_add_u32_e32 v108, 0x1a8, v105
	v_add3_u32 v109, v105, s10, 8
	s_mov_b64 s[10:11], 0
	v_mov_b32_e32 v110, v0
.LBB50_615:                             ; =>This Inner Loop Header: Depth=1
	buffer_load_dword v111, v109, s[0:3], 0 offen
	buffer_load_dword v112, v109, s[0:3], 0 offen offset:4
	ds_read_b64 v[113:114], v108
	v_add_u32_e32 v110, 1, v110
	v_cmp_lt_u32_e32 vcc, 11, v110
	v_add_u32_e32 v108, 8, v108
	s_or_b64 s[10:11], vcc, s[10:11]
	v_add_u32_e32 v109, 8, v109
	s_waitcnt vmcnt(0) lgkmcnt(0)
	v_fma_f64 v[103:104], v[111:112], v[113:114], v[103:104]
	s_andn2_b64 exec, exec, s[10:11]
	s_cbranch_execnz .LBB50_615
; %bb.616:
	s_or_b64 exec, exec, s[10:11]
.LBB50_617:
	s_or_b64 exec, exec, s[8:9]
	v_mov_b32_e32 v108, 0
	ds_read_b64 v[108:109], v108 offset:104
	s_waitcnt lgkmcnt(0)
	v_mul_f64 v[103:104], v[103:104], v[108:109]
	buffer_store_dword v104, off, s[0:3], 0 offset:108
	buffer_store_dword v103, off, s[0:3], 0 offset:104
.LBB50_618:
	s_or_b64 exec, exec, s[6:7]
	buffer_load_dword v103, off, s[0:3], 0 offset:112
	buffer_load_dword v104, off, s[0:3], 0 offset:116
	v_cmp_gt_u32_e32 vcc, 14, v0
	s_waitcnt vmcnt(0)
	ds_write_b64 v106, v[103:104]
	s_waitcnt lgkmcnt(0)
	; wave barrier
	s_and_saveexec_b64 s[6:7], vcc
	s_cbranch_execz .LBB50_628
; %bb.619:
	s_and_b64 vcc, exec, s[4:5]
	s_cbranch_vccnz .LBB50_621
; %bb.620:
	buffer_load_dword v103, v107, s[0:3], 0 offen
	buffer_load_dword v104, v107, s[0:3], 0 offen offset:4
	ds_read_b64 v[108:109], v106
	s_waitcnt vmcnt(0) lgkmcnt(0)
	v_mul_f64 v[103:104], v[103:104], v[108:109]
	s_cbranch_execz .LBB50_622
	s_branch .LBB50_623
.LBB50_621:
                                        ; implicit-def: $vgpr103_vgpr104
.LBB50_622:
	ds_read_b64 v[103:104], v106
.LBB50_623:
	v_cmp_ne_u32_e32 vcc, 13, v0
	s_and_saveexec_b64 s[8:9], vcc
	s_cbranch_execz .LBB50_627
; %bb.624:
	s_mov_b32 s10, 0
	v_add_u32_e32 v108, 0x1a8, v105
	v_add3_u32 v109, v105, s10, 8
	s_mov_b64 s[10:11], 0
	v_mov_b32_e32 v110, v0
.LBB50_625:                             ; =>This Inner Loop Header: Depth=1
	buffer_load_dword v111, v109, s[0:3], 0 offen
	buffer_load_dword v112, v109, s[0:3], 0 offen offset:4
	ds_read_b64 v[113:114], v108
	v_add_u32_e32 v110, 1, v110
	v_cmp_lt_u32_e32 vcc, 12, v110
	v_add_u32_e32 v108, 8, v108
	s_or_b64 s[10:11], vcc, s[10:11]
	v_add_u32_e32 v109, 8, v109
	s_waitcnt vmcnt(0) lgkmcnt(0)
	v_fma_f64 v[103:104], v[111:112], v[113:114], v[103:104]
	s_andn2_b64 exec, exec, s[10:11]
	s_cbranch_execnz .LBB50_625
; %bb.626:
	s_or_b64 exec, exec, s[10:11]
.LBB50_627:
	s_or_b64 exec, exec, s[8:9]
	v_mov_b32_e32 v108, 0
	ds_read_b64 v[108:109], v108 offset:112
	s_waitcnt lgkmcnt(0)
	v_mul_f64 v[103:104], v[103:104], v[108:109]
	buffer_store_dword v104, off, s[0:3], 0 offset:116
	buffer_store_dword v103, off, s[0:3], 0 offset:112
.LBB50_628:
	s_or_b64 exec, exec, s[6:7]
	buffer_load_dword v103, off, s[0:3], 0 offset:120
	buffer_load_dword v104, off, s[0:3], 0 offset:124
	v_cmp_gt_u32_e32 vcc, 15, v0
	s_waitcnt vmcnt(0)
	ds_write_b64 v106, v[103:104]
	s_waitcnt lgkmcnt(0)
	; wave barrier
	s_and_saveexec_b64 s[6:7], vcc
	s_cbranch_execz .LBB50_638
; %bb.629:
	s_and_b64 vcc, exec, s[4:5]
	s_cbranch_vccnz .LBB50_631
; %bb.630:
	buffer_load_dword v103, v107, s[0:3], 0 offen
	buffer_load_dword v104, v107, s[0:3], 0 offen offset:4
	ds_read_b64 v[108:109], v106
	s_waitcnt vmcnt(0) lgkmcnt(0)
	v_mul_f64 v[103:104], v[103:104], v[108:109]
	s_cbranch_execz .LBB50_632
	s_branch .LBB50_633
.LBB50_631:
                                        ; implicit-def: $vgpr103_vgpr104
.LBB50_632:
	ds_read_b64 v[103:104], v106
.LBB50_633:
	v_cmp_ne_u32_e32 vcc, 14, v0
	s_and_saveexec_b64 s[8:9], vcc
	s_cbranch_execz .LBB50_637
; %bb.634:
	s_mov_b32 s10, 0
	v_add_u32_e32 v108, 0x1a8, v105
	v_add3_u32 v109, v105, s10, 8
	s_mov_b64 s[10:11], 0
	v_mov_b32_e32 v110, v0
.LBB50_635:                             ; =>This Inner Loop Header: Depth=1
	buffer_load_dword v111, v109, s[0:3], 0 offen
	buffer_load_dword v112, v109, s[0:3], 0 offen offset:4
	ds_read_b64 v[113:114], v108
	v_add_u32_e32 v110, 1, v110
	v_cmp_lt_u32_e32 vcc, 13, v110
	v_add_u32_e32 v108, 8, v108
	s_or_b64 s[10:11], vcc, s[10:11]
	v_add_u32_e32 v109, 8, v109
	s_waitcnt vmcnt(0) lgkmcnt(0)
	v_fma_f64 v[103:104], v[111:112], v[113:114], v[103:104]
	s_andn2_b64 exec, exec, s[10:11]
	s_cbranch_execnz .LBB50_635
; %bb.636:
	s_or_b64 exec, exec, s[10:11]
.LBB50_637:
	s_or_b64 exec, exec, s[8:9]
	v_mov_b32_e32 v108, 0
	ds_read_b64 v[108:109], v108 offset:120
	s_waitcnt lgkmcnt(0)
	v_mul_f64 v[103:104], v[103:104], v[108:109]
	buffer_store_dword v104, off, s[0:3], 0 offset:124
	buffer_store_dword v103, off, s[0:3], 0 offset:120
.LBB50_638:
	s_or_b64 exec, exec, s[6:7]
	buffer_load_dword v103, off, s[0:3], 0 offset:128
	buffer_load_dword v104, off, s[0:3], 0 offset:132
	v_cmp_gt_u32_e32 vcc, 16, v0
	s_waitcnt vmcnt(0)
	ds_write_b64 v106, v[103:104]
	s_waitcnt lgkmcnt(0)
	; wave barrier
	s_and_saveexec_b64 s[6:7], vcc
	s_cbranch_execz .LBB50_648
; %bb.639:
	s_and_b64 vcc, exec, s[4:5]
	s_cbranch_vccnz .LBB50_641
; %bb.640:
	buffer_load_dword v103, v107, s[0:3], 0 offen
	buffer_load_dword v104, v107, s[0:3], 0 offen offset:4
	ds_read_b64 v[108:109], v106
	s_waitcnt vmcnt(0) lgkmcnt(0)
	v_mul_f64 v[103:104], v[103:104], v[108:109]
	s_cbranch_execz .LBB50_642
	s_branch .LBB50_643
.LBB50_641:
                                        ; implicit-def: $vgpr103_vgpr104
.LBB50_642:
	ds_read_b64 v[103:104], v106
.LBB50_643:
	v_cmp_ne_u32_e32 vcc, 15, v0
	s_and_saveexec_b64 s[8:9], vcc
	s_cbranch_execz .LBB50_647
; %bb.644:
	s_mov_b32 s10, 0
	v_add_u32_e32 v108, 0x1a8, v105
	v_add3_u32 v109, v105, s10, 8
	s_mov_b64 s[10:11], 0
	v_mov_b32_e32 v110, v0
.LBB50_645:                             ; =>This Inner Loop Header: Depth=1
	buffer_load_dword v111, v109, s[0:3], 0 offen
	buffer_load_dword v112, v109, s[0:3], 0 offen offset:4
	ds_read_b64 v[113:114], v108
	v_add_u32_e32 v110, 1, v110
	v_cmp_lt_u32_e32 vcc, 14, v110
	v_add_u32_e32 v108, 8, v108
	s_or_b64 s[10:11], vcc, s[10:11]
	v_add_u32_e32 v109, 8, v109
	s_waitcnt vmcnt(0) lgkmcnt(0)
	v_fma_f64 v[103:104], v[111:112], v[113:114], v[103:104]
	s_andn2_b64 exec, exec, s[10:11]
	s_cbranch_execnz .LBB50_645
; %bb.646:
	s_or_b64 exec, exec, s[10:11]
.LBB50_647:
	s_or_b64 exec, exec, s[8:9]
	v_mov_b32_e32 v108, 0
	ds_read_b64 v[108:109], v108 offset:128
	s_waitcnt lgkmcnt(0)
	v_mul_f64 v[103:104], v[103:104], v[108:109]
	buffer_store_dword v104, off, s[0:3], 0 offset:132
	buffer_store_dword v103, off, s[0:3], 0 offset:128
.LBB50_648:
	s_or_b64 exec, exec, s[6:7]
	buffer_load_dword v103, off, s[0:3], 0 offset:136
	buffer_load_dword v104, off, s[0:3], 0 offset:140
	v_cmp_gt_u32_e32 vcc, 17, v0
	s_waitcnt vmcnt(0)
	ds_write_b64 v106, v[103:104]
	s_waitcnt lgkmcnt(0)
	; wave barrier
	s_and_saveexec_b64 s[6:7], vcc
	s_cbranch_execz .LBB50_658
; %bb.649:
	s_and_b64 vcc, exec, s[4:5]
	s_cbranch_vccnz .LBB50_651
; %bb.650:
	buffer_load_dword v103, v107, s[0:3], 0 offen
	buffer_load_dword v104, v107, s[0:3], 0 offen offset:4
	ds_read_b64 v[108:109], v106
	s_waitcnt vmcnt(0) lgkmcnt(0)
	v_mul_f64 v[103:104], v[103:104], v[108:109]
	s_cbranch_execz .LBB50_652
	s_branch .LBB50_653
.LBB50_651:
                                        ; implicit-def: $vgpr103_vgpr104
.LBB50_652:
	ds_read_b64 v[103:104], v106
.LBB50_653:
	v_cmp_ne_u32_e32 vcc, 16, v0
	s_and_saveexec_b64 s[8:9], vcc
	s_cbranch_execz .LBB50_657
; %bb.654:
	s_mov_b32 s10, 0
	v_add_u32_e32 v108, 0x1a8, v105
	v_add3_u32 v109, v105, s10, 8
	s_mov_b64 s[10:11], 0
	v_mov_b32_e32 v110, v0
.LBB50_655:                             ; =>This Inner Loop Header: Depth=1
	buffer_load_dword v111, v109, s[0:3], 0 offen
	buffer_load_dword v112, v109, s[0:3], 0 offen offset:4
	ds_read_b64 v[113:114], v108
	v_add_u32_e32 v110, 1, v110
	v_cmp_lt_u32_e32 vcc, 15, v110
	v_add_u32_e32 v108, 8, v108
	s_or_b64 s[10:11], vcc, s[10:11]
	v_add_u32_e32 v109, 8, v109
	s_waitcnt vmcnt(0) lgkmcnt(0)
	v_fma_f64 v[103:104], v[111:112], v[113:114], v[103:104]
	s_andn2_b64 exec, exec, s[10:11]
	s_cbranch_execnz .LBB50_655
; %bb.656:
	s_or_b64 exec, exec, s[10:11]
.LBB50_657:
	s_or_b64 exec, exec, s[8:9]
	v_mov_b32_e32 v108, 0
	ds_read_b64 v[108:109], v108 offset:136
	s_waitcnt lgkmcnt(0)
	v_mul_f64 v[103:104], v[103:104], v[108:109]
	buffer_store_dword v104, off, s[0:3], 0 offset:140
	buffer_store_dword v103, off, s[0:3], 0 offset:136
.LBB50_658:
	s_or_b64 exec, exec, s[6:7]
	buffer_load_dword v103, off, s[0:3], 0 offset:144
	buffer_load_dword v104, off, s[0:3], 0 offset:148
	v_cmp_gt_u32_e32 vcc, 18, v0
	s_waitcnt vmcnt(0)
	ds_write_b64 v106, v[103:104]
	s_waitcnt lgkmcnt(0)
	; wave barrier
	s_and_saveexec_b64 s[6:7], vcc
	s_cbranch_execz .LBB50_668
; %bb.659:
	s_and_b64 vcc, exec, s[4:5]
	s_cbranch_vccnz .LBB50_661
; %bb.660:
	buffer_load_dword v103, v107, s[0:3], 0 offen
	buffer_load_dword v104, v107, s[0:3], 0 offen offset:4
	ds_read_b64 v[108:109], v106
	s_waitcnt vmcnt(0) lgkmcnt(0)
	v_mul_f64 v[103:104], v[103:104], v[108:109]
	s_cbranch_execz .LBB50_662
	s_branch .LBB50_663
.LBB50_661:
                                        ; implicit-def: $vgpr103_vgpr104
.LBB50_662:
	ds_read_b64 v[103:104], v106
.LBB50_663:
	v_cmp_ne_u32_e32 vcc, 17, v0
	s_and_saveexec_b64 s[8:9], vcc
	s_cbranch_execz .LBB50_667
; %bb.664:
	s_mov_b32 s10, 0
	v_add_u32_e32 v108, 0x1a8, v105
	v_add3_u32 v109, v105, s10, 8
	s_mov_b64 s[10:11], 0
	v_mov_b32_e32 v110, v0
.LBB50_665:                             ; =>This Inner Loop Header: Depth=1
	buffer_load_dword v111, v109, s[0:3], 0 offen
	buffer_load_dword v112, v109, s[0:3], 0 offen offset:4
	ds_read_b64 v[113:114], v108
	v_add_u32_e32 v110, 1, v110
	v_cmp_lt_u32_e32 vcc, 16, v110
	v_add_u32_e32 v108, 8, v108
	s_or_b64 s[10:11], vcc, s[10:11]
	v_add_u32_e32 v109, 8, v109
	s_waitcnt vmcnt(0) lgkmcnt(0)
	v_fma_f64 v[103:104], v[111:112], v[113:114], v[103:104]
	s_andn2_b64 exec, exec, s[10:11]
	s_cbranch_execnz .LBB50_665
; %bb.666:
	s_or_b64 exec, exec, s[10:11]
.LBB50_667:
	s_or_b64 exec, exec, s[8:9]
	v_mov_b32_e32 v108, 0
	ds_read_b64 v[108:109], v108 offset:144
	s_waitcnt lgkmcnt(0)
	v_mul_f64 v[103:104], v[103:104], v[108:109]
	buffer_store_dword v104, off, s[0:3], 0 offset:148
	buffer_store_dword v103, off, s[0:3], 0 offset:144
.LBB50_668:
	s_or_b64 exec, exec, s[6:7]
	buffer_load_dword v103, off, s[0:3], 0 offset:152
	buffer_load_dword v104, off, s[0:3], 0 offset:156
	v_cmp_gt_u32_e32 vcc, 19, v0
	s_waitcnt vmcnt(0)
	ds_write_b64 v106, v[103:104]
	s_waitcnt lgkmcnt(0)
	; wave barrier
	s_and_saveexec_b64 s[6:7], vcc
	s_cbranch_execz .LBB50_678
; %bb.669:
	s_and_b64 vcc, exec, s[4:5]
	s_cbranch_vccnz .LBB50_671
; %bb.670:
	buffer_load_dword v103, v107, s[0:3], 0 offen
	buffer_load_dword v104, v107, s[0:3], 0 offen offset:4
	ds_read_b64 v[108:109], v106
	s_waitcnt vmcnt(0) lgkmcnt(0)
	v_mul_f64 v[103:104], v[103:104], v[108:109]
	s_cbranch_execz .LBB50_672
	s_branch .LBB50_673
.LBB50_671:
                                        ; implicit-def: $vgpr103_vgpr104
.LBB50_672:
	ds_read_b64 v[103:104], v106
.LBB50_673:
	v_cmp_ne_u32_e32 vcc, 18, v0
	s_and_saveexec_b64 s[8:9], vcc
	s_cbranch_execz .LBB50_677
; %bb.674:
	s_mov_b32 s10, 0
	v_add_u32_e32 v108, 0x1a8, v105
	v_add3_u32 v109, v105, s10, 8
	s_mov_b64 s[10:11], 0
	v_mov_b32_e32 v110, v0
.LBB50_675:                             ; =>This Inner Loop Header: Depth=1
	buffer_load_dword v111, v109, s[0:3], 0 offen
	buffer_load_dword v112, v109, s[0:3], 0 offen offset:4
	ds_read_b64 v[113:114], v108
	v_add_u32_e32 v110, 1, v110
	v_cmp_lt_u32_e32 vcc, 17, v110
	v_add_u32_e32 v108, 8, v108
	s_or_b64 s[10:11], vcc, s[10:11]
	v_add_u32_e32 v109, 8, v109
	s_waitcnt vmcnt(0) lgkmcnt(0)
	v_fma_f64 v[103:104], v[111:112], v[113:114], v[103:104]
	s_andn2_b64 exec, exec, s[10:11]
	s_cbranch_execnz .LBB50_675
; %bb.676:
	s_or_b64 exec, exec, s[10:11]
.LBB50_677:
	s_or_b64 exec, exec, s[8:9]
	v_mov_b32_e32 v108, 0
	ds_read_b64 v[108:109], v108 offset:152
	s_waitcnt lgkmcnt(0)
	v_mul_f64 v[103:104], v[103:104], v[108:109]
	buffer_store_dword v104, off, s[0:3], 0 offset:156
	buffer_store_dword v103, off, s[0:3], 0 offset:152
.LBB50_678:
	s_or_b64 exec, exec, s[6:7]
	buffer_load_dword v103, off, s[0:3], 0 offset:160
	buffer_load_dword v104, off, s[0:3], 0 offset:164
	v_cmp_gt_u32_e32 vcc, 20, v0
	s_waitcnt vmcnt(0)
	ds_write_b64 v106, v[103:104]
	s_waitcnt lgkmcnt(0)
	; wave barrier
	s_and_saveexec_b64 s[6:7], vcc
	s_cbranch_execz .LBB50_688
; %bb.679:
	s_and_b64 vcc, exec, s[4:5]
	s_cbranch_vccnz .LBB50_681
; %bb.680:
	buffer_load_dword v103, v107, s[0:3], 0 offen
	buffer_load_dword v104, v107, s[0:3], 0 offen offset:4
	ds_read_b64 v[108:109], v106
	s_waitcnt vmcnt(0) lgkmcnt(0)
	v_mul_f64 v[103:104], v[103:104], v[108:109]
	s_cbranch_execz .LBB50_682
	s_branch .LBB50_683
.LBB50_681:
                                        ; implicit-def: $vgpr103_vgpr104
.LBB50_682:
	ds_read_b64 v[103:104], v106
.LBB50_683:
	v_cmp_ne_u32_e32 vcc, 19, v0
	s_and_saveexec_b64 s[8:9], vcc
	s_cbranch_execz .LBB50_687
; %bb.684:
	s_mov_b32 s10, 0
	v_add_u32_e32 v108, 0x1a8, v105
	v_add3_u32 v109, v105, s10, 8
	s_mov_b64 s[10:11], 0
	v_mov_b32_e32 v110, v0
.LBB50_685:                             ; =>This Inner Loop Header: Depth=1
	buffer_load_dword v111, v109, s[0:3], 0 offen
	buffer_load_dword v112, v109, s[0:3], 0 offen offset:4
	ds_read_b64 v[113:114], v108
	v_add_u32_e32 v110, 1, v110
	v_cmp_lt_u32_e32 vcc, 18, v110
	v_add_u32_e32 v108, 8, v108
	s_or_b64 s[10:11], vcc, s[10:11]
	v_add_u32_e32 v109, 8, v109
	s_waitcnt vmcnt(0) lgkmcnt(0)
	v_fma_f64 v[103:104], v[111:112], v[113:114], v[103:104]
	s_andn2_b64 exec, exec, s[10:11]
	s_cbranch_execnz .LBB50_685
; %bb.686:
	s_or_b64 exec, exec, s[10:11]
.LBB50_687:
	s_or_b64 exec, exec, s[8:9]
	v_mov_b32_e32 v108, 0
	ds_read_b64 v[108:109], v108 offset:160
	s_waitcnt lgkmcnt(0)
	v_mul_f64 v[103:104], v[103:104], v[108:109]
	buffer_store_dword v104, off, s[0:3], 0 offset:164
	buffer_store_dword v103, off, s[0:3], 0 offset:160
.LBB50_688:
	s_or_b64 exec, exec, s[6:7]
	buffer_load_dword v103, off, s[0:3], 0 offset:168
	buffer_load_dword v104, off, s[0:3], 0 offset:172
	v_cmp_gt_u32_e32 vcc, 21, v0
	s_waitcnt vmcnt(0)
	ds_write_b64 v106, v[103:104]
	s_waitcnt lgkmcnt(0)
	; wave barrier
	s_and_saveexec_b64 s[6:7], vcc
	s_cbranch_execz .LBB50_698
; %bb.689:
	s_and_b64 vcc, exec, s[4:5]
	s_cbranch_vccnz .LBB50_691
; %bb.690:
	buffer_load_dword v103, v107, s[0:3], 0 offen
	buffer_load_dword v104, v107, s[0:3], 0 offen offset:4
	ds_read_b64 v[108:109], v106
	s_waitcnt vmcnt(0) lgkmcnt(0)
	v_mul_f64 v[103:104], v[103:104], v[108:109]
	s_cbranch_execz .LBB50_692
	s_branch .LBB50_693
.LBB50_691:
                                        ; implicit-def: $vgpr103_vgpr104
.LBB50_692:
	ds_read_b64 v[103:104], v106
.LBB50_693:
	v_cmp_ne_u32_e32 vcc, 20, v0
	s_and_saveexec_b64 s[8:9], vcc
	s_cbranch_execz .LBB50_697
; %bb.694:
	s_mov_b32 s10, 0
	v_add_u32_e32 v108, 0x1a8, v105
	v_add3_u32 v109, v105, s10, 8
	s_mov_b64 s[10:11], 0
	v_mov_b32_e32 v110, v0
.LBB50_695:                             ; =>This Inner Loop Header: Depth=1
	buffer_load_dword v111, v109, s[0:3], 0 offen
	buffer_load_dword v112, v109, s[0:3], 0 offen offset:4
	ds_read_b64 v[113:114], v108
	v_add_u32_e32 v110, 1, v110
	v_cmp_lt_u32_e32 vcc, 19, v110
	v_add_u32_e32 v108, 8, v108
	s_or_b64 s[10:11], vcc, s[10:11]
	v_add_u32_e32 v109, 8, v109
	s_waitcnt vmcnt(0) lgkmcnt(0)
	v_fma_f64 v[103:104], v[111:112], v[113:114], v[103:104]
	s_andn2_b64 exec, exec, s[10:11]
	s_cbranch_execnz .LBB50_695
; %bb.696:
	s_or_b64 exec, exec, s[10:11]
.LBB50_697:
	s_or_b64 exec, exec, s[8:9]
	v_mov_b32_e32 v108, 0
	ds_read_b64 v[108:109], v108 offset:168
	s_waitcnt lgkmcnt(0)
	v_mul_f64 v[103:104], v[103:104], v[108:109]
	buffer_store_dword v104, off, s[0:3], 0 offset:172
	buffer_store_dword v103, off, s[0:3], 0 offset:168
.LBB50_698:
	s_or_b64 exec, exec, s[6:7]
	buffer_load_dword v103, off, s[0:3], 0 offset:176
	buffer_load_dword v104, off, s[0:3], 0 offset:180
	v_cmp_gt_u32_e32 vcc, 22, v0
	s_waitcnt vmcnt(0)
	ds_write_b64 v106, v[103:104]
	s_waitcnt lgkmcnt(0)
	; wave barrier
	s_and_saveexec_b64 s[6:7], vcc
	s_cbranch_execz .LBB50_708
; %bb.699:
	s_and_b64 vcc, exec, s[4:5]
	s_cbranch_vccnz .LBB50_701
; %bb.700:
	buffer_load_dword v103, v107, s[0:3], 0 offen
	buffer_load_dword v104, v107, s[0:3], 0 offen offset:4
	ds_read_b64 v[108:109], v106
	s_waitcnt vmcnt(0) lgkmcnt(0)
	v_mul_f64 v[103:104], v[103:104], v[108:109]
	s_cbranch_execz .LBB50_702
	s_branch .LBB50_703
.LBB50_701:
                                        ; implicit-def: $vgpr103_vgpr104
.LBB50_702:
	ds_read_b64 v[103:104], v106
.LBB50_703:
	v_cmp_ne_u32_e32 vcc, 21, v0
	s_and_saveexec_b64 s[8:9], vcc
	s_cbranch_execz .LBB50_707
; %bb.704:
	s_mov_b32 s10, 0
	v_add_u32_e32 v108, 0x1a8, v105
	v_add3_u32 v109, v105, s10, 8
	s_mov_b64 s[10:11], 0
	v_mov_b32_e32 v110, v0
.LBB50_705:                             ; =>This Inner Loop Header: Depth=1
	buffer_load_dword v111, v109, s[0:3], 0 offen
	buffer_load_dword v112, v109, s[0:3], 0 offen offset:4
	ds_read_b64 v[113:114], v108
	v_add_u32_e32 v110, 1, v110
	v_cmp_lt_u32_e32 vcc, 20, v110
	v_add_u32_e32 v108, 8, v108
	s_or_b64 s[10:11], vcc, s[10:11]
	v_add_u32_e32 v109, 8, v109
	s_waitcnt vmcnt(0) lgkmcnt(0)
	v_fma_f64 v[103:104], v[111:112], v[113:114], v[103:104]
	s_andn2_b64 exec, exec, s[10:11]
	s_cbranch_execnz .LBB50_705
; %bb.706:
	s_or_b64 exec, exec, s[10:11]
.LBB50_707:
	s_or_b64 exec, exec, s[8:9]
	v_mov_b32_e32 v108, 0
	ds_read_b64 v[108:109], v108 offset:176
	s_waitcnt lgkmcnt(0)
	v_mul_f64 v[103:104], v[103:104], v[108:109]
	buffer_store_dword v104, off, s[0:3], 0 offset:180
	buffer_store_dword v103, off, s[0:3], 0 offset:176
.LBB50_708:
	s_or_b64 exec, exec, s[6:7]
	buffer_load_dword v103, off, s[0:3], 0 offset:184
	buffer_load_dword v104, off, s[0:3], 0 offset:188
	v_cmp_gt_u32_e32 vcc, 23, v0
	s_waitcnt vmcnt(0)
	ds_write_b64 v106, v[103:104]
	s_waitcnt lgkmcnt(0)
	; wave barrier
	s_and_saveexec_b64 s[6:7], vcc
	s_cbranch_execz .LBB50_718
; %bb.709:
	s_and_b64 vcc, exec, s[4:5]
	s_cbranch_vccnz .LBB50_711
; %bb.710:
	buffer_load_dword v103, v107, s[0:3], 0 offen
	buffer_load_dword v104, v107, s[0:3], 0 offen offset:4
	ds_read_b64 v[108:109], v106
	s_waitcnt vmcnt(0) lgkmcnt(0)
	v_mul_f64 v[103:104], v[103:104], v[108:109]
	s_cbranch_execz .LBB50_712
	s_branch .LBB50_713
.LBB50_711:
                                        ; implicit-def: $vgpr103_vgpr104
.LBB50_712:
	ds_read_b64 v[103:104], v106
.LBB50_713:
	v_cmp_ne_u32_e32 vcc, 22, v0
	s_and_saveexec_b64 s[8:9], vcc
	s_cbranch_execz .LBB50_717
; %bb.714:
	s_mov_b32 s10, 0
	v_add_u32_e32 v108, 0x1a8, v105
	v_add3_u32 v109, v105, s10, 8
	s_mov_b64 s[10:11], 0
	v_mov_b32_e32 v110, v0
.LBB50_715:                             ; =>This Inner Loop Header: Depth=1
	buffer_load_dword v111, v109, s[0:3], 0 offen
	buffer_load_dword v112, v109, s[0:3], 0 offen offset:4
	ds_read_b64 v[113:114], v108
	v_add_u32_e32 v110, 1, v110
	v_cmp_lt_u32_e32 vcc, 21, v110
	v_add_u32_e32 v108, 8, v108
	s_or_b64 s[10:11], vcc, s[10:11]
	v_add_u32_e32 v109, 8, v109
	s_waitcnt vmcnt(0) lgkmcnt(0)
	v_fma_f64 v[103:104], v[111:112], v[113:114], v[103:104]
	s_andn2_b64 exec, exec, s[10:11]
	s_cbranch_execnz .LBB50_715
; %bb.716:
	s_or_b64 exec, exec, s[10:11]
.LBB50_717:
	s_or_b64 exec, exec, s[8:9]
	v_mov_b32_e32 v108, 0
	ds_read_b64 v[108:109], v108 offset:184
	s_waitcnt lgkmcnt(0)
	v_mul_f64 v[103:104], v[103:104], v[108:109]
	buffer_store_dword v104, off, s[0:3], 0 offset:188
	buffer_store_dword v103, off, s[0:3], 0 offset:184
.LBB50_718:
	s_or_b64 exec, exec, s[6:7]
	buffer_load_dword v103, off, s[0:3], 0 offset:192
	buffer_load_dword v104, off, s[0:3], 0 offset:196
	v_cmp_gt_u32_e32 vcc, 24, v0
	s_waitcnt vmcnt(0)
	ds_write_b64 v106, v[103:104]
	s_waitcnt lgkmcnt(0)
	; wave barrier
	s_and_saveexec_b64 s[6:7], vcc
	s_cbranch_execz .LBB50_728
; %bb.719:
	s_and_b64 vcc, exec, s[4:5]
	s_cbranch_vccnz .LBB50_721
; %bb.720:
	buffer_load_dword v103, v107, s[0:3], 0 offen
	buffer_load_dword v104, v107, s[0:3], 0 offen offset:4
	ds_read_b64 v[108:109], v106
	s_waitcnt vmcnt(0) lgkmcnt(0)
	v_mul_f64 v[103:104], v[103:104], v[108:109]
	s_cbranch_execz .LBB50_722
	s_branch .LBB50_723
.LBB50_721:
                                        ; implicit-def: $vgpr103_vgpr104
.LBB50_722:
	ds_read_b64 v[103:104], v106
.LBB50_723:
	v_cmp_ne_u32_e32 vcc, 23, v0
	s_and_saveexec_b64 s[8:9], vcc
	s_cbranch_execz .LBB50_727
; %bb.724:
	s_mov_b32 s10, 0
	v_add_u32_e32 v108, 0x1a8, v105
	v_add3_u32 v109, v105, s10, 8
	s_mov_b64 s[10:11], 0
	v_mov_b32_e32 v110, v0
.LBB50_725:                             ; =>This Inner Loop Header: Depth=1
	buffer_load_dword v111, v109, s[0:3], 0 offen
	buffer_load_dword v112, v109, s[0:3], 0 offen offset:4
	ds_read_b64 v[113:114], v108
	v_add_u32_e32 v110, 1, v110
	v_cmp_lt_u32_e32 vcc, 22, v110
	v_add_u32_e32 v108, 8, v108
	s_or_b64 s[10:11], vcc, s[10:11]
	v_add_u32_e32 v109, 8, v109
	s_waitcnt vmcnt(0) lgkmcnt(0)
	v_fma_f64 v[103:104], v[111:112], v[113:114], v[103:104]
	s_andn2_b64 exec, exec, s[10:11]
	s_cbranch_execnz .LBB50_725
; %bb.726:
	s_or_b64 exec, exec, s[10:11]
.LBB50_727:
	s_or_b64 exec, exec, s[8:9]
	v_mov_b32_e32 v108, 0
	ds_read_b64 v[108:109], v108 offset:192
	s_waitcnt lgkmcnt(0)
	v_mul_f64 v[103:104], v[103:104], v[108:109]
	buffer_store_dword v104, off, s[0:3], 0 offset:196
	buffer_store_dword v103, off, s[0:3], 0 offset:192
.LBB50_728:
	s_or_b64 exec, exec, s[6:7]
	buffer_load_dword v103, off, s[0:3], 0 offset:200
	buffer_load_dword v104, off, s[0:3], 0 offset:204
	v_cmp_gt_u32_e32 vcc, 25, v0
	s_waitcnt vmcnt(0)
	ds_write_b64 v106, v[103:104]
	s_waitcnt lgkmcnt(0)
	; wave barrier
	s_and_saveexec_b64 s[6:7], vcc
	s_cbranch_execz .LBB50_738
; %bb.729:
	s_and_b64 vcc, exec, s[4:5]
	s_cbranch_vccnz .LBB50_731
; %bb.730:
	buffer_load_dword v103, v107, s[0:3], 0 offen
	buffer_load_dword v104, v107, s[0:3], 0 offen offset:4
	ds_read_b64 v[108:109], v106
	s_waitcnt vmcnt(0) lgkmcnt(0)
	v_mul_f64 v[103:104], v[103:104], v[108:109]
	s_cbranch_execz .LBB50_732
	s_branch .LBB50_733
.LBB50_731:
                                        ; implicit-def: $vgpr103_vgpr104
.LBB50_732:
	ds_read_b64 v[103:104], v106
.LBB50_733:
	v_cmp_ne_u32_e32 vcc, 24, v0
	s_and_saveexec_b64 s[8:9], vcc
	s_cbranch_execz .LBB50_737
; %bb.734:
	s_mov_b32 s10, 0
	v_add_u32_e32 v108, 0x1a8, v105
	v_add3_u32 v109, v105, s10, 8
	s_mov_b64 s[10:11], 0
	v_mov_b32_e32 v110, v0
.LBB50_735:                             ; =>This Inner Loop Header: Depth=1
	buffer_load_dword v111, v109, s[0:3], 0 offen
	buffer_load_dword v112, v109, s[0:3], 0 offen offset:4
	ds_read_b64 v[113:114], v108
	v_add_u32_e32 v110, 1, v110
	v_cmp_lt_u32_e32 vcc, 23, v110
	v_add_u32_e32 v108, 8, v108
	s_or_b64 s[10:11], vcc, s[10:11]
	v_add_u32_e32 v109, 8, v109
	s_waitcnt vmcnt(0) lgkmcnt(0)
	v_fma_f64 v[103:104], v[111:112], v[113:114], v[103:104]
	s_andn2_b64 exec, exec, s[10:11]
	s_cbranch_execnz .LBB50_735
; %bb.736:
	s_or_b64 exec, exec, s[10:11]
.LBB50_737:
	s_or_b64 exec, exec, s[8:9]
	v_mov_b32_e32 v108, 0
	ds_read_b64 v[108:109], v108 offset:200
	s_waitcnt lgkmcnt(0)
	v_mul_f64 v[103:104], v[103:104], v[108:109]
	buffer_store_dword v104, off, s[0:3], 0 offset:204
	buffer_store_dword v103, off, s[0:3], 0 offset:200
.LBB50_738:
	s_or_b64 exec, exec, s[6:7]
	buffer_load_dword v103, off, s[0:3], 0 offset:208
	buffer_load_dword v104, off, s[0:3], 0 offset:212
	v_cmp_gt_u32_e32 vcc, 26, v0
	s_waitcnt vmcnt(0)
	ds_write_b64 v106, v[103:104]
	s_waitcnt lgkmcnt(0)
	; wave barrier
	s_and_saveexec_b64 s[6:7], vcc
	s_cbranch_execz .LBB50_748
; %bb.739:
	s_and_b64 vcc, exec, s[4:5]
	s_cbranch_vccnz .LBB50_741
; %bb.740:
	buffer_load_dword v103, v107, s[0:3], 0 offen
	buffer_load_dword v104, v107, s[0:3], 0 offen offset:4
	ds_read_b64 v[108:109], v106
	s_waitcnt vmcnt(0) lgkmcnt(0)
	v_mul_f64 v[103:104], v[103:104], v[108:109]
	s_cbranch_execz .LBB50_742
	s_branch .LBB50_743
.LBB50_741:
                                        ; implicit-def: $vgpr103_vgpr104
.LBB50_742:
	ds_read_b64 v[103:104], v106
.LBB50_743:
	v_cmp_ne_u32_e32 vcc, 25, v0
	s_and_saveexec_b64 s[8:9], vcc
	s_cbranch_execz .LBB50_747
; %bb.744:
	s_mov_b32 s10, 0
	v_add_u32_e32 v108, 0x1a8, v105
	v_add3_u32 v109, v105, s10, 8
	s_mov_b64 s[10:11], 0
	v_mov_b32_e32 v110, v0
.LBB50_745:                             ; =>This Inner Loop Header: Depth=1
	buffer_load_dword v111, v109, s[0:3], 0 offen
	buffer_load_dword v112, v109, s[0:3], 0 offen offset:4
	ds_read_b64 v[113:114], v108
	v_add_u32_e32 v110, 1, v110
	v_cmp_lt_u32_e32 vcc, 24, v110
	v_add_u32_e32 v108, 8, v108
	s_or_b64 s[10:11], vcc, s[10:11]
	v_add_u32_e32 v109, 8, v109
	s_waitcnt vmcnt(0) lgkmcnt(0)
	v_fma_f64 v[103:104], v[111:112], v[113:114], v[103:104]
	s_andn2_b64 exec, exec, s[10:11]
	s_cbranch_execnz .LBB50_745
; %bb.746:
	s_or_b64 exec, exec, s[10:11]
.LBB50_747:
	s_or_b64 exec, exec, s[8:9]
	v_mov_b32_e32 v108, 0
	ds_read_b64 v[108:109], v108 offset:208
	s_waitcnt lgkmcnt(0)
	v_mul_f64 v[103:104], v[103:104], v[108:109]
	buffer_store_dword v104, off, s[0:3], 0 offset:212
	buffer_store_dword v103, off, s[0:3], 0 offset:208
.LBB50_748:
	s_or_b64 exec, exec, s[6:7]
	buffer_load_dword v103, off, s[0:3], 0 offset:216
	buffer_load_dword v104, off, s[0:3], 0 offset:220
	v_cmp_gt_u32_e32 vcc, 27, v0
	s_waitcnt vmcnt(0)
	ds_write_b64 v106, v[103:104]
	s_waitcnt lgkmcnt(0)
	; wave barrier
	s_and_saveexec_b64 s[6:7], vcc
	s_cbranch_execz .LBB50_758
; %bb.749:
	s_and_b64 vcc, exec, s[4:5]
	s_cbranch_vccnz .LBB50_751
; %bb.750:
	buffer_load_dword v103, v107, s[0:3], 0 offen
	buffer_load_dword v104, v107, s[0:3], 0 offen offset:4
	ds_read_b64 v[108:109], v106
	s_waitcnt vmcnt(0) lgkmcnt(0)
	v_mul_f64 v[103:104], v[103:104], v[108:109]
	s_cbranch_execz .LBB50_752
	s_branch .LBB50_753
.LBB50_751:
                                        ; implicit-def: $vgpr103_vgpr104
.LBB50_752:
	ds_read_b64 v[103:104], v106
.LBB50_753:
	v_cmp_ne_u32_e32 vcc, 26, v0
	s_and_saveexec_b64 s[8:9], vcc
	s_cbranch_execz .LBB50_757
; %bb.754:
	s_mov_b32 s10, 0
	v_add_u32_e32 v108, 0x1a8, v105
	v_add3_u32 v109, v105, s10, 8
	s_mov_b64 s[10:11], 0
	v_mov_b32_e32 v110, v0
.LBB50_755:                             ; =>This Inner Loop Header: Depth=1
	buffer_load_dword v111, v109, s[0:3], 0 offen
	buffer_load_dword v112, v109, s[0:3], 0 offen offset:4
	ds_read_b64 v[113:114], v108
	v_add_u32_e32 v110, 1, v110
	v_cmp_lt_u32_e32 vcc, 25, v110
	v_add_u32_e32 v108, 8, v108
	s_or_b64 s[10:11], vcc, s[10:11]
	v_add_u32_e32 v109, 8, v109
	s_waitcnt vmcnt(0) lgkmcnt(0)
	v_fma_f64 v[103:104], v[111:112], v[113:114], v[103:104]
	s_andn2_b64 exec, exec, s[10:11]
	s_cbranch_execnz .LBB50_755
; %bb.756:
	s_or_b64 exec, exec, s[10:11]
.LBB50_757:
	s_or_b64 exec, exec, s[8:9]
	v_mov_b32_e32 v108, 0
	ds_read_b64 v[108:109], v108 offset:216
	s_waitcnt lgkmcnt(0)
	v_mul_f64 v[103:104], v[103:104], v[108:109]
	buffer_store_dword v104, off, s[0:3], 0 offset:220
	buffer_store_dword v103, off, s[0:3], 0 offset:216
.LBB50_758:
	s_or_b64 exec, exec, s[6:7]
	buffer_load_dword v103, off, s[0:3], 0 offset:224
	buffer_load_dword v104, off, s[0:3], 0 offset:228
	v_cmp_gt_u32_e32 vcc, 28, v0
	s_waitcnt vmcnt(0)
	ds_write_b64 v106, v[103:104]
	s_waitcnt lgkmcnt(0)
	; wave barrier
	s_and_saveexec_b64 s[6:7], vcc
	s_cbranch_execz .LBB50_768
; %bb.759:
	s_and_b64 vcc, exec, s[4:5]
	s_cbranch_vccnz .LBB50_761
; %bb.760:
	buffer_load_dword v103, v107, s[0:3], 0 offen
	buffer_load_dword v104, v107, s[0:3], 0 offen offset:4
	ds_read_b64 v[108:109], v106
	s_waitcnt vmcnt(0) lgkmcnt(0)
	v_mul_f64 v[103:104], v[103:104], v[108:109]
	s_cbranch_execz .LBB50_762
	s_branch .LBB50_763
.LBB50_761:
                                        ; implicit-def: $vgpr103_vgpr104
.LBB50_762:
	ds_read_b64 v[103:104], v106
.LBB50_763:
	v_cmp_ne_u32_e32 vcc, 27, v0
	s_and_saveexec_b64 s[8:9], vcc
	s_cbranch_execz .LBB50_767
; %bb.764:
	s_mov_b32 s10, 0
	v_add_u32_e32 v108, 0x1a8, v105
	v_add3_u32 v109, v105, s10, 8
	s_mov_b64 s[10:11], 0
	v_mov_b32_e32 v110, v0
.LBB50_765:                             ; =>This Inner Loop Header: Depth=1
	buffer_load_dword v111, v109, s[0:3], 0 offen
	buffer_load_dword v112, v109, s[0:3], 0 offen offset:4
	ds_read_b64 v[113:114], v108
	v_add_u32_e32 v110, 1, v110
	v_cmp_lt_u32_e32 vcc, 26, v110
	v_add_u32_e32 v108, 8, v108
	s_or_b64 s[10:11], vcc, s[10:11]
	v_add_u32_e32 v109, 8, v109
	s_waitcnt vmcnt(0) lgkmcnt(0)
	v_fma_f64 v[103:104], v[111:112], v[113:114], v[103:104]
	s_andn2_b64 exec, exec, s[10:11]
	s_cbranch_execnz .LBB50_765
; %bb.766:
	s_or_b64 exec, exec, s[10:11]
.LBB50_767:
	s_or_b64 exec, exec, s[8:9]
	v_mov_b32_e32 v108, 0
	ds_read_b64 v[108:109], v108 offset:224
	s_waitcnt lgkmcnt(0)
	v_mul_f64 v[103:104], v[103:104], v[108:109]
	buffer_store_dword v104, off, s[0:3], 0 offset:228
	buffer_store_dword v103, off, s[0:3], 0 offset:224
.LBB50_768:
	s_or_b64 exec, exec, s[6:7]
	buffer_load_dword v103, off, s[0:3], 0 offset:232
	buffer_load_dword v104, off, s[0:3], 0 offset:236
	v_cmp_gt_u32_e32 vcc, 29, v0
	s_waitcnt vmcnt(0)
	ds_write_b64 v106, v[103:104]
	s_waitcnt lgkmcnt(0)
	; wave barrier
	s_and_saveexec_b64 s[6:7], vcc
	s_cbranch_execz .LBB50_778
; %bb.769:
	s_and_b64 vcc, exec, s[4:5]
	s_cbranch_vccnz .LBB50_771
; %bb.770:
	buffer_load_dword v103, v107, s[0:3], 0 offen
	buffer_load_dword v104, v107, s[0:3], 0 offen offset:4
	ds_read_b64 v[108:109], v106
	s_waitcnt vmcnt(0) lgkmcnt(0)
	v_mul_f64 v[103:104], v[103:104], v[108:109]
	s_cbranch_execz .LBB50_772
	s_branch .LBB50_773
.LBB50_771:
                                        ; implicit-def: $vgpr103_vgpr104
.LBB50_772:
	ds_read_b64 v[103:104], v106
.LBB50_773:
	v_cmp_ne_u32_e32 vcc, 28, v0
	s_and_saveexec_b64 s[8:9], vcc
	s_cbranch_execz .LBB50_777
; %bb.774:
	s_mov_b32 s10, 0
	v_add_u32_e32 v108, 0x1a8, v105
	v_add3_u32 v109, v105, s10, 8
	s_mov_b64 s[10:11], 0
	v_mov_b32_e32 v110, v0
.LBB50_775:                             ; =>This Inner Loop Header: Depth=1
	buffer_load_dword v111, v109, s[0:3], 0 offen
	buffer_load_dword v112, v109, s[0:3], 0 offen offset:4
	ds_read_b64 v[113:114], v108
	v_add_u32_e32 v110, 1, v110
	v_cmp_lt_u32_e32 vcc, 27, v110
	v_add_u32_e32 v108, 8, v108
	s_or_b64 s[10:11], vcc, s[10:11]
	v_add_u32_e32 v109, 8, v109
	s_waitcnt vmcnt(0) lgkmcnt(0)
	v_fma_f64 v[103:104], v[111:112], v[113:114], v[103:104]
	s_andn2_b64 exec, exec, s[10:11]
	s_cbranch_execnz .LBB50_775
; %bb.776:
	s_or_b64 exec, exec, s[10:11]
.LBB50_777:
	s_or_b64 exec, exec, s[8:9]
	v_mov_b32_e32 v108, 0
	ds_read_b64 v[108:109], v108 offset:232
	s_waitcnt lgkmcnt(0)
	v_mul_f64 v[103:104], v[103:104], v[108:109]
	buffer_store_dword v104, off, s[0:3], 0 offset:236
	buffer_store_dword v103, off, s[0:3], 0 offset:232
.LBB50_778:
	s_or_b64 exec, exec, s[6:7]
	buffer_load_dword v103, off, s[0:3], 0 offset:240
	buffer_load_dword v104, off, s[0:3], 0 offset:244
	v_cmp_gt_u32_e32 vcc, 30, v0
	s_waitcnt vmcnt(0)
	ds_write_b64 v106, v[103:104]
	s_waitcnt lgkmcnt(0)
	; wave barrier
	s_and_saveexec_b64 s[6:7], vcc
	s_cbranch_execz .LBB50_788
; %bb.779:
	s_and_b64 vcc, exec, s[4:5]
	s_cbranch_vccnz .LBB50_781
; %bb.780:
	buffer_load_dword v103, v107, s[0:3], 0 offen
	buffer_load_dword v104, v107, s[0:3], 0 offen offset:4
	ds_read_b64 v[108:109], v106
	s_waitcnt vmcnt(0) lgkmcnt(0)
	v_mul_f64 v[103:104], v[103:104], v[108:109]
	s_cbranch_execz .LBB50_782
	s_branch .LBB50_783
.LBB50_781:
                                        ; implicit-def: $vgpr103_vgpr104
.LBB50_782:
	ds_read_b64 v[103:104], v106
.LBB50_783:
	v_cmp_ne_u32_e32 vcc, 29, v0
	s_and_saveexec_b64 s[8:9], vcc
	s_cbranch_execz .LBB50_787
; %bb.784:
	s_mov_b32 s10, 0
	v_add_u32_e32 v108, 0x1a8, v105
	v_add3_u32 v109, v105, s10, 8
	s_mov_b64 s[10:11], 0
	v_mov_b32_e32 v110, v0
.LBB50_785:                             ; =>This Inner Loop Header: Depth=1
	buffer_load_dword v111, v109, s[0:3], 0 offen
	buffer_load_dword v112, v109, s[0:3], 0 offen offset:4
	ds_read_b64 v[113:114], v108
	v_add_u32_e32 v110, 1, v110
	v_cmp_lt_u32_e32 vcc, 28, v110
	v_add_u32_e32 v108, 8, v108
	s_or_b64 s[10:11], vcc, s[10:11]
	v_add_u32_e32 v109, 8, v109
	s_waitcnt vmcnt(0) lgkmcnt(0)
	v_fma_f64 v[103:104], v[111:112], v[113:114], v[103:104]
	s_andn2_b64 exec, exec, s[10:11]
	s_cbranch_execnz .LBB50_785
; %bb.786:
	s_or_b64 exec, exec, s[10:11]
.LBB50_787:
	s_or_b64 exec, exec, s[8:9]
	v_mov_b32_e32 v108, 0
	ds_read_b64 v[108:109], v108 offset:240
	s_waitcnt lgkmcnt(0)
	v_mul_f64 v[103:104], v[103:104], v[108:109]
	buffer_store_dword v104, off, s[0:3], 0 offset:244
	buffer_store_dword v103, off, s[0:3], 0 offset:240
.LBB50_788:
	s_or_b64 exec, exec, s[6:7]
	buffer_load_dword v103, off, s[0:3], 0 offset:248
	buffer_load_dword v104, off, s[0:3], 0 offset:252
	v_cmp_gt_u32_e32 vcc, 31, v0
	s_waitcnt vmcnt(0)
	ds_write_b64 v106, v[103:104]
	s_waitcnt lgkmcnt(0)
	; wave barrier
	s_and_saveexec_b64 s[6:7], vcc
	s_cbranch_execz .LBB50_798
; %bb.789:
	s_and_b64 vcc, exec, s[4:5]
	s_cbranch_vccnz .LBB50_791
; %bb.790:
	buffer_load_dword v103, v107, s[0:3], 0 offen
	buffer_load_dword v104, v107, s[0:3], 0 offen offset:4
	ds_read_b64 v[108:109], v106
	s_waitcnt vmcnt(0) lgkmcnt(0)
	v_mul_f64 v[103:104], v[103:104], v[108:109]
	s_cbranch_execz .LBB50_792
	s_branch .LBB50_793
.LBB50_791:
                                        ; implicit-def: $vgpr103_vgpr104
.LBB50_792:
	ds_read_b64 v[103:104], v106
.LBB50_793:
	v_cmp_ne_u32_e32 vcc, 30, v0
	s_and_saveexec_b64 s[8:9], vcc
	s_cbranch_execz .LBB50_797
; %bb.794:
	s_mov_b32 s10, 0
	v_add_u32_e32 v108, 0x1a8, v105
	v_add3_u32 v109, v105, s10, 8
	s_mov_b64 s[10:11], 0
	v_mov_b32_e32 v110, v0
.LBB50_795:                             ; =>This Inner Loop Header: Depth=1
	buffer_load_dword v111, v109, s[0:3], 0 offen
	buffer_load_dword v112, v109, s[0:3], 0 offen offset:4
	ds_read_b64 v[113:114], v108
	v_add_u32_e32 v110, 1, v110
	v_cmp_lt_u32_e32 vcc, 29, v110
	v_add_u32_e32 v108, 8, v108
	s_or_b64 s[10:11], vcc, s[10:11]
	v_add_u32_e32 v109, 8, v109
	s_waitcnt vmcnt(0) lgkmcnt(0)
	v_fma_f64 v[103:104], v[111:112], v[113:114], v[103:104]
	s_andn2_b64 exec, exec, s[10:11]
	s_cbranch_execnz .LBB50_795
; %bb.796:
	s_or_b64 exec, exec, s[10:11]
.LBB50_797:
	s_or_b64 exec, exec, s[8:9]
	v_mov_b32_e32 v108, 0
	ds_read_b64 v[108:109], v108 offset:248
	s_waitcnt lgkmcnt(0)
	v_mul_f64 v[103:104], v[103:104], v[108:109]
	buffer_store_dword v104, off, s[0:3], 0 offset:252
	buffer_store_dword v103, off, s[0:3], 0 offset:248
.LBB50_798:
	s_or_b64 exec, exec, s[6:7]
	buffer_load_dword v103, off, s[0:3], 0 offset:256
	buffer_load_dword v104, off, s[0:3], 0 offset:260
	v_cmp_gt_u32_e32 vcc, 32, v0
	s_waitcnt vmcnt(0)
	ds_write_b64 v106, v[103:104]
	s_waitcnt lgkmcnt(0)
	; wave barrier
	s_and_saveexec_b64 s[6:7], vcc
	s_cbranch_execz .LBB50_808
; %bb.799:
	s_and_b64 vcc, exec, s[4:5]
	s_cbranch_vccnz .LBB50_801
; %bb.800:
	buffer_load_dword v103, v107, s[0:3], 0 offen
	buffer_load_dword v104, v107, s[0:3], 0 offen offset:4
	ds_read_b64 v[108:109], v106
	s_waitcnt vmcnt(0) lgkmcnt(0)
	v_mul_f64 v[103:104], v[103:104], v[108:109]
	s_cbranch_execz .LBB50_802
	s_branch .LBB50_803
.LBB50_801:
                                        ; implicit-def: $vgpr103_vgpr104
.LBB50_802:
	ds_read_b64 v[103:104], v106
.LBB50_803:
	v_cmp_ne_u32_e32 vcc, 31, v0
	s_and_saveexec_b64 s[8:9], vcc
	s_cbranch_execz .LBB50_807
; %bb.804:
	s_mov_b32 s10, 0
	v_add_u32_e32 v108, 0x1a8, v105
	v_add3_u32 v109, v105, s10, 8
	s_mov_b64 s[10:11], 0
	v_mov_b32_e32 v110, v0
.LBB50_805:                             ; =>This Inner Loop Header: Depth=1
	buffer_load_dword v111, v109, s[0:3], 0 offen
	buffer_load_dword v112, v109, s[0:3], 0 offen offset:4
	ds_read_b64 v[113:114], v108
	v_add_u32_e32 v110, 1, v110
	v_cmp_lt_u32_e32 vcc, 30, v110
	v_add_u32_e32 v108, 8, v108
	s_or_b64 s[10:11], vcc, s[10:11]
	v_add_u32_e32 v109, 8, v109
	s_waitcnt vmcnt(0) lgkmcnt(0)
	v_fma_f64 v[103:104], v[111:112], v[113:114], v[103:104]
	s_andn2_b64 exec, exec, s[10:11]
	s_cbranch_execnz .LBB50_805
; %bb.806:
	s_or_b64 exec, exec, s[10:11]
.LBB50_807:
	s_or_b64 exec, exec, s[8:9]
	v_mov_b32_e32 v108, 0
	ds_read_b64 v[108:109], v108 offset:256
	s_waitcnt lgkmcnt(0)
	v_mul_f64 v[103:104], v[103:104], v[108:109]
	buffer_store_dword v104, off, s[0:3], 0 offset:260
	buffer_store_dword v103, off, s[0:3], 0 offset:256
.LBB50_808:
	s_or_b64 exec, exec, s[6:7]
	buffer_load_dword v103, off, s[0:3], 0 offset:264
	buffer_load_dword v104, off, s[0:3], 0 offset:268
	v_cmp_gt_u32_e32 vcc, 33, v0
	s_waitcnt vmcnt(0)
	ds_write_b64 v106, v[103:104]
	s_waitcnt lgkmcnt(0)
	; wave barrier
	s_and_saveexec_b64 s[6:7], vcc
	s_cbranch_execz .LBB50_818
; %bb.809:
	s_and_b64 vcc, exec, s[4:5]
	s_cbranch_vccnz .LBB50_811
; %bb.810:
	buffer_load_dword v103, v107, s[0:3], 0 offen
	buffer_load_dword v104, v107, s[0:3], 0 offen offset:4
	ds_read_b64 v[108:109], v106
	s_waitcnt vmcnt(0) lgkmcnt(0)
	v_mul_f64 v[103:104], v[103:104], v[108:109]
	s_cbranch_execz .LBB50_812
	s_branch .LBB50_813
.LBB50_811:
                                        ; implicit-def: $vgpr103_vgpr104
.LBB50_812:
	ds_read_b64 v[103:104], v106
.LBB50_813:
	v_cmp_ne_u32_e32 vcc, 32, v0
	s_and_saveexec_b64 s[8:9], vcc
	s_cbranch_execz .LBB50_817
; %bb.814:
	s_mov_b32 s10, 0
	v_add_u32_e32 v108, 0x1a8, v105
	v_add3_u32 v109, v105, s10, 8
	s_mov_b64 s[10:11], 0
	v_mov_b32_e32 v110, v0
.LBB50_815:                             ; =>This Inner Loop Header: Depth=1
	buffer_load_dword v111, v109, s[0:3], 0 offen
	buffer_load_dword v112, v109, s[0:3], 0 offen offset:4
	ds_read_b64 v[113:114], v108
	v_add_u32_e32 v110, 1, v110
	v_cmp_lt_u32_e32 vcc, 31, v110
	v_add_u32_e32 v108, 8, v108
	s_or_b64 s[10:11], vcc, s[10:11]
	v_add_u32_e32 v109, 8, v109
	s_waitcnt vmcnt(0) lgkmcnt(0)
	v_fma_f64 v[103:104], v[111:112], v[113:114], v[103:104]
	s_andn2_b64 exec, exec, s[10:11]
	s_cbranch_execnz .LBB50_815
; %bb.816:
	s_or_b64 exec, exec, s[10:11]
.LBB50_817:
	s_or_b64 exec, exec, s[8:9]
	v_mov_b32_e32 v108, 0
	ds_read_b64 v[108:109], v108 offset:264
	s_waitcnt lgkmcnt(0)
	v_mul_f64 v[103:104], v[103:104], v[108:109]
	buffer_store_dword v104, off, s[0:3], 0 offset:268
	buffer_store_dword v103, off, s[0:3], 0 offset:264
.LBB50_818:
	s_or_b64 exec, exec, s[6:7]
	buffer_load_dword v103, off, s[0:3], 0 offset:272
	buffer_load_dword v104, off, s[0:3], 0 offset:276
	v_cmp_gt_u32_e32 vcc, 34, v0
	s_waitcnt vmcnt(0)
	ds_write_b64 v106, v[103:104]
	s_waitcnt lgkmcnt(0)
	; wave barrier
	s_and_saveexec_b64 s[6:7], vcc
	s_cbranch_execz .LBB50_828
; %bb.819:
	s_and_b64 vcc, exec, s[4:5]
	s_cbranch_vccnz .LBB50_821
; %bb.820:
	buffer_load_dword v103, v107, s[0:3], 0 offen
	buffer_load_dword v104, v107, s[0:3], 0 offen offset:4
	ds_read_b64 v[108:109], v106
	s_waitcnt vmcnt(0) lgkmcnt(0)
	v_mul_f64 v[103:104], v[103:104], v[108:109]
	s_cbranch_execz .LBB50_822
	s_branch .LBB50_823
.LBB50_821:
                                        ; implicit-def: $vgpr103_vgpr104
.LBB50_822:
	ds_read_b64 v[103:104], v106
.LBB50_823:
	v_cmp_ne_u32_e32 vcc, 33, v0
	s_and_saveexec_b64 s[8:9], vcc
	s_cbranch_execz .LBB50_827
; %bb.824:
	s_mov_b32 s10, 0
	v_add_u32_e32 v108, 0x1a8, v105
	v_add3_u32 v109, v105, s10, 8
	s_mov_b64 s[10:11], 0
	v_mov_b32_e32 v110, v0
.LBB50_825:                             ; =>This Inner Loop Header: Depth=1
	buffer_load_dword v111, v109, s[0:3], 0 offen
	buffer_load_dword v112, v109, s[0:3], 0 offen offset:4
	ds_read_b64 v[113:114], v108
	v_add_u32_e32 v110, 1, v110
	v_cmp_lt_u32_e32 vcc, 32, v110
	v_add_u32_e32 v108, 8, v108
	s_or_b64 s[10:11], vcc, s[10:11]
	v_add_u32_e32 v109, 8, v109
	s_waitcnt vmcnt(0) lgkmcnt(0)
	v_fma_f64 v[103:104], v[111:112], v[113:114], v[103:104]
	s_andn2_b64 exec, exec, s[10:11]
	s_cbranch_execnz .LBB50_825
; %bb.826:
	s_or_b64 exec, exec, s[10:11]
.LBB50_827:
	s_or_b64 exec, exec, s[8:9]
	v_mov_b32_e32 v108, 0
	ds_read_b64 v[108:109], v108 offset:272
	s_waitcnt lgkmcnt(0)
	v_mul_f64 v[103:104], v[103:104], v[108:109]
	buffer_store_dword v104, off, s[0:3], 0 offset:276
	buffer_store_dword v103, off, s[0:3], 0 offset:272
.LBB50_828:
	s_or_b64 exec, exec, s[6:7]
	buffer_load_dword v103, off, s[0:3], 0 offset:280
	buffer_load_dword v104, off, s[0:3], 0 offset:284
	v_cmp_gt_u32_e32 vcc, 35, v0
	s_waitcnt vmcnt(0)
	ds_write_b64 v106, v[103:104]
	s_waitcnt lgkmcnt(0)
	; wave barrier
	s_and_saveexec_b64 s[6:7], vcc
	s_cbranch_execz .LBB50_838
; %bb.829:
	s_and_b64 vcc, exec, s[4:5]
	s_cbranch_vccnz .LBB50_831
; %bb.830:
	buffer_load_dword v103, v107, s[0:3], 0 offen
	buffer_load_dword v104, v107, s[0:3], 0 offen offset:4
	ds_read_b64 v[108:109], v106
	s_waitcnt vmcnt(0) lgkmcnt(0)
	v_mul_f64 v[103:104], v[103:104], v[108:109]
	s_cbranch_execz .LBB50_832
	s_branch .LBB50_833
.LBB50_831:
                                        ; implicit-def: $vgpr103_vgpr104
.LBB50_832:
	ds_read_b64 v[103:104], v106
.LBB50_833:
	v_cmp_ne_u32_e32 vcc, 34, v0
	s_and_saveexec_b64 s[8:9], vcc
	s_cbranch_execz .LBB50_837
; %bb.834:
	s_mov_b32 s10, 0
	v_add_u32_e32 v108, 0x1a8, v105
	v_add3_u32 v109, v105, s10, 8
	s_mov_b64 s[10:11], 0
	v_mov_b32_e32 v110, v0
.LBB50_835:                             ; =>This Inner Loop Header: Depth=1
	buffer_load_dword v111, v109, s[0:3], 0 offen
	buffer_load_dword v112, v109, s[0:3], 0 offen offset:4
	ds_read_b64 v[113:114], v108
	v_add_u32_e32 v110, 1, v110
	v_cmp_lt_u32_e32 vcc, 33, v110
	v_add_u32_e32 v108, 8, v108
	s_or_b64 s[10:11], vcc, s[10:11]
	v_add_u32_e32 v109, 8, v109
	s_waitcnt vmcnt(0) lgkmcnt(0)
	v_fma_f64 v[103:104], v[111:112], v[113:114], v[103:104]
	s_andn2_b64 exec, exec, s[10:11]
	s_cbranch_execnz .LBB50_835
; %bb.836:
	s_or_b64 exec, exec, s[10:11]
.LBB50_837:
	s_or_b64 exec, exec, s[8:9]
	v_mov_b32_e32 v108, 0
	ds_read_b64 v[108:109], v108 offset:280
	s_waitcnt lgkmcnt(0)
	v_mul_f64 v[103:104], v[103:104], v[108:109]
	buffer_store_dword v104, off, s[0:3], 0 offset:284
	buffer_store_dword v103, off, s[0:3], 0 offset:280
.LBB50_838:
	s_or_b64 exec, exec, s[6:7]
	buffer_load_dword v103, off, s[0:3], 0 offset:288
	buffer_load_dword v104, off, s[0:3], 0 offset:292
	v_cmp_gt_u32_e32 vcc, 36, v0
	s_waitcnt vmcnt(0)
	ds_write_b64 v106, v[103:104]
	s_waitcnt lgkmcnt(0)
	; wave barrier
	s_and_saveexec_b64 s[6:7], vcc
	s_cbranch_execz .LBB50_848
; %bb.839:
	s_and_b64 vcc, exec, s[4:5]
	s_cbranch_vccnz .LBB50_841
; %bb.840:
	buffer_load_dword v103, v107, s[0:3], 0 offen
	buffer_load_dword v104, v107, s[0:3], 0 offen offset:4
	ds_read_b64 v[108:109], v106
	s_waitcnt vmcnt(0) lgkmcnt(0)
	v_mul_f64 v[103:104], v[103:104], v[108:109]
	s_cbranch_execz .LBB50_842
	s_branch .LBB50_843
.LBB50_841:
                                        ; implicit-def: $vgpr103_vgpr104
.LBB50_842:
	ds_read_b64 v[103:104], v106
.LBB50_843:
	v_cmp_ne_u32_e32 vcc, 35, v0
	s_and_saveexec_b64 s[8:9], vcc
	s_cbranch_execz .LBB50_847
; %bb.844:
	s_mov_b32 s10, 0
	v_add_u32_e32 v108, 0x1a8, v105
	v_add3_u32 v109, v105, s10, 8
	s_mov_b64 s[10:11], 0
	v_mov_b32_e32 v110, v0
.LBB50_845:                             ; =>This Inner Loop Header: Depth=1
	buffer_load_dword v111, v109, s[0:3], 0 offen
	buffer_load_dword v112, v109, s[0:3], 0 offen offset:4
	ds_read_b64 v[113:114], v108
	v_add_u32_e32 v110, 1, v110
	v_cmp_lt_u32_e32 vcc, 34, v110
	v_add_u32_e32 v108, 8, v108
	s_or_b64 s[10:11], vcc, s[10:11]
	v_add_u32_e32 v109, 8, v109
	s_waitcnt vmcnt(0) lgkmcnt(0)
	v_fma_f64 v[103:104], v[111:112], v[113:114], v[103:104]
	s_andn2_b64 exec, exec, s[10:11]
	s_cbranch_execnz .LBB50_845
; %bb.846:
	s_or_b64 exec, exec, s[10:11]
.LBB50_847:
	s_or_b64 exec, exec, s[8:9]
	v_mov_b32_e32 v108, 0
	ds_read_b64 v[108:109], v108 offset:288
	s_waitcnt lgkmcnt(0)
	v_mul_f64 v[103:104], v[103:104], v[108:109]
	buffer_store_dword v104, off, s[0:3], 0 offset:292
	buffer_store_dword v103, off, s[0:3], 0 offset:288
.LBB50_848:
	s_or_b64 exec, exec, s[6:7]
	buffer_load_dword v103, off, s[0:3], 0 offset:296
	buffer_load_dword v104, off, s[0:3], 0 offset:300
	v_cmp_gt_u32_e32 vcc, 37, v0
	s_waitcnt vmcnt(0)
	ds_write_b64 v106, v[103:104]
	s_waitcnt lgkmcnt(0)
	; wave barrier
	s_and_saveexec_b64 s[6:7], vcc
	s_cbranch_execz .LBB50_858
; %bb.849:
	s_and_b64 vcc, exec, s[4:5]
	s_cbranch_vccnz .LBB50_851
; %bb.850:
	buffer_load_dword v103, v107, s[0:3], 0 offen
	buffer_load_dword v104, v107, s[0:3], 0 offen offset:4
	ds_read_b64 v[108:109], v106
	s_waitcnt vmcnt(0) lgkmcnt(0)
	v_mul_f64 v[103:104], v[103:104], v[108:109]
	s_cbranch_execz .LBB50_852
	s_branch .LBB50_853
.LBB50_851:
                                        ; implicit-def: $vgpr103_vgpr104
.LBB50_852:
	ds_read_b64 v[103:104], v106
.LBB50_853:
	v_cmp_ne_u32_e32 vcc, 36, v0
	s_and_saveexec_b64 s[8:9], vcc
	s_cbranch_execz .LBB50_857
; %bb.854:
	s_mov_b32 s10, 0
	v_add_u32_e32 v108, 0x1a8, v105
	v_add3_u32 v109, v105, s10, 8
	s_mov_b64 s[10:11], 0
	v_mov_b32_e32 v110, v0
.LBB50_855:                             ; =>This Inner Loop Header: Depth=1
	buffer_load_dword v111, v109, s[0:3], 0 offen
	buffer_load_dword v112, v109, s[0:3], 0 offen offset:4
	ds_read_b64 v[113:114], v108
	v_add_u32_e32 v110, 1, v110
	v_cmp_lt_u32_e32 vcc, 35, v110
	v_add_u32_e32 v108, 8, v108
	s_or_b64 s[10:11], vcc, s[10:11]
	v_add_u32_e32 v109, 8, v109
	s_waitcnt vmcnt(0) lgkmcnt(0)
	v_fma_f64 v[103:104], v[111:112], v[113:114], v[103:104]
	s_andn2_b64 exec, exec, s[10:11]
	s_cbranch_execnz .LBB50_855
; %bb.856:
	s_or_b64 exec, exec, s[10:11]
.LBB50_857:
	s_or_b64 exec, exec, s[8:9]
	v_mov_b32_e32 v108, 0
	ds_read_b64 v[108:109], v108 offset:296
	s_waitcnt lgkmcnt(0)
	v_mul_f64 v[103:104], v[103:104], v[108:109]
	buffer_store_dword v104, off, s[0:3], 0 offset:300
	buffer_store_dword v103, off, s[0:3], 0 offset:296
.LBB50_858:
	s_or_b64 exec, exec, s[6:7]
	buffer_load_dword v103, off, s[0:3], 0 offset:304
	buffer_load_dword v104, off, s[0:3], 0 offset:308
	v_cmp_gt_u32_e32 vcc, 38, v0
	s_waitcnt vmcnt(0)
	ds_write_b64 v106, v[103:104]
	s_waitcnt lgkmcnt(0)
	; wave barrier
	s_and_saveexec_b64 s[6:7], vcc
	s_cbranch_execz .LBB50_868
; %bb.859:
	s_and_b64 vcc, exec, s[4:5]
	s_cbranch_vccnz .LBB50_861
; %bb.860:
	buffer_load_dword v103, v107, s[0:3], 0 offen
	buffer_load_dword v104, v107, s[0:3], 0 offen offset:4
	ds_read_b64 v[108:109], v106
	s_waitcnt vmcnt(0) lgkmcnt(0)
	v_mul_f64 v[103:104], v[103:104], v[108:109]
	s_cbranch_execz .LBB50_862
	s_branch .LBB50_863
.LBB50_861:
                                        ; implicit-def: $vgpr103_vgpr104
.LBB50_862:
	ds_read_b64 v[103:104], v106
.LBB50_863:
	v_cmp_ne_u32_e32 vcc, 37, v0
	s_and_saveexec_b64 s[8:9], vcc
	s_cbranch_execz .LBB50_867
; %bb.864:
	s_mov_b32 s10, 0
	v_add_u32_e32 v108, 0x1a8, v105
	v_add3_u32 v109, v105, s10, 8
	s_mov_b64 s[10:11], 0
	v_mov_b32_e32 v110, v0
.LBB50_865:                             ; =>This Inner Loop Header: Depth=1
	buffer_load_dword v111, v109, s[0:3], 0 offen
	buffer_load_dword v112, v109, s[0:3], 0 offen offset:4
	ds_read_b64 v[113:114], v108
	v_add_u32_e32 v110, 1, v110
	v_cmp_lt_u32_e32 vcc, 36, v110
	v_add_u32_e32 v108, 8, v108
	s_or_b64 s[10:11], vcc, s[10:11]
	v_add_u32_e32 v109, 8, v109
	s_waitcnt vmcnt(0) lgkmcnt(0)
	v_fma_f64 v[103:104], v[111:112], v[113:114], v[103:104]
	s_andn2_b64 exec, exec, s[10:11]
	s_cbranch_execnz .LBB50_865
; %bb.866:
	s_or_b64 exec, exec, s[10:11]
.LBB50_867:
	s_or_b64 exec, exec, s[8:9]
	v_mov_b32_e32 v108, 0
	ds_read_b64 v[108:109], v108 offset:304
	s_waitcnt lgkmcnt(0)
	v_mul_f64 v[103:104], v[103:104], v[108:109]
	buffer_store_dword v104, off, s[0:3], 0 offset:308
	buffer_store_dword v103, off, s[0:3], 0 offset:304
.LBB50_868:
	s_or_b64 exec, exec, s[6:7]
	buffer_load_dword v103, off, s[0:3], 0 offset:312
	buffer_load_dword v104, off, s[0:3], 0 offset:316
	v_cmp_gt_u32_e32 vcc, 39, v0
	s_waitcnt vmcnt(0)
	ds_write_b64 v106, v[103:104]
	s_waitcnt lgkmcnt(0)
	; wave barrier
	s_and_saveexec_b64 s[6:7], vcc
	s_cbranch_execz .LBB50_878
; %bb.869:
	s_and_b64 vcc, exec, s[4:5]
	s_cbranch_vccnz .LBB50_871
; %bb.870:
	buffer_load_dword v103, v107, s[0:3], 0 offen
	buffer_load_dword v104, v107, s[0:3], 0 offen offset:4
	ds_read_b64 v[108:109], v106
	s_waitcnt vmcnt(0) lgkmcnt(0)
	v_mul_f64 v[103:104], v[103:104], v[108:109]
	s_cbranch_execz .LBB50_872
	s_branch .LBB50_873
.LBB50_871:
                                        ; implicit-def: $vgpr103_vgpr104
.LBB50_872:
	ds_read_b64 v[103:104], v106
.LBB50_873:
	v_cmp_ne_u32_e32 vcc, 38, v0
	s_and_saveexec_b64 s[8:9], vcc
	s_cbranch_execz .LBB50_877
; %bb.874:
	s_mov_b32 s10, 0
	v_add_u32_e32 v108, 0x1a8, v105
	v_add3_u32 v109, v105, s10, 8
	s_mov_b64 s[10:11], 0
	v_mov_b32_e32 v110, v0
.LBB50_875:                             ; =>This Inner Loop Header: Depth=1
	buffer_load_dword v111, v109, s[0:3], 0 offen
	buffer_load_dword v112, v109, s[0:3], 0 offen offset:4
	ds_read_b64 v[113:114], v108
	v_add_u32_e32 v110, 1, v110
	v_cmp_lt_u32_e32 vcc, 37, v110
	v_add_u32_e32 v108, 8, v108
	s_or_b64 s[10:11], vcc, s[10:11]
	v_add_u32_e32 v109, 8, v109
	s_waitcnt vmcnt(0) lgkmcnt(0)
	v_fma_f64 v[103:104], v[111:112], v[113:114], v[103:104]
	s_andn2_b64 exec, exec, s[10:11]
	s_cbranch_execnz .LBB50_875
; %bb.876:
	s_or_b64 exec, exec, s[10:11]
.LBB50_877:
	s_or_b64 exec, exec, s[8:9]
	v_mov_b32_e32 v108, 0
	ds_read_b64 v[108:109], v108 offset:312
	s_waitcnt lgkmcnt(0)
	v_mul_f64 v[103:104], v[103:104], v[108:109]
	buffer_store_dword v104, off, s[0:3], 0 offset:316
	buffer_store_dword v103, off, s[0:3], 0 offset:312
.LBB50_878:
	s_or_b64 exec, exec, s[6:7]
	buffer_load_dword v103, off, s[0:3], 0 offset:320
	buffer_load_dword v104, off, s[0:3], 0 offset:324
	v_cmp_gt_u32_e32 vcc, 40, v0
	s_waitcnt vmcnt(0)
	ds_write_b64 v106, v[103:104]
	s_waitcnt lgkmcnt(0)
	; wave barrier
	s_and_saveexec_b64 s[6:7], vcc
	s_cbranch_execz .LBB50_888
; %bb.879:
	s_and_b64 vcc, exec, s[4:5]
	s_cbranch_vccnz .LBB50_881
; %bb.880:
	buffer_load_dword v103, v107, s[0:3], 0 offen
	buffer_load_dword v104, v107, s[0:3], 0 offen offset:4
	ds_read_b64 v[108:109], v106
	s_waitcnt vmcnt(0) lgkmcnt(0)
	v_mul_f64 v[103:104], v[103:104], v[108:109]
	s_cbranch_execz .LBB50_882
	s_branch .LBB50_883
.LBB50_881:
                                        ; implicit-def: $vgpr103_vgpr104
.LBB50_882:
	ds_read_b64 v[103:104], v106
.LBB50_883:
	v_cmp_ne_u32_e32 vcc, 39, v0
	s_and_saveexec_b64 s[8:9], vcc
	s_cbranch_execz .LBB50_887
; %bb.884:
	s_mov_b32 s10, 0
	v_add_u32_e32 v108, 0x1a8, v105
	v_add3_u32 v109, v105, s10, 8
	s_mov_b64 s[10:11], 0
	v_mov_b32_e32 v110, v0
.LBB50_885:                             ; =>This Inner Loop Header: Depth=1
	buffer_load_dword v111, v109, s[0:3], 0 offen
	buffer_load_dword v112, v109, s[0:3], 0 offen offset:4
	ds_read_b64 v[113:114], v108
	v_add_u32_e32 v110, 1, v110
	v_cmp_lt_u32_e32 vcc, 38, v110
	v_add_u32_e32 v108, 8, v108
	s_or_b64 s[10:11], vcc, s[10:11]
	v_add_u32_e32 v109, 8, v109
	s_waitcnt vmcnt(0) lgkmcnt(0)
	v_fma_f64 v[103:104], v[111:112], v[113:114], v[103:104]
	s_andn2_b64 exec, exec, s[10:11]
	s_cbranch_execnz .LBB50_885
; %bb.886:
	s_or_b64 exec, exec, s[10:11]
.LBB50_887:
	s_or_b64 exec, exec, s[8:9]
	v_mov_b32_e32 v108, 0
	ds_read_b64 v[108:109], v108 offset:320
	s_waitcnt lgkmcnt(0)
	v_mul_f64 v[103:104], v[103:104], v[108:109]
	buffer_store_dword v104, off, s[0:3], 0 offset:324
	buffer_store_dword v103, off, s[0:3], 0 offset:320
.LBB50_888:
	s_or_b64 exec, exec, s[6:7]
	buffer_load_dword v103, off, s[0:3], 0 offset:328
	buffer_load_dword v104, off, s[0:3], 0 offset:332
	v_cmp_gt_u32_e32 vcc, 41, v0
	s_waitcnt vmcnt(0)
	ds_write_b64 v106, v[103:104]
	s_waitcnt lgkmcnt(0)
	; wave barrier
	s_and_saveexec_b64 s[6:7], vcc
	s_cbranch_execz .LBB50_898
; %bb.889:
	s_and_b64 vcc, exec, s[4:5]
	s_cbranch_vccnz .LBB50_891
; %bb.890:
	buffer_load_dword v103, v107, s[0:3], 0 offen
	buffer_load_dword v104, v107, s[0:3], 0 offen offset:4
	ds_read_b64 v[108:109], v106
	s_waitcnt vmcnt(0) lgkmcnt(0)
	v_mul_f64 v[103:104], v[103:104], v[108:109]
	s_cbranch_execz .LBB50_892
	s_branch .LBB50_893
.LBB50_891:
                                        ; implicit-def: $vgpr103_vgpr104
.LBB50_892:
	ds_read_b64 v[103:104], v106
.LBB50_893:
	v_cmp_ne_u32_e32 vcc, 40, v0
	s_and_saveexec_b64 s[8:9], vcc
	s_cbranch_execz .LBB50_897
; %bb.894:
	s_mov_b32 s10, 0
	v_add_u32_e32 v108, 0x1a8, v105
	v_add3_u32 v109, v105, s10, 8
	s_mov_b64 s[10:11], 0
	v_mov_b32_e32 v110, v0
.LBB50_895:                             ; =>This Inner Loop Header: Depth=1
	buffer_load_dword v111, v109, s[0:3], 0 offen
	buffer_load_dword v112, v109, s[0:3], 0 offen offset:4
	ds_read_b64 v[113:114], v108
	v_add_u32_e32 v110, 1, v110
	v_cmp_lt_u32_e32 vcc, 39, v110
	v_add_u32_e32 v108, 8, v108
	s_or_b64 s[10:11], vcc, s[10:11]
	v_add_u32_e32 v109, 8, v109
	s_waitcnt vmcnt(0) lgkmcnt(0)
	v_fma_f64 v[103:104], v[111:112], v[113:114], v[103:104]
	s_andn2_b64 exec, exec, s[10:11]
	s_cbranch_execnz .LBB50_895
; %bb.896:
	s_or_b64 exec, exec, s[10:11]
.LBB50_897:
	s_or_b64 exec, exec, s[8:9]
	v_mov_b32_e32 v108, 0
	ds_read_b64 v[108:109], v108 offset:328
	s_waitcnt lgkmcnt(0)
	v_mul_f64 v[103:104], v[103:104], v[108:109]
	buffer_store_dword v104, off, s[0:3], 0 offset:332
	buffer_store_dword v103, off, s[0:3], 0 offset:328
.LBB50_898:
	s_or_b64 exec, exec, s[6:7]
	buffer_load_dword v103, off, s[0:3], 0 offset:336
	buffer_load_dword v104, off, s[0:3], 0 offset:340
	v_cmp_gt_u32_e32 vcc, 42, v0
	s_waitcnt vmcnt(0)
	ds_write_b64 v106, v[103:104]
	s_waitcnt lgkmcnt(0)
	; wave barrier
	s_and_saveexec_b64 s[6:7], vcc
	s_cbranch_execz .LBB50_908
; %bb.899:
	s_and_b64 vcc, exec, s[4:5]
	s_cbranch_vccnz .LBB50_901
; %bb.900:
	buffer_load_dword v103, v107, s[0:3], 0 offen
	buffer_load_dword v104, v107, s[0:3], 0 offen offset:4
	ds_read_b64 v[108:109], v106
	s_waitcnt vmcnt(0) lgkmcnt(0)
	v_mul_f64 v[103:104], v[103:104], v[108:109]
	s_cbranch_execz .LBB50_902
	s_branch .LBB50_903
.LBB50_901:
                                        ; implicit-def: $vgpr103_vgpr104
.LBB50_902:
	ds_read_b64 v[103:104], v106
.LBB50_903:
	v_cmp_ne_u32_e32 vcc, 41, v0
	s_and_saveexec_b64 s[8:9], vcc
	s_cbranch_execz .LBB50_907
; %bb.904:
	s_mov_b32 s10, 0
	v_add_u32_e32 v108, 0x1a8, v105
	v_add3_u32 v109, v105, s10, 8
	s_mov_b64 s[10:11], 0
	v_mov_b32_e32 v110, v0
.LBB50_905:                             ; =>This Inner Loop Header: Depth=1
	buffer_load_dword v111, v109, s[0:3], 0 offen
	buffer_load_dword v112, v109, s[0:3], 0 offen offset:4
	ds_read_b64 v[113:114], v108
	v_add_u32_e32 v110, 1, v110
	v_cmp_lt_u32_e32 vcc, 40, v110
	v_add_u32_e32 v108, 8, v108
	s_or_b64 s[10:11], vcc, s[10:11]
	v_add_u32_e32 v109, 8, v109
	s_waitcnt vmcnt(0) lgkmcnt(0)
	v_fma_f64 v[103:104], v[111:112], v[113:114], v[103:104]
	s_andn2_b64 exec, exec, s[10:11]
	s_cbranch_execnz .LBB50_905
; %bb.906:
	s_or_b64 exec, exec, s[10:11]
.LBB50_907:
	s_or_b64 exec, exec, s[8:9]
	v_mov_b32_e32 v108, 0
	ds_read_b64 v[108:109], v108 offset:336
	s_waitcnt lgkmcnt(0)
	v_mul_f64 v[103:104], v[103:104], v[108:109]
	buffer_store_dword v104, off, s[0:3], 0 offset:340
	buffer_store_dword v103, off, s[0:3], 0 offset:336
.LBB50_908:
	s_or_b64 exec, exec, s[6:7]
	buffer_load_dword v103, off, s[0:3], 0 offset:344
	buffer_load_dword v104, off, s[0:3], 0 offset:348
	v_cmp_gt_u32_e32 vcc, 43, v0
	s_waitcnt vmcnt(0)
	ds_write_b64 v106, v[103:104]
	s_waitcnt lgkmcnt(0)
	; wave barrier
	s_and_saveexec_b64 s[6:7], vcc
	s_cbranch_execz .LBB50_918
; %bb.909:
	s_and_b64 vcc, exec, s[4:5]
	s_cbranch_vccnz .LBB50_911
; %bb.910:
	buffer_load_dword v103, v107, s[0:3], 0 offen
	buffer_load_dword v104, v107, s[0:3], 0 offen offset:4
	ds_read_b64 v[108:109], v106
	s_waitcnt vmcnt(0) lgkmcnt(0)
	v_mul_f64 v[103:104], v[103:104], v[108:109]
	s_cbranch_execz .LBB50_912
	s_branch .LBB50_913
.LBB50_911:
                                        ; implicit-def: $vgpr103_vgpr104
.LBB50_912:
	ds_read_b64 v[103:104], v106
.LBB50_913:
	v_cmp_ne_u32_e32 vcc, 42, v0
	s_and_saveexec_b64 s[8:9], vcc
	s_cbranch_execz .LBB50_917
; %bb.914:
	s_mov_b32 s10, 0
	v_add_u32_e32 v108, 0x1a8, v105
	v_add3_u32 v109, v105, s10, 8
	s_mov_b64 s[10:11], 0
	v_mov_b32_e32 v110, v0
.LBB50_915:                             ; =>This Inner Loop Header: Depth=1
	buffer_load_dword v111, v109, s[0:3], 0 offen
	buffer_load_dword v112, v109, s[0:3], 0 offen offset:4
	ds_read_b64 v[113:114], v108
	v_add_u32_e32 v110, 1, v110
	v_cmp_lt_u32_e32 vcc, 41, v110
	v_add_u32_e32 v108, 8, v108
	s_or_b64 s[10:11], vcc, s[10:11]
	v_add_u32_e32 v109, 8, v109
	s_waitcnt vmcnt(0) lgkmcnt(0)
	v_fma_f64 v[103:104], v[111:112], v[113:114], v[103:104]
	s_andn2_b64 exec, exec, s[10:11]
	s_cbranch_execnz .LBB50_915
; %bb.916:
	s_or_b64 exec, exec, s[10:11]
.LBB50_917:
	s_or_b64 exec, exec, s[8:9]
	v_mov_b32_e32 v108, 0
	ds_read_b64 v[108:109], v108 offset:344
	s_waitcnt lgkmcnt(0)
	v_mul_f64 v[103:104], v[103:104], v[108:109]
	buffer_store_dword v104, off, s[0:3], 0 offset:348
	buffer_store_dword v103, off, s[0:3], 0 offset:344
.LBB50_918:
	s_or_b64 exec, exec, s[6:7]
	buffer_load_dword v103, off, s[0:3], 0 offset:352
	buffer_load_dword v104, off, s[0:3], 0 offset:356
	v_cmp_gt_u32_e32 vcc, 44, v0
	s_waitcnt vmcnt(0)
	ds_write_b64 v106, v[103:104]
	s_waitcnt lgkmcnt(0)
	; wave barrier
	s_and_saveexec_b64 s[6:7], vcc
	s_cbranch_execz .LBB50_928
; %bb.919:
	s_and_b64 vcc, exec, s[4:5]
	s_cbranch_vccnz .LBB50_921
; %bb.920:
	buffer_load_dword v103, v107, s[0:3], 0 offen
	buffer_load_dword v104, v107, s[0:3], 0 offen offset:4
	ds_read_b64 v[108:109], v106
	s_waitcnt vmcnt(0) lgkmcnt(0)
	v_mul_f64 v[103:104], v[103:104], v[108:109]
	s_cbranch_execz .LBB50_922
	s_branch .LBB50_923
.LBB50_921:
                                        ; implicit-def: $vgpr103_vgpr104
.LBB50_922:
	ds_read_b64 v[103:104], v106
.LBB50_923:
	v_cmp_ne_u32_e32 vcc, 43, v0
	s_and_saveexec_b64 s[8:9], vcc
	s_cbranch_execz .LBB50_927
; %bb.924:
	s_mov_b32 s10, 0
	v_add_u32_e32 v108, 0x1a8, v105
	v_add3_u32 v109, v105, s10, 8
	s_mov_b64 s[10:11], 0
	v_mov_b32_e32 v110, v0
.LBB50_925:                             ; =>This Inner Loop Header: Depth=1
	buffer_load_dword v111, v109, s[0:3], 0 offen
	buffer_load_dword v112, v109, s[0:3], 0 offen offset:4
	ds_read_b64 v[113:114], v108
	v_add_u32_e32 v110, 1, v110
	v_cmp_lt_u32_e32 vcc, 42, v110
	v_add_u32_e32 v108, 8, v108
	s_or_b64 s[10:11], vcc, s[10:11]
	v_add_u32_e32 v109, 8, v109
	s_waitcnt vmcnt(0) lgkmcnt(0)
	v_fma_f64 v[103:104], v[111:112], v[113:114], v[103:104]
	s_andn2_b64 exec, exec, s[10:11]
	s_cbranch_execnz .LBB50_925
; %bb.926:
	s_or_b64 exec, exec, s[10:11]
.LBB50_927:
	s_or_b64 exec, exec, s[8:9]
	v_mov_b32_e32 v108, 0
	ds_read_b64 v[108:109], v108 offset:352
	s_waitcnt lgkmcnt(0)
	v_mul_f64 v[103:104], v[103:104], v[108:109]
	buffer_store_dword v104, off, s[0:3], 0 offset:356
	buffer_store_dword v103, off, s[0:3], 0 offset:352
.LBB50_928:
	s_or_b64 exec, exec, s[6:7]
	buffer_load_dword v103, off, s[0:3], 0 offset:360
	buffer_load_dword v104, off, s[0:3], 0 offset:364
	v_cmp_gt_u32_e32 vcc, 45, v0
	s_waitcnt vmcnt(0)
	ds_write_b64 v106, v[103:104]
	s_waitcnt lgkmcnt(0)
	; wave barrier
	s_and_saveexec_b64 s[6:7], vcc
	s_cbranch_execz .LBB50_938
; %bb.929:
	s_and_b64 vcc, exec, s[4:5]
	s_cbranch_vccnz .LBB50_931
; %bb.930:
	buffer_load_dword v103, v107, s[0:3], 0 offen
	buffer_load_dword v104, v107, s[0:3], 0 offen offset:4
	ds_read_b64 v[108:109], v106
	s_waitcnt vmcnt(0) lgkmcnt(0)
	v_mul_f64 v[103:104], v[103:104], v[108:109]
	s_cbranch_execz .LBB50_932
	s_branch .LBB50_933
.LBB50_931:
                                        ; implicit-def: $vgpr103_vgpr104
.LBB50_932:
	ds_read_b64 v[103:104], v106
.LBB50_933:
	v_cmp_ne_u32_e32 vcc, 44, v0
	s_and_saveexec_b64 s[8:9], vcc
	s_cbranch_execz .LBB50_937
; %bb.934:
	s_mov_b32 s10, 0
	v_add_u32_e32 v108, 0x1a8, v105
	v_add3_u32 v109, v105, s10, 8
	s_mov_b64 s[10:11], 0
	v_mov_b32_e32 v110, v0
.LBB50_935:                             ; =>This Inner Loop Header: Depth=1
	buffer_load_dword v111, v109, s[0:3], 0 offen
	buffer_load_dword v112, v109, s[0:3], 0 offen offset:4
	ds_read_b64 v[113:114], v108
	v_add_u32_e32 v110, 1, v110
	v_cmp_lt_u32_e32 vcc, 43, v110
	v_add_u32_e32 v108, 8, v108
	s_or_b64 s[10:11], vcc, s[10:11]
	v_add_u32_e32 v109, 8, v109
	s_waitcnt vmcnt(0) lgkmcnt(0)
	v_fma_f64 v[103:104], v[111:112], v[113:114], v[103:104]
	s_andn2_b64 exec, exec, s[10:11]
	s_cbranch_execnz .LBB50_935
; %bb.936:
	s_or_b64 exec, exec, s[10:11]
.LBB50_937:
	s_or_b64 exec, exec, s[8:9]
	v_mov_b32_e32 v108, 0
	ds_read_b64 v[108:109], v108 offset:360
	s_waitcnt lgkmcnt(0)
	v_mul_f64 v[103:104], v[103:104], v[108:109]
	buffer_store_dword v104, off, s[0:3], 0 offset:364
	buffer_store_dword v103, off, s[0:3], 0 offset:360
.LBB50_938:
	s_or_b64 exec, exec, s[6:7]
	buffer_load_dword v103, off, s[0:3], 0 offset:368
	buffer_load_dword v104, off, s[0:3], 0 offset:372
	v_cmp_gt_u32_e32 vcc, 46, v0
	s_waitcnt vmcnt(0)
	ds_write_b64 v106, v[103:104]
	s_waitcnt lgkmcnt(0)
	; wave barrier
	s_and_saveexec_b64 s[6:7], vcc
	s_cbranch_execz .LBB50_948
; %bb.939:
	s_and_b64 vcc, exec, s[4:5]
	s_cbranch_vccnz .LBB50_941
; %bb.940:
	buffer_load_dword v103, v107, s[0:3], 0 offen
	buffer_load_dword v104, v107, s[0:3], 0 offen offset:4
	ds_read_b64 v[108:109], v106
	s_waitcnt vmcnt(0) lgkmcnt(0)
	v_mul_f64 v[103:104], v[103:104], v[108:109]
	s_cbranch_execz .LBB50_942
	s_branch .LBB50_943
.LBB50_941:
                                        ; implicit-def: $vgpr103_vgpr104
.LBB50_942:
	ds_read_b64 v[103:104], v106
.LBB50_943:
	v_cmp_ne_u32_e32 vcc, 45, v0
	s_and_saveexec_b64 s[8:9], vcc
	s_cbranch_execz .LBB50_947
; %bb.944:
	s_mov_b32 s10, 0
	v_add_u32_e32 v108, 0x1a8, v105
	v_add3_u32 v109, v105, s10, 8
	s_mov_b64 s[10:11], 0
	v_mov_b32_e32 v110, v0
.LBB50_945:                             ; =>This Inner Loop Header: Depth=1
	buffer_load_dword v111, v109, s[0:3], 0 offen
	buffer_load_dword v112, v109, s[0:3], 0 offen offset:4
	ds_read_b64 v[113:114], v108
	v_add_u32_e32 v110, 1, v110
	v_cmp_lt_u32_e32 vcc, 44, v110
	v_add_u32_e32 v108, 8, v108
	s_or_b64 s[10:11], vcc, s[10:11]
	v_add_u32_e32 v109, 8, v109
	s_waitcnt vmcnt(0) lgkmcnt(0)
	v_fma_f64 v[103:104], v[111:112], v[113:114], v[103:104]
	s_andn2_b64 exec, exec, s[10:11]
	s_cbranch_execnz .LBB50_945
; %bb.946:
	s_or_b64 exec, exec, s[10:11]
.LBB50_947:
	s_or_b64 exec, exec, s[8:9]
	v_mov_b32_e32 v108, 0
	ds_read_b64 v[108:109], v108 offset:368
	s_waitcnt lgkmcnt(0)
	v_mul_f64 v[103:104], v[103:104], v[108:109]
	buffer_store_dword v104, off, s[0:3], 0 offset:372
	buffer_store_dword v103, off, s[0:3], 0 offset:368
.LBB50_948:
	s_or_b64 exec, exec, s[6:7]
	buffer_load_dword v103, off, s[0:3], 0 offset:376
	buffer_load_dword v104, off, s[0:3], 0 offset:380
	v_cmp_gt_u32_e32 vcc, 47, v0
	s_waitcnt vmcnt(0)
	ds_write_b64 v106, v[103:104]
	s_waitcnt lgkmcnt(0)
	; wave barrier
	s_and_saveexec_b64 s[6:7], vcc
	s_cbranch_execz .LBB50_958
; %bb.949:
	s_and_b64 vcc, exec, s[4:5]
	s_cbranch_vccnz .LBB50_951
; %bb.950:
	buffer_load_dword v103, v107, s[0:3], 0 offen
	buffer_load_dword v104, v107, s[0:3], 0 offen offset:4
	ds_read_b64 v[108:109], v106
	s_waitcnt vmcnt(0) lgkmcnt(0)
	v_mul_f64 v[103:104], v[103:104], v[108:109]
	s_cbranch_execz .LBB50_952
	s_branch .LBB50_953
.LBB50_951:
                                        ; implicit-def: $vgpr103_vgpr104
.LBB50_952:
	ds_read_b64 v[103:104], v106
.LBB50_953:
	v_cmp_ne_u32_e32 vcc, 46, v0
	s_and_saveexec_b64 s[8:9], vcc
	s_cbranch_execz .LBB50_957
; %bb.954:
	s_mov_b32 s10, 0
	v_add_u32_e32 v108, 0x1a8, v105
	v_add3_u32 v109, v105, s10, 8
	s_mov_b64 s[10:11], 0
	v_mov_b32_e32 v110, v0
.LBB50_955:                             ; =>This Inner Loop Header: Depth=1
	buffer_load_dword v111, v109, s[0:3], 0 offen
	buffer_load_dword v112, v109, s[0:3], 0 offen offset:4
	ds_read_b64 v[113:114], v108
	v_add_u32_e32 v110, 1, v110
	v_cmp_lt_u32_e32 vcc, 45, v110
	v_add_u32_e32 v108, 8, v108
	s_or_b64 s[10:11], vcc, s[10:11]
	v_add_u32_e32 v109, 8, v109
	s_waitcnt vmcnt(0) lgkmcnt(0)
	v_fma_f64 v[103:104], v[111:112], v[113:114], v[103:104]
	s_andn2_b64 exec, exec, s[10:11]
	s_cbranch_execnz .LBB50_955
; %bb.956:
	s_or_b64 exec, exec, s[10:11]
.LBB50_957:
	s_or_b64 exec, exec, s[8:9]
	v_mov_b32_e32 v108, 0
	ds_read_b64 v[108:109], v108 offset:376
	s_waitcnt lgkmcnt(0)
	v_mul_f64 v[103:104], v[103:104], v[108:109]
	buffer_store_dword v104, off, s[0:3], 0 offset:380
	buffer_store_dword v103, off, s[0:3], 0 offset:376
.LBB50_958:
	s_or_b64 exec, exec, s[6:7]
	buffer_load_dword v103, off, s[0:3], 0 offset:384
	buffer_load_dword v104, off, s[0:3], 0 offset:388
	v_cmp_gt_u32_e32 vcc, 48, v0
	s_waitcnt vmcnt(0)
	ds_write_b64 v106, v[103:104]
	s_waitcnt lgkmcnt(0)
	; wave barrier
	s_and_saveexec_b64 s[6:7], vcc
	s_cbranch_execz .LBB50_968
; %bb.959:
	s_and_b64 vcc, exec, s[4:5]
	s_cbranch_vccnz .LBB50_961
; %bb.960:
	buffer_load_dword v103, v107, s[0:3], 0 offen
	buffer_load_dword v104, v107, s[0:3], 0 offen offset:4
	ds_read_b64 v[108:109], v106
	s_waitcnt vmcnt(0) lgkmcnt(0)
	v_mul_f64 v[103:104], v[103:104], v[108:109]
	s_cbranch_execz .LBB50_962
	s_branch .LBB50_963
.LBB50_961:
                                        ; implicit-def: $vgpr103_vgpr104
.LBB50_962:
	ds_read_b64 v[103:104], v106
.LBB50_963:
	v_cmp_ne_u32_e32 vcc, 47, v0
	s_and_saveexec_b64 s[8:9], vcc
	s_cbranch_execz .LBB50_967
; %bb.964:
	s_mov_b32 s10, 0
	v_add_u32_e32 v108, 0x1a8, v105
	v_add3_u32 v109, v105, s10, 8
	s_mov_b64 s[10:11], 0
	v_mov_b32_e32 v110, v0
.LBB50_965:                             ; =>This Inner Loop Header: Depth=1
	buffer_load_dword v111, v109, s[0:3], 0 offen
	buffer_load_dword v112, v109, s[0:3], 0 offen offset:4
	ds_read_b64 v[113:114], v108
	v_add_u32_e32 v110, 1, v110
	v_cmp_lt_u32_e32 vcc, 46, v110
	v_add_u32_e32 v108, 8, v108
	s_or_b64 s[10:11], vcc, s[10:11]
	v_add_u32_e32 v109, 8, v109
	s_waitcnt vmcnt(0) lgkmcnt(0)
	v_fma_f64 v[103:104], v[111:112], v[113:114], v[103:104]
	s_andn2_b64 exec, exec, s[10:11]
	s_cbranch_execnz .LBB50_965
; %bb.966:
	s_or_b64 exec, exec, s[10:11]
.LBB50_967:
	s_or_b64 exec, exec, s[8:9]
	v_mov_b32_e32 v108, 0
	ds_read_b64 v[108:109], v108 offset:384
	s_waitcnt lgkmcnt(0)
	v_mul_f64 v[103:104], v[103:104], v[108:109]
	buffer_store_dword v104, off, s[0:3], 0 offset:388
	buffer_store_dword v103, off, s[0:3], 0 offset:384
.LBB50_968:
	s_or_b64 exec, exec, s[6:7]
	buffer_load_dword v103, off, s[0:3], 0 offset:392
	buffer_load_dword v104, off, s[0:3], 0 offset:396
	v_cmp_gt_u32_e64 s[6:7], 49, v0
	s_waitcnt vmcnt(0)
	ds_write_b64 v106, v[103:104]
	s_waitcnt lgkmcnt(0)
	; wave barrier
	s_and_saveexec_b64 s[8:9], s[6:7]
	s_cbranch_execz .LBB50_978
; %bb.969:
	s_and_b64 vcc, exec, s[4:5]
	s_cbranch_vccnz .LBB50_971
; %bb.970:
	buffer_load_dword v103, v107, s[0:3], 0 offen
	buffer_load_dword v104, v107, s[0:3], 0 offen offset:4
	ds_read_b64 v[108:109], v106
	s_waitcnt vmcnt(0) lgkmcnt(0)
	v_mul_f64 v[103:104], v[103:104], v[108:109]
	s_cbranch_execz .LBB50_972
	s_branch .LBB50_973
.LBB50_971:
                                        ; implicit-def: $vgpr103_vgpr104
.LBB50_972:
	ds_read_b64 v[103:104], v106
.LBB50_973:
	v_cmp_ne_u32_e32 vcc, 48, v0
	s_and_saveexec_b64 s[10:11], vcc
	s_cbranch_execz .LBB50_977
; %bb.974:
	s_mov_b32 s12, 0
	v_add_u32_e32 v108, 0x1a8, v105
	v_add3_u32 v109, v105, s12, 8
	s_mov_b64 s[12:13], 0
	v_mov_b32_e32 v110, v0
.LBB50_975:                             ; =>This Inner Loop Header: Depth=1
	buffer_load_dword v111, v109, s[0:3], 0 offen
	buffer_load_dword v112, v109, s[0:3], 0 offen offset:4
	ds_read_b64 v[113:114], v108
	v_add_u32_e32 v110, 1, v110
	v_cmp_lt_u32_e32 vcc, 47, v110
	v_add_u32_e32 v108, 8, v108
	s_or_b64 s[12:13], vcc, s[12:13]
	v_add_u32_e32 v109, 8, v109
	s_waitcnt vmcnt(0) lgkmcnt(0)
	v_fma_f64 v[103:104], v[111:112], v[113:114], v[103:104]
	s_andn2_b64 exec, exec, s[12:13]
	s_cbranch_execnz .LBB50_975
; %bb.976:
	s_or_b64 exec, exec, s[12:13]
.LBB50_977:
	s_or_b64 exec, exec, s[10:11]
	v_mov_b32_e32 v108, 0
	ds_read_b64 v[108:109], v108 offset:392
	s_waitcnt lgkmcnt(0)
	v_mul_f64 v[103:104], v[103:104], v[108:109]
	buffer_store_dword v104, off, s[0:3], 0 offset:396
	buffer_store_dword v103, off, s[0:3], 0 offset:392
.LBB50_978:
	s_or_b64 exec, exec, s[8:9]
	buffer_load_dword v103, off, s[0:3], 0 offset:400
	buffer_load_dword v104, off, s[0:3], 0 offset:404
	v_cmp_ne_u32_e32 vcc, 50, v0
	s_waitcnt vmcnt(0)
	ds_write_b64 v106, v[103:104]
	s_waitcnt lgkmcnt(0)
	; wave barrier
	s_and_saveexec_b64 s[8:9], vcc
	s_cbranch_execz .LBB50_988
; %bb.979:
	s_and_b64 vcc, exec, s[4:5]
	s_cbranch_vccnz .LBB50_981
; %bb.980:
	buffer_load_dword v103, v107, s[0:3], 0 offen
	buffer_load_dword v104, v107, s[0:3], 0 offen offset:4
	ds_read_b64 v[107:108], v106
	s_waitcnt vmcnt(0) lgkmcnt(0)
	v_mul_f64 v[103:104], v[103:104], v[107:108]
	s_cbranch_execz .LBB50_982
	s_branch .LBB50_983
.LBB50_981:
                                        ; implicit-def: $vgpr103_vgpr104
.LBB50_982:
	ds_read_b64 v[103:104], v106
.LBB50_983:
	s_and_saveexec_b64 s[4:5], s[6:7]
	s_cbranch_execz .LBB50_987
; %bb.984:
	s_mov_b32 s6, 0
	v_add_u32_e32 v106, 0x1a8, v105
	v_add3_u32 v105, v105, s6, 8
	s_mov_b64 s[6:7], 0
.LBB50_985:                             ; =>This Inner Loop Header: Depth=1
	buffer_load_dword v107, v105, s[0:3], 0 offen
	buffer_load_dword v108, v105, s[0:3], 0 offen offset:4
	ds_read_b64 v[109:110], v106
	v_add_u32_e32 v0, 1, v0
	v_cmp_lt_u32_e32 vcc, 48, v0
	v_add_u32_e32 v106, 8, v106
	s_or_b64 s[6:7], vcc, s[6:7]
	v_add_u32_e32 v105, 8, v105
	s_waitcnt vmcnt(0) lgkmcnt(0)
	v_fma_f64 v[103:104], v[107:108], v[109:110], v[103:104]
	s_andn2_b64 exec, exec, s[6:7]
	s_cbranch_execnz .LBB50_985
; %bb.986:
	s_or_b64 exec, exec, s[6:7]
.LBB50_987:
	s_or_b64 exec, exec, s[4:5]
	v_mov_b32_e32 v0, 0
	ds_read_b64 v[105:106], v0 offset:400
	s_waitcnt lgkmcnt(0)
	v_mul_f64 v[103:104], v[103:104], v[105:106]
	buffer_store_dword v104, off, s[0:3], 0 offset:404
	buffer_store_dword v103, off, s[0:3], 0 offset:400
.LBB50_988:
	s_or_b64 exec, exec, s[8:9]
.LBB50_989:
	buffer_load_dword v103, off, s[0:3], 0
	buffer_load_dword v104, off, s[0:3], 0 offset:4
	buffer_load_dword v105, off, s[0:3], 0 offset:8
	;; [unrolled: 1-line block ×15, first 2 shown]
	s_waitcnt vmcnt(14)
	global_store_dwordx2 v[101:102], v[103:104], off
	buffer_load_dword v102, off, s[0:3], 0 offset:68
	s_nop 0
	buffer_load_dword v103, off, s[0:3], 0 offset:72
	buffer_load_dword v104, off, s[0:3], 0 offset:76
	;; [unrolled: 1-line block ×7, first 2 shown]
	s_waitcnt vmcnt(21)
	global_store_dwordx2 v[99:100], v[105:106], off
	s_waitcnt vmcnt(20)
	global_store_dwordx2 v[5:6], v[107:108], off
	buffer_load_dword v5, off, s[0:3], 0 offset:96
	s_nop 0
	buffer_load_dword v6, off, s[0:3], 0 offset:100
	buffer_load_dword v99, off, s[0:3], 0 offset:104
	;; [unrolled: 1-line block ×7, first 2 shown]
	s_waitcnt vmcnt(27)
	global_store_dwordx2 v[1:2], v[109:110], off
	s_waitcnt vmcnt(26)
	global_store_dwordx2 v[9:10], v[111:112], off
	buffer_load_dword v0, off, s[0:3], 0 offset:128
	buffer_load_dword v1, off, s[0:3], 0 offset:132
	s_nop 0
	buffer_load_dword v9, off, s[0:3], 0 offset:136
	buffer_load_dword v10, off, s[0:3], 0 offset:140
	buffer_load_dword v109, off, s[0:3], 0 offset:144
	buffer_load_dword v110, off, s[0:3], 0 offset:148
	buffer_load_dword v111, off, s[0:3], 0 offset:152
	buffer_load_dword v112, off, s[0:3], 0 offset:156
	s_waitcnt vmcnt(33)
	global_store_dwordx2 v[3:4], v[113:114], off
	s_waitcnt vmcnt(32)
	global_store_dwordx2 v[13:14], v[115:116], off
	buffer_load_dword v2, off, s[0:3], 0 offset:160
	buffer_load_dword v3, off, s[0:3], 0 offset:164
	s_nop 0
	buffer_load_dword v13, off, s[0:3], 0 offset:168
	buffer_load_dword v14, off, s[0:3], 0 offset:172
	buffer_load_dword v113, off, s[0:3], 0 offset:176
	buffer_load_dword v114, off, s[0:3], 0 offset:180
	buffer_load_dword v115, off, s[0:3], 0 offset:184
	buffer_load_dword v116, off, s[0:3], 0 offset:188
	;; [unrolled: 13-line block ×3, first 2 shown]
	s_nop 0
	global_store_dwordx2 v[11:12], v[103:104], off
	global_store_dwordx2 v[17:18], v[119:120], off
	;; [unrolled: 1-line block ×3, first 2 shown]
	s_waitcnt vmcnt(39)
	global_store_dwordx2 v[23:24], v[5:6], off
	s_waitcnt vmcnt(38)
	global_store_dwordx2 v[27:28], v[99:100], off
	s_waitcnt vmcnt(37)
	global_store_dwordx2 v[31:32], v[105:106], off
	s_waitcnt vmcnt(36)
	global_store_dwordx2 v[35:36], v[107:108], off
	s_waitcnt vmcnt(33)
	global_store_dwordx2 v[39:40], v[0:1], off
	s_waitcnt vmcnt(32)
	global_store_dwordx2 v[43:44], v[9:10], off
	s_waitcnt vmcnt(31)
	global_store_dwordx2 v[47:48], v[109:110], off
	s_waitcnt vmcnt(30)
	global_store_dwordx2 v[51:52], v[111:112], off
	buffer_load_dword v0, off, s[0:3], 0 offset:224
	buffer_load_dword v1, off, s[0:3], 0 offset:228
	;; [unrolled: 1-line block ×46, first 2 shown]
	s_waitcnt vmcnt(62)
	global_store_dwordx2 v[21:22], v[2:3], off
	global_store_dwordx2 v[25:26], v[13:14], off
	;; [unrolled: 1-line block ×5, first 2 shown]
	s_waitcnt vmcnt(62)
	global_store_dwordx2 v[41:42], v[15:16], off
	global_store_dwordx2 v[45:46], v[101:102], off
	;; [unrolled: 1-line block ×3, first 2 shown]
	s_waitcnt vmcnt(52)
	global_store_dwordx2 v[53:54], v[0:1], off
	s_waitcnt vmcnt(51)
	global_store_dwordx2 v[55:56], v[4:5], off
	;; [unrolled: 2-line block ×23, first 2 shown]
.LBB50_990:
	s_endpgm
	.section	.rodata,"a",@progbits
	.p2align	6, 0x0
	.amdhsa_kernel _ZN9rocsolver6v33100L18trti2_kernel_smallILi51EdPdEEv13rocblas_fill_17rocblas_diagonal_T1_iil
		.amdhsa_group_segment_fixed_size 824
		.amdhsa_private_segment_fixed_size 416
		.amdhsa_kernarg_size 32
		.amdhsa_user_sgpr_count 6
		.amdhsa_user_sgpr_private_segment_buffer 1
		.amdhsa_user_sgpr_dispatch_ptr 0
		.amdhsa_user_sgpr_queue_ptr 0
		.amdhsa_user_sgpr_kernarg_segment_ptr 1
		.amdhsa_user_sgpr_dispatch_id 0
		.amdhsa_user_sgpr_flat_scratch_init 0
		.amdhsa_user_sgpr_private_segment_size 0
		.amdhsa_uses_dynamic_stack 0
		.amdhsa_system_sgpr_private_segment_wavefront_offset 1
		.amdhsa_system_sgpr_workgroup_id_x 1
		.amdhsa_system_sgpr_workgroup_id_y 0
		.amdhsa_system_sgpr_workgroup_id_z 0
		.amdhsa_system_sgpr_workgroup_info 0
		.amdhsa_system_vgpr_workitem_id 0
		.amdhsa_next_free_vgpr 125
		.amdhsa_next_free_sgpr 64
		.amdhsa_reserve_vcc 1
		.amdhsa_reserve_flat_scratch 0
		.amdhsa_float_round_mode_32 0
		.amdhsa_float_round_mode_16_64 0
		.amdhsa_float_denorm_mode_32 3
		.amdhsa_float_denorm_mode_16_64 3
		.amdhsa_dx10_clamp 1
		.amdhsa_ieee_mode 1
		.amdhsa_fp16_overflow 0
		.amdhsa_exception_fp_ieee_invalid_op 0
		.amdhsa_exception_fp_denorm_src 0
		.amdhsa_exception_fp_ieee_div_zero 0
		.amdhsa_exception_fp_ieee_overflow 0
		.amdhsa_exception_fp_ieee_underflow 0
		.amdhsa_exception_fp_ieee_inexact 0
		.amdhsa_exception_int_div_zero 0
	.end_amdhsa_kernel
	.section	.text._ZN9rocsolver6v33100L18trti2_kernel_smallILi51EdPdEEv13rocblas_fill_17rocblas_diagonal_T1_iil,"axG",@progbits,_ZN9rocsolver6v33100L18trti2_kernel_smallILi51EdPdEEv13rocblas_fill_17rocblas_diagonal_T1_iil,comdat
.Lfunc_end50:
	.size	_ZN9rocsolver6v33100L18trti2_kernel_smallILi51EdPdEEv13rocblas_fill_17rocblas_diagonal_T1_iil, .Lfunc_end50-_ZN9rocsolver6v33100L18trti2_kernel_smallILi51EdPdEEv13rocblas_fill_17rocblas_diagonal_T1_iil
                                        ; -- End function
	.set _ZN9rocsolver6v33100L18trti2_kernel_smallILi51EdPdEEv13rocblas_fill_17rocblas_diagonal_T1_iil.num_vgpr, 125
	.set _ZN9rocsolver6v33100L18trti2_kernel_smallILi51EdPdEEv13rocblas_fill_17rocblas_diagonal_T1_iil.num_agpr, 0
	.set _ZN9rocsolver6v33100L18trti2_kernel_smallILi51EdPdEEv13rocblas_fill_17rocblas_diagonal_T1_iil.numbered_sgpr, 64
	.set _ZN9rocsolver6v33100L18trti2_kernel_smallILi51EdPdEEv13rocblas_fill_17rocblas_diagonal_T1_iil.num_named_barrier, 0
	.set _ZN9rocsolver6v33100L18trti2_kernel_smallILi51EdPdEEv13rocblas_fill_17rocblas_diagonal_T1_iil.private_seg_size, 416
	.set _ZN9rocsolver6v33100L18trti2_kernel_smallILi51EdPdEEv13rocblas_fill_17rocblas_diagonal_T1_iil.uses_vcc, 1
	.set _ZN9rocsolver6v33100L18trti2_kernel_smallILi51EdPdEEv13rocblas_fill_17rocblas_diagonal_T1_iil.uses_flat_scratch, 0
	.set _ZN9rocsolver6v33100L18trti2_kernel_smallILi51EdPdEEv13rocblas_fill_17rocblas_diagonal_T1_iil.has_dyn_sized_stack, 0
	.set _ZN9rocsolver6v33100L18trti2_kernel_smallILi51EdPdEEv13rocblas_fill_17rocblas_diagonal_T1_iil.has_recursion, 0
	.set _ZN9rocsolver6v33100L18trti2_kernel_smallILi51EdPdEEv13rocblas_fill_17rocblas_diagonal_T1_iil.has_indirect_call, 0
	.section	.AMDGPU.csdata,"",@progbits
; Kernel info:
; codeLenInByte = 30052
; TotalNumSgprs: 68
; NumVgprs: 125
; ScratchSize: 416
; MemoryBound: 0
; FloatMode: 240
; IeeeMode: 1
; LDSByteSize: 824 bytes/workgroup (compile time only)
; SGPRBlocks: 8
; VGPRBlocks: 31
; NumSGPRsForWavesPerEU: 68
; NumVGPRsForWavesPerEU: 125
; Occupancy: 2
; WaveLimiterHint : 0
; COMPUTE_PGM_RSRC2:SCRATCH_EN: 1
; COMPUTE_PGM_RSRC2:USER_SGPR: 6
; COMPUTE_PGM_RSRC2:TRAP_HANDLER: 0
; COMPUTE_PGM_RSRC2:TGID_X_EN: 1
; COMPUTE_PGM_RSRC2:TGID_Y_EN: 0
; COMPUTE_PGM_RSRC2:TGID_Z_EN: 0
; COMPUTE_PGM_RSRC2:TIDIG_COMP_CNT: 0
	.section	.text._ZN9rocsolver6v33100L18trti2_kernel_smallILi52EdPdEEv13rocblas_fill_17rocblas_diagonal_T1_iil,"axG",@progbits,_ZN9rocsolver6v33100L18trti2_kernel_smallILi52EdPdEEv13rocblas_fill_17rocblas_diagonal_T1_iil,comdat
	.globl	_ZN9rocsolver6v33100L18trti2_kernel_smallILi52EdPdEEv13rocblas_fill_17rocblas_diagonal_T1_iil ; -- Begin function _ZN9rocsolver6v33100L18trti2_kernel_smallILi52EdPdEEv13rocblas_fill_17rocblas_diagonal_T1_iil
	.p2align	8
	.type	_ZN9rocsolver6v33100L18trti2_kernel_smallILi52EdPdEEv13rocblas_fill_17rocblas_diagonal_T1_iil,@function
_ZN9rocsolver6v33100L18trti2_kernel_smallILi52EdPdEEv13rocblas_fill_17rocblas_diagonal_T1_iil: ; @_ZN9rocsolver6v33100L18trti2_kernel_smallILi52EdPdEEv13rocblas_fill_17rocblas_diagonal_T1_iil
; %bb.0:
	s_add_u32 s0, s0, s7
	s_addc_u32 s1, s1, 0
	v_cmp_gt_u32_e32 vcc, 52, v0
	s_and_saveexec_b64 s[8:9], vcc
	s_cbranch_execz .LBB51_1010
; %bb.1:
	s_load_dwordx8 s[8:15], s[4:5], 0x0
	s_ashr_i32 s7, s6, 31
	v_lshlrev_b32_e32 v107, 3, v0
	s_waitcnt lgkmcnt(0)
	s_ashr_i32 s5, s12, 31
	s_mov_b32 s4, s12
	s_mul_hi_u32 s12, s14, s6
	s_mul_i32 s7, s14, s7
	s_add_i32 s7, s12, s7
	s_mul_i32 s12, s15, s6
	s_add_i32 s7, s7, s12
	s_mul_i32 s6, s14, s6
	s_lshl_b64 s[6:7], s[6:7], 3
	s_add_u32 s6, s10, s6
	s_addc_u32 s7, s11, s7
	s_lshl_b64 s[4:5], s[4:5], 3
	s_add_u32 s4, s6, s4
	s_addc_u32 s5, s7, s5
	s_add_i32 s6, s13, s13
	v_add_u32_e32 v1, s6, v0
	v_ashrrev_i32_e32 v2, 31, v1
	v_lshlrev_b64 v[2:3], 3, v[1:2]
	v_mov_b32_e32 v4, s5
	v_add_co_u32_e32 v5, vcc, s4, v2
	v_addc_co_u32_e32 v6, vcc, v4, v3, vcc
	v_add_u32_e32 v3, s13, v1
	v_ashrrev_i32_e32 v4, 31, v3
	v_lshlrev_b64 v[1:2], 3, v[3:4]
	v_mov_b32_e32 v4, s5
	v_add_co_u32_e32 v1, vcc, s4, v1
	v_add_u32_e32 v3, s13, v3
	v_addc_co_u32_e32 v2, vcc, v4, v2, vcc
	v_ashrrev_i32_e32 v4, 31, v3
	v_lshlrev_b64 v[7:8], 3, v[3:4]
	v_mov_b32_e32 v4, s5
	v_add_co_u32_e32 v9, vcc, s4, v7
	v_add_u32_e32 v7, s13, v3
	v_addc_co_u32_e32 v10, vcc, v4, v8, vcc
	;; [unrolled: 6-line block ×3, first 2 shown]
	v_ashrrev_i32_e32 v8, 31, v7
	v_lshlrev_b64 v[11:12], 3, v[7:8]
	v_add_u32_e32 v13, s13, v7
	v_mov_b32_e32 v8, s5
	v_add_co_u32_e32 v11, vcc, s4, v11
	v_ashrrev_i32_e32 v14, 31, v13
	v_addc_co_u32_e32 v12, vcc, v8, v12, vcc
	v_lshlrev_b64 v[7:8], 3, v[13:14]
	v_mov_b32_e32 v14, s5
	v_add_co_u32_e32 v7, vcc, s4, v7
	v_add_u32_e32 v13, s13, v13
	v_addc_co_u32_e32 v8, vcc, v14, v8, vcc
	v_ashrrev_i32_e32 v14, 31, v13
	v_lshlrev_b64 v[15:16], 3, v[13:14]
	v_add_u32_e32 v17, s13, v13
	v_mov_b32_e32 v14, s5
	v_add_co_u32_e32 v15, vcc, s4, v15
	v_ashrrev_i32_e32 v18, 31, v17
	v_addc_co_u32_e32 v16, vcc, v14, v16, vcc
	v_lshlrev_b64 v[13:14], 3, v[17:18]
	v_add_u32_e32 v19, s13, v17
	v_mov_b32_e32 v18, s5
	v_add_co_u32_e32 v13, vcc, s4, v13
	v_ashrrev_i32_e32 v20, 31, v19
	v_addc_co_u32_e32 v14, vcc, v18, v14, vcc
	v_lshlrev_b64 v[17:18], 3, v[19:20]
	v_mov_b32_e32 v21, s5
	v_add_co_u32_e32 v17, vcc, s4, v17
	v_addc_co_u32_e32 v18, vcc, v21, v18, vcc
	v_add_u32_e32 v21, s13, v19
	v_ashrrev_i32_e32 v22, 31, v21
	v_lshlrev_b64 v[19:20], 3, v[21:22]
	v_mov_b32_e32 v23, s5
	v_add_co_u32_e32 v19, vcc, s4, v19
	v_addc_co_u32_e32 v20, vcc, v23, v20, vcc
	v_add_u32_e32 v23, s13, v21
	v_ashrrev_i32_e32 v24, 31, v23
	v_lshlrev_b64 v[21:22], 3, v[23:24]
	v_add_u32_e32 v23, s13, v23
	v_mov_b32_e32 v25, s5
	v_add_co_u32_e32 v21, vcc, s4, v21
	v_ashrrev_i32_e32 v24, 31, v23
	v_addc_co_u32_e32 v22, vcc, v25, v22, vcc
	v_lshlrev_b64 v[25:26], 3, v[23:24]
	v_add_u32_e32 v23, s13, v23
	v_mov_b32_e32 v27, s5
	v_add_co_u32_e32 v25, vcc, s4, v25
	v_ashrrev_i32_e32 v24, 31, v23
	v_addc_co_u32_e32 v26, vcc, v27, v26, vcc
	;; [unrolled: 6-line block ×4, first 2 shown]
	v_lshlrev_b64 v[27:28], 3, v[23:24]
	v_add_u32_e32 v23, s13, v23
	v_add_co_u32_e32 v37, vcc, s4, v27
	v_ashrrev_i32_e32 v24, 31, v23
	v_addc_co_u32_e32 v38, vcc, v31, v28, vcc
	v_lshlrev_b64 v[27:28], 3, v[23:24]
	v_add_u32_e32 v23, s13, v23
	v_add_co_u32_e32 v41, vcc, s4, v27
	v_ashrrev_i32_e32 v24, 31, v23
	v_addc_co_u32_e32 v42, vcc, v31, v28, vcc
	;; [unrolled: 5-line block ×4, first 2 shown]
	v_lshlrev_b64 v[27:28], 3, v[23:24]
	v_mov_b32_e32 v35, s5
	v_add_co_u32_e32 v53, vcc, s4, v27
	v_add_u32_e32 v27, s13, v23
	v_addc_co_u32_e32 v54, vcc, v31, v28, vcc
	v_ashrrev_i32_e32 v28, 31, v27
	v_lshlrev_b64 v[23:24], 3, v[27:28]
	v_mov_b32_e32 v39, s5
	v_add_co_u32_e32 v23, vcc, s4, v23
	v_addc_co_u32_e32 v24, vcc, v31, v24, vcc
	v_add_u32_e32 v31, s13, v27
	v_ashrrev_i32_e32 v32, 31, v31
	v_lshlrev_b64 v[27:28], 3, v[31:32]
	v_mov_b32_e32 v43, s5
	v_add_co_u32_e32 v27, vcc, s4, v27
	v_addc_co_u32_e32 v28, vcc, v35, v28, vcc
	v_add_u32_e32 v35, s13, v31
	;; [unrolled: 6-line block ×20, first 2 shown]
	v_ashrrev_i32_e32 v82, 31, v81
	v_lshlrev_b64 v[79:80], 3, v[81:82]
	global_load_dwordx2 v[105:106], v107, s[4:5]
	global_load_dwordx2 v[110:111], v[5:6], off
	v_add_co_u32_e32 v79, vcc, s4, v79
	v_addc_co_u32_e32 v80, vcc, v83, v80, vcc
	v_add_u32_e32 v83, s13, v81
	v_ashrrev_i32_e32 v84, 31, v83
	v_lshlrev_b64 v[81:82], 3, v[83:84]
	s_ashr_i32 s7, s13, 31
	v_add_co_u32_e32 v81, vcc, s4, v81
	v_addc_co_u32_e32 v82, vcc, v85, v82, vcc
	v_add_u32_e32 v85, s13, v83
	v_ashrrev_i32_e32 v86, 31, v85
	v_lshlrev_b64 v[83:84], 3, v[85:86]
	v_mov_b32_e32 v86, s5
	v_add_co_u32_e32 v103, vcc, s4, v107
	s_mov_b32 s6, s13
	v_addc_co_u32_e32 v104, vcc, 0, v86, vcc
	s_lshl_b64 s[6:7], s[6:7], 3
	v_mov_b32_e32 v86, s7
	v_add_co_u32_e32 v101, vcc, s6, v103
	v_addc_co_u32_e32 v102, vcc, v104, v86, vcc
	global_load_dwordx2 v[108:109], v[101:102], off
	v_mov_b32_e32 v87, s5
	v_add_co_u32_e32 v83, vcc, s4, v83
	v_addc_co_u32_e32 v84, vcc, v87, v84, vcc
	v_add_u32_e32 v87, s13, v85
	v_ashrrev_i32_e32 v88, 31, v87
	v_lshlrev_b64 v[85:86], 3, v[87:88]
	v_mov_b32_e32 v89, s5
	v_add_co_u32_e32 v85, vcc, s4, v85
	v_addc_co_u32_e32 v86, vcc, v89, v86, vcc
	v_add_u32_e32 v89, s13, v87
	v_ashrrev_i32_e32 v90, 31, v89
	v_lshlrev_b64 v[87:88], 3, v[89:90]
	;; [unrolled: 6-line block ×6, first 2 shown]
	v_mov_b32_e32 v99, s5
	v_add_co_u32_e32 v95, vcc, s4, v95
	v_addc_co_u32_e32 v96, vcc, v99, v96, vcc
	v_add_u32_e32 v99, s13, v97
	v_ashrrev_i32_e32 v100, 31, v99
	global_load_dwordx2 v[112:113], v[1:2], off
	global_load_dwordx2 v[114:115], v[9:10], off
	v_lshlrev_b64 v[97:98], 3, v[99:100]
	v_add_u32_e32 v99, s13, v99
	v_ashrrev_i32_e32 v100, 31, v99
	v_mov_b32_e32 v116, s5
	v_add_co_u32_e32 v97, vcc, s4, v97
	v_lshlrev_b64 v[99:100], 3, v[99:100]
	v_addc_co_u32_e32 v98, vcc, v116, v98, vcc
	global_load_dwordx2 v[116:117], v[3:4], off
	global_load_dwordx2 v[118:119], v[11:12], off
	v_mov_b32_e32 v120, s5
	v_add_co_u32_e32 v99, vcc, s4, v99
	v_addc_co_u32_e32 v100, vcc, v120, v100, vcc
	global_load_dwordx2 v[120:121], v[7:8], off
	global_load_dwordx2 v[122:123], v[99:100], off
	s_waitcnt vmcnt(8)
	buffer_store_dword v106, off, s[0:3], 0 offset:4
	buffer_store_dword v105, off, s[0:3], 0
	global_load_dwordx2 v[105:106], v[15:16], off
	s_waitcnt vmcnt(9)
	buffer_store_dword v109, off, s[0:3], 0 offset:12
	buffer_store_dword v108, off, s[0:3], 0 offset:8
	global_load_dwordx2 v[108:109], v[13:14], off
	s_nop 0
	buffer_store_dword v111, off, s[0:3], 0 offset:20
	buffer_store_dword v110, off, s[0:3], 0 offset:16
	global_load_dwordx2 v[110:111], v[17:18], off
	s_waitcnt vmcnt(14)
	buffer_store_dword v113, off, s[0:3], 0 offset:28
	buffer_store_dword v112, off, s[0:3], 0 offset:24
	s_waitcnt vmcnt(15)
	buffer_store_dword v115, off, s[0:3], 0 offset:36
	global_load_dwordx2 v[112:113], v[19:20], off
	s_cmpk_lg_i32 s9, 0x84
	buffer_store_dword v114, off, s[0:3], 0 offset:32
	global_load_dwordx2 v[114:115], v[21:22], off
	s_waitcnt vmcnt(18)
	buffer_store_dword v117, off, s[0:3], 0 offset:44
	buffer_store_dword v116, off, s[0:3], 0 offset:40
	global_load_dwordx2 v[116:117], v[25:26], off
	s_waitcnt vmcnt(20)
	buffer_store_dword v119, off, s[0:3], 0 offset:52
	buffer_store_dword v118, off, s[0:3], 0 offset:48
	global_load_dwordx2 v[118:119], v[29:30], off
	s_waitcnt vmcnt(22)
	buffer_store_dword v121, off, s[0:3], 0 offset:60
	buffer_store_dword v120, off, s[0:3], 0 offset:56
	global_load_dwordx2 v[120:121], v[33:34], off
	s_waitcnt vmcnt(21)
	buffer_store_dword v106, off, s[0:3], 0 offset:68
	buffer_store_dword v105, off, s[0:3], 0 offset:64
	global_load_dwordx2 v[105:106], v[37:38], off
	s_waitcnt vmcnt(21)
	buffer_store_dword v108, off, s[0:3], 0 offset:72
	buffer_store_dword v109, off, s[0:3], 0 offset:76
	global_load_dwordx2 v[108:109], v[41:42], off
	s_waitcnt vmcnt(21)
	buffer_store_dword v110, off, s[0:3], 0 offset:80
	buffer_store_dword v111, off, s[0:3], 0 offset:84
	global_load_dwordx2 v[110:111], v[45:46], off
	s_waitcnt vmcnt(20)
	buffer_store_dword v112, off, s[0:3], 0 offset:88
	buffer_store_dword v113, off, s[0:3], 0 offset:92
	s_waitcnt vmcnt(20)
	buffer_store_dword v114, off, s[0:3], 0 offset:96
	global_load_dwordx2 v[112:113], v[49:50], off
	s_cselect_b64 s[10:11], -1, 0
	buffer_store_dword v115, off, s[0:3], 0 offset:100
	global_load_dwordx2 v[114:115], v[53:54], off
	s_waitcnt vmcnt(21)
	buffer_store_dword v116, off, s[0:3], 0 offset:104
	buffer_store_dword v117, off, s[0:3], 0 offset:108
	global_load_dwordx2 v[116:117], v[23:24], off
	s_waitcnt vmcnt(21)
	buffer_store_dword v119, off, s[0:3], 0 offset:116
	;; [unrolled: 4-line block ×7, first 2 shown]
	buffer_store_dword v112, off, s[0:3], 0 offset:152
	s_waitcnt vmcnt(20)
	buffer_store_dword v115, off, s[0:3], 0 offset:164
	buffer_store_dword v114, off, s[0:3], 0 offset:160
	global_load_dwordx2 v[112:113], v[47:48], off
	s_nop 0
	global_load_dwordx2 v[114:115], v[51:52], off
	s_cmpk_eq_i32 s9, 0x84
	s_waitcnt vmcnt(21)
	buffer_store_dword v116, off, s[0:3], 0 offset:168
	buffer_store_dword v117, off, s[0:3], 0 offset:172
	global_load_dwordx2 v[116:117], v[55:56], off
	s_waitcnt vmcnt(21)
	buffer_store_dword v118, off, s[0:3], 0 offset:176
	buffer_store_dword v119, off, s[0:3], 0 offset:180
	global_load_dwordx2 v[118:119], v[57:58], off
	;; [unrolled: 4-line block ×6, first 2 shown]
	s_waitcnt vmcnt(19)
	buffer_store_dword v112, off, s[0:3], 0 offset:216
	buffer_store_dword v113, off, s[0:3], 0 offset:220
	s_waitcnt vmcnt(20)
	buffer_store_dword v114, off, s[0:3], 0 offset:224
	buffer_store_dword v115, off, s[0:3], 0 offset:228
	;; [unrolled: 3-line block ×3, first 2 shown]
	global_load_dwordx2 v[112:113], v[67:68], off
	global_load_dwordx2 v[114:115], v[69:70], off
	s_nop 0
	global_load_dwordx2 v[116:117], v[71:72], off
	s_waitcnt vmcnt(21)
	buffer_store_dword v118, off, s[0:3], 0 offset:240
	buffer_store_dword v119, off, s[0:3], 0 offset:244
	global_load_dwordx2 v[118:119], v[73:74], off
	s_waitcnt vmcnt(21)
	buffer_store_dword v121, off, s[0:3], 0 offset:252
	buffer_store_dword v120, off, s[0:3], 0 offset:248
	;; [unrolled: 4-line block ×6, first 2 shown]
	s_waitcnt vmcnt(18)
	buffer_store_dword v114, off, s[0:3], 0 offset:288
	buffer_store_dword v115, off, s[0:3], 0 offset:292
	s_waitcnt vmcnt(19)
	buffer_store_dword v117, off, s[0:3], 0 offset:300
	buffer_store_dword v116, off, s[0:3], 0 offset:296
	s_waitcnt vmcnt(18)
	buffer_store_dword v119, off, s[0:3], 0 offset:308
	buffer_store_dword v118, off, s[0:3], 0 offset:304
	s_waitcnt vmcnt(17)
	buffer_store_dword v120, off, s[0:3], 0 offset:312
	global_load_dwordx2 v[112:113], v[83:84], off
	global_load_dwordx2 v[114:115], v[85:86], off
	;; [unrolled: 1-line block ×4, first 2 shown]
	s_nop 0
	buffer_store_dword v121, off, s[0:3], 0 offset:316
	global_load_dwordx2 v[120:121], v[95:96], off
	s_waitcnt vmcnt(21)
	buffer_store_dword v105, off, s[0:3], 0 offset:320
	buffer_store_dword v106, off, s[0:3], 0 offset:324
	global_load_dwordx2 v[105:106], v[89:90], off
	s_waitcnt vmcnt(21)
	buffer_store_dword v108, off, s[0:3], 0 offset:328
	;; [unrolled: 4-line block ×4, first 2 shown]
	buffer_store_dword v112, off, s[0:3], 0 offset:344
	s_waitcnt vmcnt(15)
	buffer_store_dword v115, off, s[0:3], 0 offset:356
	buffer_store_dword v114, off, s[0:3], 0 offset:352
	s_waitcnt vmcnt(16)
	buffer_store_dword v116, off, s[0:3], 0 offset:360
	buffer_store_dword v117, off, s[0:3], 0 offset:364
	s_waitcnt vmcnt(12)
	buffer_store_dword v105, off, s[0:3], 0 offset:368
	buffer_store_dword v106, off, s[0:3], 0 offset:372
	buffer_store_dword v118, off, s[0:3], 0 offset:376
	;; [unrolled: 1-line block ×3, first 2 shown]
	s_waitcnt vmcnt(13)
	buffer_store_dword v108, off, s[0:3], 0 offset:384
	buffer_store_dword v109, off, s[0:3], 0 offset:388
	;; [unrolled: 1-line block ×4, first 2 shown]
	s_waitcnt vmcnt(14)
	buffer_store_dword v111, off, s[0:3], 0 offset:404
	buffer_store_dword v110, off, s[0:3], 0 offset:400
	;; [unrolled: 1-line block ×3, first 2 shown]
	v_mov_b32_e32 v105, 0
	v_mov_b32_e32 v106, 0xbff00000
	buffer_store_dword v123, off, s[0:3], 0 offset:412
	s_cbranch_scc1 .LBB51_3
; %bb.2:
	v_mov_b32_e32 v105, 0
	v_lshl_add_u32 v116, v0, 3, v105
	buffer_load_dword v105, v116, s[0:3], 0 offen
	buffer_load_dword v106, v116, s[0:3], 0 offen offset:4
	s_waitcnt vmcnt(0)
	v_div_scale_f64 v[108:109], s[4:5], v[105:106], v[105:106], 1.0
	v_rcp_f64_e32 v[110:111], v[108:109]
	v_fma_f64 v[112:113], -v[108:109], v[110:111], 1.0
	v_fma_f64 v[110:111], v[110:111], v[112:113], v[110:111]
	v_div_scale_f64 v[112:113], vcc, 1.0, v[105:106], 1.0
	v_fma_f64 v[114:115], -v[108:109], v[110:111], 1.0
	v_fma_f64 v[110:111], v[110:111], v[114:115], v[110:111]
	v_mul_f64 v[114:115], v[112:113], v[110:111]
	v_fma_f64 v[108:109], -v[108:109], v[114:115], v[112:113]
	v_div_fmas_f64 v[108:109], v[108:109], v[110:111], v[114:115]
	v_div_fixup_f64 v[105:106], v[108:109], v[105:106], 1.0
	buffer_store_dword v105, v116, s[0:3], 0 offen
	buffer_store_dword v106, v116, s[0:3], 0 offen offset:4
	v_xor_b32_e32 v106, 0x80000000, v106
.LBB51_3:
	s_cmpk_eq_i32 s8, 0x79
	v_add_u32_e32 v108, 0x1a0, v107
	v_mov_b32_e32 v109, v107
	s_mov_b64 s[4:5], -1
	ds_write_b64 v107, v[105:106]
	s_cbranch_scc1 .LBB51_507
; %bb.4:
	buffer_load_dword v105, off, s[0:3], 0 offset:400
	buffer_load_dword v106, off, s[0:3], 0 offset:404
	s_movk_i32 s12, 0x48
	s_movk_i32 s13, 0x50
	;; [unrolled: 1-line block ×41, first 2 shown]
	v_cmp_eq_u32_e64 s[4:5], 51, v0
	s_waitcnt vmcnt(0)
	ds_write_b64 v108, v[105:106]
	s_waitcnt lgkmcnt(0)
	; wave barrier
	s_and_saveexec_b64 s[6:7], s[4:5]
	s_cbranch_execz .LBB51_10
; %bb.5:
	s_and_b64 vcc, exec, s[10:11]
	s_cbranch_vccz .LBB51_7
; %bb.6:
	buffer_load_dword v105, v109, s[0:3], 0 offen
	buffer_load_dword v106, v109, s[0:3], 0 offen offset:4
	ds_read_b64 v[110:111], v108
	s_waitcnt vmcnt(0) lgkmcnt(0)
	v_mul_f64 v[105:106], v[105:106], v[110:111]
	s_cbranch_execz .LBB51_8
	s_branch .LBB51_9
.LBB51_7:
                                        ; implicit-def: $vgpr105_vgpr106
.LBB51_8:
	ds_read_b64 v[105:106], v108
.LBB51_9:
	v_mov_b32_e32 v110, 0
	ds_read_b64 v[110:111], v110 offset:400
	s_waitcnt lgkmcnt(0)
	v_mul_f64 v[105:106], v[105:106], v[110:111]
	buffer_store_dword v106, off, s[0:3], 0 offset:404
	buffer_store_dword v105, off, s[0:3], 0 offset:400
.LBB51_10:
	s_or_b64 exec, exec, s[6:7]
	buffer_load_dword v105, off, s[0:3], 0 offset:392
	buffer_load_dword v106, off, s[0:3], 0 offset:396
	s_or_b32 s14, 0, 8
	s_mov_b32 s15, 16
	s_mov_b32 s16, 24
	;; [unrolled: 1-line block ×9, first 2 shown]
	v_cmp_lt_u32_e64 s[6:7], 49, v0
	s_waitcnt vmcnt(0)
	ds_write_b64 v108, v[105:106]
	s_waitcnt lgkmcnt(0)
	; wave barrier
	s_and_saveexec_b64 s[8:9], s[6:7]
	s_cbranch_execz .LBB51_16
; %bb.11:
	s_andn2_b64 vcc, exec, s[10:11]
	s_cbranch_vccnz .LBB51_13
; %bb.12:
	buffer_load_dword v105, v109, s[0:3], 0 offen
	buffer_load_dword v106, v109, s[0:3], 0 offen offset:4
	ds_read_b64 v[110:111], v108
	s_waitcnt vmcnt(0) lgkmcnt(0)
	v_mul_f64 v[105:106], v[105:106], v[110:111]
	s_cbranch_execz .LBB51_14
	s_branch .LBB51_15
.LBB51_13:
                                        ; implicit-def: $vgpr105_vgpr106
.LBB51_14:
	ds_read_b64 v[105:106], v108
.LBB51_15:
	buffer_load_dword v114, off, s[0:3], 0 offset:400
	buffer_load_dword v115, off, s[0:3], 0 offset:404
	v_mov_b32_e32 v110, 0
	ds_read2_b64 v[110:113], v110 offset0:49 offset1:102
	s_waitcnt vmcnt(0) lgkmcnt(0)
	v_fma_f64 v[112:113], v[114:115], v[112:113], v[105:106]
	v_cndmask_b32_e64 v106, v106, v113, s[4:5]
	v_cndmask_b32_e64 v105, v105, v112, s[4:5]
	v_mul_f64 v[105:106], v[105:106], v[110:111]
	buffer_store_dword v106, off, s[0:3], 0 offset:396
	buffer_store_dword v105, off, s[0:3], 0 offset:392
.LBB51_16:
	s_or_b64 exec, exec, s[8:9]
	buffer_load_dword v105, off, s[0:3], 0 offset:384
	buffer_load_dword v106, off, s[0:3], 0 offset:388
	v_cmp_lt_u32_e64 s[4:5], 48, v0
	s_waitcnt vmcnt(0)
	ds_write_b64 v108, v[105:106]
	s_waitcnt lgkmcnt(0)
	; wave barrier
	s_and_saveexec_b64 s[8:9], s[4:5]
	s_cbranch_execz .LBB51_26
; %bb.17:
	s_andn2_b64 vcc, exec, s[10:11]
	s_cbranch_vccnz .LBB51_19
; %bb.18:
	buffer_load_dword v105, v109, s[0:3], 0 offen
	buffer_load_dword v106, v109, s[0:3], 0 offen offset:4
	ds_read_b64 v[110:111], v108
	s_waitcnt vmcnt(0) lgkmcnt(0)
	v_mul_f64 v[105:106], v[105:106], v[110:111]
	s_cbranch_execz .LBB51_20
	s_branch .LBB51_21
.LBB51_19:
                                        ; implicit-def: $vgpr105_vgpr106
.LBB51_20:
	ds_read_b64 v[105:106], v108
.LBB51_21:
	s_and_saveexec_b64 s[12:13], s[6:7]
	s_cbranch_execz .LBB51_25
; %bb.22:
	v_subrev_u32_e32 v110, 49, v0
	s_movk_i32 s64, 0x328
	s_mov_b64 s[6:7], 0
.LBB51_23:                              ; =>This Inner Loop Header: Depth=1
	v_mov_b32_e32 v112, s63
	buffer_load_dword v111, v112, s[0:3], 0 offen
	s_nop 0
	buffer_load_dword v112, v112, s[0:3], 0 offen offset:4
	v_mov_b32_e32 v113, s64
	ds_read_b64 v[113:114], v113
	v_add_u32_e32 v110, -1, v110
	s_add_i32 s64, s64, 8
	s_add_i32 s63, s63, 8
	v_cmp_eq_u32_e32 vcc, 0, v110
	s_or_b64 s[6:7], vcc, s[6:7]
	s_waitcnt vmcnt(0) lgkmcnt(0)
	v_fma_f64 v[105:106], v[111:112], v[113:114], v[105:106]
	s_andn2_b64 exec, exec, s[6:7]
	s_cbranch_execnz .LBB51_23
; %bb.24:
	s_or_b64 exec, exec, s[6:7]
.LBB51_25:
	s_or_b64 exec, exec, s[12:13]
	v_mov_b32_e32 v110, 0
	ds_read_b64 v[110:111], v110 offset:384
	s_waitcnt lgkmcnt(0)
	v_mul_f64 v[105:106], v[105:106], v[110:111]
	buffer_store_dword v106, off, s[0:3], 0 offset:388
	buffer_store_dword v105, off, s[0:3], 0 offset:384
.LBB51_26:
	s_or_b64 exec, exec, s[8:9]
	buffer_load_dword v105, off, s[0:3], 0 offset:376
	buffer_load_dword v106, off, s[0:3], 0 offset:380
	v_cmp_lt_u32_e64 s[6:7], 47, v0
	s_waitcnt vmcnt(0)
	ds_write_b64 v108, v[105:106]
	s_waitcnt lgkmcnt(0)
	; wave barrier
	s_and_saveexec_b64 s[8:9], s[6:7]
	s_cbranch_execz .LBB51_36
; %bb.27:
	s_andn2_b64 vcc, exec, s[10:11]
	s_cbranch_vccnz .LBB51_29
; %bb.28:
	buffer_load_dword v105, v109, s[0:3], 0 offen
	buffer_load_dword v106, v109, s[0:3], 0 offen offset:4
	ds_read_b64 v[110:111], v108
	s_waitcnt vmcnt(0) lgkmcnt(0)
	v_mul_f64 v[105:106], v[105:106], v[110:111]
	s_cbranch_execz .LBB51_30
	s_branch .LBB51_31
.LBB51_29:
                                        ; implicit-def: $vgpr105_vgpr106
.LBB51_30:
	ds_read_b64 v[105:106], v108
.LBB51_31:
	s_and_saveexec_b64 s[12:13], s[4:5]
	s_cbranch_execz .LBB51_35
; %bb.32:
	v_subrev_u32_e32 v110, 48, v0
	s_movk_i32 s63, 0x320
	s_mov_b64 s[4:5], 0
.LBB51_33:                              ; =>This Inner Loop Header: Depth=1
	v_mov_b32_e32 v112, s62
	buffer_load_dword v111, v112, s[0:3], 0 offen
	s_nop 0
	buffer_load_dword v112, v112, s[0:3], 0 offen offset:4
	v_mov_b32_e32 v113, s63
	ds_read_b64 v[113:114], v113
	v_add_u32_e32 v110, -1, v110
	s_add_i32 s63, s63, 8
	s_add_i32 s62, s62, 8
	v_cmp_eq_u32_e32 vcc, 0, v110
	s_or_b64 s[4:5], vcc, s[4:5]
	s_waitcnt vmcnt(0) lgkmcnt(0)
	v_fma_f64 v[105:106], v[111:112], v[113:114], v[105:106]
	s_andn2_b64 exec, exec, s[4:5]
	s_cbranch_execnz .LBB51_33
; %bb.34:
	s_or_b64 exec, exec, s[4:5]
.LBB51_35:
	s_or_b64 exec, exec, s[12:13]
	v_mov_b32_e32 v110, 0
	ds_read_b64 v[110:111], v110 offset:376
	s_waitcnt lgkmcnt(0)
	v_mul_f64 v[105:106], v[105:106], v[110:111]
	buffer_store_dword v106, off, s[0:3], 0 offset:380
	buffer_store_dword v105, off, s[0:3], 0 offset:376
.LBB51_36:
	;; [unrolled: 59-line block ×8, first 2 shown]
	s_or_b64 exec, exec, s[8:9]
	buffer_load_dword v105, off, s[0:3], 0 offset:320
	buffer_load_dword v106, off, s[0:3], 0 offset:324
	v_cmp_lt_u32_e64 s[4:5], 40, v0
	s_waitcnt vmcnt(0)
	ds_write_b64 v108, v[105:106]
	s_waitcnt lgkmcnt(0)
	; wave barrier
	s_and_saveexec_b64 s[8:9], s[4:5]
	s_cbranch_execz .LBB51_106
; %bb.97:
	s_andn2_b64 vcc, exec, s[10:11]
	s_cbranch_vccnz .LBB51_99
; %bb.98:
	buffer_load_dword v105, v109, s[0:3], 0 offen
	buffer_load_dword v106, v109, s[0:3], 0 offen offset:4
	ds_read_b64 v[110:111], v108
	s_waitcnt vmcnt(0) lgkmcnt(0)
	v_mul_f64 v[105:106], v[105:106], v[110:111]
	s_cbranch_execz .LBB51_100
	s_branch .LBB51_101
.LBB51_99:
                                        ; implicit-def: $vgpr105_vgpr106
.LBB51_100:
	ds_read_b64 v[105:106], v108
.LBB51_101:
	s_and_saveexec_b64 s[12:13], s[6:7]
	s_cbranch_execz .LBB51_105
; %bb.102:
	v_subrev_u32_e32 v110, 41, v0
	s_movk_i32 s56, 0x2e8
	s_mov_b64 s[6:7], 0
.LBB51_103:                             ; =>This Inner Loop Header: Depth=1
	v_mov_b32_e32 v112, s55
	buffer_load_dword v111, v112, s[0:3], 0 offen
	s_nop 0
	buffer_load_dword v112, v112, s[0:3], 0 offen offset:4
	v_mov_b32_e32 v113, s56
	ds_read_b64 v[113:114], v113
	v_add_u32_e32 v110, -1, v110
	s_add_i32 s56, s56, 8
	s_add_i32 s55, s55, 8
	v_cmp_eq_u32_e32 vcc, 0, v110
	s_or_b64 s[6:7], vcc, s[6:7]
	s_waitcnt vmcnt(0) lgkmcnt(0)
	v_fma_f64 v[105:106], v[111:112], v[113:114], v[105:106]
	s_andn2_b64 exec, exec, s[6:7]
	s_cbranch_execnz .LBB51_103
; %bb.104:
	s_or_b64 exec, exec, s[6:7]
.LBB51_105:
	s_or_b64 exec, exec, s[12:13]
	v_mov_b32_e32 v110, 0
	ds_read_b64 v[110:111], v110 offset:320
	s_waitcnt lgkmcnt(0)
	v_mul_f64 v[105:106], v[105:106], v[110:111]
	buffer_store_dword v106, off, s[0:3], 0 offset:324
	buffer_store_dword v105, off, s[0:3], 0 offset:320
.LBB51_106:
	s_or_b64 exec, exec, s[8:9]
	buffer_load_dword v105, off, s[0:3], 0 offset:312
	buffer_load_dword v106, off, s[0:3], 0 offset:316
	v_cmp_lt_u32_e64 s[6:7], 39, v0
	s_waitcnt vmcnt(0)
	ds_write_b64 v108, v[105:106]
	s_waitcnt lgkmcnt(0)
	; wave barrier
	s_and_saveexec_b64 s[8:9], s[6:7]
	s_cbranch_execz .LBB51_116
; %bb.107:
	s_andn2_b64 vcc, exec, s[10:11]
	s_cbranch_vccnz .LBB51_109
; %bb.108:
	buffer_load_dword v105, v109, s[0:3], 0 offen
	buffer_load_dword v106, v109, s[0:3], 0 offen offset:4
	ds_read_b64 v[110:111], v108
	s_waitcnt vmcnt(0) lgkmcnt(0)
	v_mul_f64 v[105:106], v[105:106], v[110:111]
	s_cbranch_execz .LBB51_110
	s_branch .LBB51_111
.LBB51_109:
                                        ; implicit-def: $vgpr105_vgpr106
.LBB51_110:
	ds_read_b64 v[105:106], v108
.LBB51_111:
	s_and_saveexec_b64 s[12:13], s[4:5]
	s_cbranch_execz .LBB51_115
; %bb.112:
	v_subrev_u32_e32 v110, 40, v0
	s_movk_i32 s55, 0x2e0
	s_mov_b64 s[4:5], 0
.LBB51_113:                             ; =>This Inner Loop Header: Depth=1
	v_mov_b32_e32 v112, s54
	buffer_load_dword v111, v112, s[0:3], 0 offen
	s_nop 0
	buffer_load_dword v112, v112, s[0:3], 0 offen offset:4
	v_mov_b32_e32 v113, s55
	ds_read_b64 v[113:114], v113
	v_add_u32_e32 v110, -1, v110
	s_add_i32 s55, s55, 8
	s_add_i32 s54, s54, 8
	v_cmp_eq_u32_e32 vcc, 0, v110
	s_or_b64 s[4:5], vcc, s[4:5]
	s_waitcnt vmcnt(0) lgkmcnt(0)
	v_fma_f64 v[105:106], v[111:112], v[113:114], v[105:106]
	s_andn2_b64 exec, exec, s[4:5]
	s_cbranch_execnz .LBB51_113
; %bb.114:
	s_or_b64 exec, exec, s[4:5]
.LBB51_115:
	s_or_b64 exec, exec, s[12:13]
	v_mov_b32_e32 v110, 0
	ds_read_b64 v[110:111], v110 offset:312
	s_waitcnt lgkmcnt(0)
	v_mul_f64 v[105:106], v[105:106], v[110:111]
	buffer_store_dword v106, off, s[0:3], 0 offset:316
	buffer_store_dword v105, off, s[0:3], 0 offset:312
.LBB51_116:
	;; [unrolled: 59-line block ×5, first 2 shown]
	s_or_b64 exec, exec, s[4:5]
	buffer_load_dword v105, off, s[0:3], 0 offset:280
	buffer_load_dword v106, off, s[0:3], 0 offset:284
	v_cmp_lt_u32_e64 s[4:5], 35, v0
	s_waitcnt vmcnt(0)
	ds_write_b64 v108, v[105:106]
	s_waitcnt lgkmcnt(0)
	; wave barrier
	s_and_saveexec_b64 s[6:7], s[4:5]
	s_cbranch_execz .LBB51_156
; %bb.147:
	s_andn2_b64 vcc, exec, s[10:11]
	s_cbranch_vccnz .LBB51_149
; %bb.148:
	buffer_load_dword v105, v109, s[0:3], 0 offen
	buffer_load_dword v106, v109, s[0:3], 0 offen offset:4
	ds_read_b64 v[110:111], v108
	s_waitcnt vmcnt(0) lgkmcnt(0)
	v_mul_f64 v[105:106], v[105:106], v[110:111]
	s_cbranch_execz .LBB51_150
	s_branch .LBB51_151
.LBB51_149:
                                        ; implicit-def: $vgpr105_vgpr106
.LBB51_150:
	ds_read_b64 v[105:106], v108
.LBB51_151:
	s_and_saveexec_b64 s[12:13], s[8:9]
	s_cbranch_execz .LBB51_155
; %bb.152:
	v_subrev_u32_e32 v110, 36, v0
	s_movk_i32 s51, 0x2c0
	s_mov_b64 s[8:9], 0
.LBB51_153:                             ; =>This Inner Loop Header: Depth=1
	v_mov_b32_e32 v113, s50
	buffer_load_dword v111, v113, s[0:3], 0 offen
	buffer_load_dword v112, v113, s[0:3], 0 offen offset:4
	v_mov_b32_e32 v113, s51
	ds_read_b64 v[113:114], v113
	v_add_u32_e32 v110, -1, v110
	s_add_i32 s51, s51, 8
	s_add_i32 s50, s50, 8
	v_cmp_eq_u32_e32 vcc, 0, v110
	s_or_b64 s[8:9], vcc, s[8:9]
	s_waitcnt vmcnt(0) lgkmcnt(0)
	v_fma_f64 v[105:106], v[111:112], v[113:114], v[105:106]
	s_andn2_b64 exec, exec, s[8:9]
	s_cbranch_execnz .LBB51_153
; %bb.154:
	s_or_b64 exec, exec, s[8:9]
.LBB51_155:
	s_or_b64 exec, exec, s[12:13]
	v_mov_b32_e32 v110, 0
	ds_read_b64 v[110:111], v110 offset:280
	s_waitcnt lgkmcnt(0)
	v_mul_f64 v[105:106], v[105:106], v[110:111]
	buffer_store_dword v106, off, s[0:3], 0 offset:284
	buffer_store_dword v105, off, s[0:3], 0 offset:280
.LBB51_156:
	s_or_b64 exec, exec, s[6:7]
	buffer_load_dword v105, off, s[0:3], 0 offset:272
	buffer_load_dword v106, off, s[0:3], 0 offset:276
	v_cmp_lt_u32_e64 s[6:7], 34, v0
	s_waitcnt vmcnt(0)
	ds_write_b64 v108, v[105:106]
	s_waitcnt lgkmcnt(0)
	; wave barrier
	s_and_saveexec_b64 s[8:9], s[6:7]
	s_cbranch_execz .LBB51_166
; %bb.157:
	s_andn2_b64 vcc, exec, s[10:11]
	s_cbranch_vccnz .LBB51_159
; %bb.158:
	buffer_load_dword v105, v109, s[0:3], 0 offen
	buffer_load_dword v106, v109, s[0:3], 0 offen offset:4
	ds_read_b64 v[110:111], v108
	s_waitcnt vmcnt(0) lgkmcnt(0)
	v_mul_f64 v[105:106], v[105:106], v[110:111]
	s_cbranch_execz .LBB51_160
	s_branch .LBB51_161
.LBB51_159:
                                        ; implicit-def: $vgpr105_vgpr106
.LBB51_160:
	ds_read_b64 v[105:106], v108
.LBB51_161:
	s_and_saveexec_b64 s[12:13], s[4:5]
	s_cbranch_execz .LBB51_165
; %bb.162:
	v_subrev_u32_e32 v110, 35, v0
	s_movk_i32 s50, 0x2b8
	s_mov_b64 s[4:5], 0
.LBB51_163:                             ; =>This Inner Loop Header: Depth=1
	v_mov_b32_e32 v113, s49
	buffer_load_dword v111, v113, s[0:3], 0 offen
	buffer_load_dword v112, v113, s[0:3], 0 offen offset:4
	v_mov_b32_e32 v113, s50
	ds_read_b64 v[113:114], v113
	v_add_u32_e32 v110, -1, v110
	s_add_i32 s50, s50, 8
	s_add_i32 s49, s49, 8
	v_cmp_eq_u32_e32 vcc, 0, v110
	s_or_b64 s[4:5], vcc, s[4:5]
	s_waitcnt vmcnt(0) lgkmcnt(0)
	v_fma_f64 v[105:106], v[111:112], v[113:114], v[105:106]
	s_andn2_b64 exec, exec, s[4:5]
	s_cbranch_execnz .LBB51_163
; %bb.164:
	s_or_b64 exec, exec, s[4:5]
.LBB51_165:
	s_or_b64 exec, exec, s[12:13]
	v_mov_b32_e32 v110, 0
	ds_read_b64 v[110:111], v110 offset:272
	s_waitcnt lgkmcnt(0)
	v_mul_f64 v[105:106], v[105:106], v[110:111]
	buffer_store_dword v106, off, s[0:3], 0 offset:276
	buffer_store_dword v105, off, s[0:3], 0 offset:272
.LBB51_166:
	;; [unrolled: 58-line block ×20, first 2 shown]
	s_or_b64 exec, exec, s[8:9]
	buffer_load_dword v105, off, s[0:3], 0 offset:120
	buffer_load_dword v106, off, s[0:3], 0 offset:124
	v_cmp_lt_u32_e64 s[4:5], 15, v0
	s_waitcnt vmcnt(0)
	ds_write_b64 v108, v[105:106]
	s_waitcnt lgkmcnt(0)
	; wave barrier
	s_and_saveexec_b64 s[8:9], s[4:5]
	s_cbranch_execz .LBB51_356
; %bb.347:
	s_andn2_b64 vcc, exec, s[10:11]
	s_cbranch_vccnz .LBB51_349
; %bb.348:
	buffer_load_dword v105, v109, s[0:3], 0 offen
	buffer_load_dword v106, v109, s[0:3], 0 offen offset:4
	ds_read_b64 v[110:111], v108
	s_waitcnt vmcnt(0) lgkmcnt(0)
	v_mul_f64 v[105:106], v[105:106], v[110:111]
	s_cbranch_execz .LBB51_350
	s_branch .LBB51_351
.LBB51_349:
                                        ; implicit-def: $vgpr105_vgpr106
.LBB51_350:
	ds_read_b64 v[105:106], v108
.LBB51_351:
	s_and_saveexec_b64 s[12:13], s[6:7]
	s_cbranch_execz .LBB51_355
; %bb.352:
	v_add_u32_e32 v110, -16, v0
	s_movk_i32 s30, 0x220
	s_mov_b64 s[6:7], 0
.LBB51_353:                             ; =>This Inner Loop Header: Depth=1
	v_mov_b32_e32 v113, s29
	buffer_load_dword v111, v113, s[0:3], 0 offen
	buffer_load_dword v112, v113, s[0:3], 0 offen offset:4
	v_mov_b32_e32 v113, s30
	ds_read_b64 v[113:114], v113
	v_add_u32_e32 v110, -1, v110
	s_add_i32 s30, s30, 8
	s_add_i32 s29, s29, 8
	v_cmp_eq_u32_e32 vcc, 0, v110
	s_or_b64 s[6:7], vcc, s[6:7]
	s_waitcnt vmcnt(0) lgkmcnt(0)
	v_fma_f64 v[105:106], v[111:112], v[113:114], v[105:106]
	s_andn2_b64 exec, exec, s[6:7]
	s_cbranch_execnz .LBB51_353
; %bb.354:
	s_or_b64 exec, exec, s[6:7]
.LBB51_355:
	s_or_b64 exec, exec, s[12:13]
	v_mov_b32_e32 v110, 0
	ds_read_b64 v[110:111], v110 offset:120
	s_waitcnt lgkmcnt(0)
	v_mul_f64 v[105:106], v[105:106], v[110:111]
	buffer_store_dword v106, off, s[0:3], 0 offset:124
	buffer_store_dword v105, off, s[0:3], 0 offset:120
.LBB51_356:
	s_or_b64 exec, exec, s[8:9]
	buffer_load_dword v105, off, s[0:3], 0 offset:112
	buffer_load_dword v106, off, s[0:3], 0 offset:116
	v_cmp_lt_u32_e64 s[6:7], 14, v0
	s_waitcnt vmcnt(0)
	ds_write_b64 v108, v[105:106]
	s_waitcnt lgkmcnt(0)
	; wave barrier
	s_and_saveexec_b64 s[8:9], s[6:7]
	s_cbranch_execz .LBB51_366
; %bb.357:
	s_andn2_b64 vcc, exec, s[10:11]
	s_cbranch_vccnz .LBB51_359
; %bb.358:
	buffer_load_dword v105, v109, s[0:3], 0 offen
	buffer_load_dword v106, v109, s[0:3], 0 offen offset:4
	ds_read_b64 v[110:111], v108
	s_waitcnt vmcnt(0) lgkmcnt(0)
	v_mul_f64 v[105:106], v[105:106], v[110:111]
	s_cbranch_execz .LBB51_360
	s_branch .LBB51_361
.LBB51_359:
                                        ; implicit-def: $vgpr105_vgpr106
.LBB51_360:
	ds_read_b64 v[105:106], v108
.LBB51_361:
	s_and_saveexec_b64 s[12:13], s[4:5]
	s_cbranch_execz .LBB51_365
; %bb.362:
	v_add_u32_e32 v110, -15, v0
	s_movk_i32 s29, 0x218
	s_mov_b64 s[4:5], 0
.LBB51_363:                             ; =>This Inner Loop Header: Depth=1
	v_mov_b32_e32 v113, s28
	buffer_load_dword v111, v113, s[0:3], 0 offen
	buffer_load_dword v112, v113, s[0:3], 0 offen offset:4
	v_mov_b32_e32 v113, s29
	ds_read_b64 v[113:114], v113
	v_add_u32_e32 v110, -1, v110
	s_add_i32 s29, s29, 8
	s_add_i32 s28, s28, 8
	v_cmp_eq_u32_e32 vcc, 0, v110
	s_or_b64 s[4:5], vcc, s[4:5]
	s_waitcnt vmcnt(0) lgkmcnt(0)
	v_fma_f64 v[105:106], v[111:112], v[113:114], v[105:106]
	s_andn2_b64 exec, exec, s[4:5]
	s_cbranch_execnz .LBB51_363
; %bb.364:
	s_or_b64 exec, exec, s[4:5]
.LBB51_365:
	s_or_b64 exec, exec, s[12:13]
	v_mov_b32_e32 v110, 0
	ds_read_b64 v[110:111], v110 offset:112
	s_waitcnt lgkmcnt(0)
	v_mul_f64 v[105:106], v[105:106], v[110:111]
	buffer_store_dword v106, off, s[0:3], 0 offset:116
	buffer_store_dword v105, off, s[0:3], 0 offset:112
.LBB51_366:
	;; [unrolled: 58-line block ×15, first 2 shown]
	s_or_b64 exec, exec, s[8:9]
	buffer_load_dword v105, off, s[0:3], 0
	buffer_load_dword v106, off, s[0:3], 0 offset:4
	v_cmp_ne_u32_e32 vcc, 0, v0
	s_waitcnt vmcnt(0)
	ds_write_b64 v108, v[105:106]
	s_waitcnt lgkmcnt(0)
	; wave barrier
	s_and_saveexec_b64 s[6:7], vcc
	s_cbranch_execz .LBB51_506
; %bb.497:
	s_andn2_b64 vcc, exec, s[10:11]
	s_cbranch_vccnz .LBB51_499
; %bb.498:
	buffer_load_dword v105, v109, s[0:3], 0 offen
	buffer_load_dword v106, v109, s[0:3], 0 offen offset:4
	ds_read_b64 v[110:111], v108
	s_waitcnt vmcnt(0) lgkmcnt(0)
	v_mul_f64 v[105:106], v[105:106], v[110:111]
	s_cbranch_execz .LBB51_500
	s_branch .LBB51_501
.LBB51_499:
                                        ; implicit-def: $vgpr105_vgpr106
.LBB51_500:
	ds_read_b64 v[105:106], v108
.LBB51_501:
	s_and_saveexec_b64 s[8:9], s[4:5]
	s_cbranch_execz .LBB51_505
; %bb.502:
	v_add_u32_e32 v110, -1, v0
	s_movk_i32 s12, 0x1a8
	s_mov_b64 s[4:5], 0
.LBB51_503:                             ; =>This Inner Loop Header: Depth=1
	v_mov_b32_e32 v113, s14
	buffer_load_dword v111, v113, s[0:3], 0 offen
	buffer_load_dword v112, v113, s[0:3], 0 offen offset:4
	v_mov_b32_e32 v113, s12
	ds_read_b64 v[113:114], v113
	v_add_u32_e32 v110, -1, v110
	s_add_i32 s12, s12, 8
	s_add_i32 s14, s14, 8
	v_cmp_eq_u32_e32 vcc, 0, v110
	s_or_b64 s[4:5], vcc, s[4:5]
	s_waitcnt vmcnt(0) lgkmcnt(0)
	v_fma_f64 v[105:106], v[111:112], v[113:114], v[105:106]
	s_andn2_b64 exec, exec, s[4:5]
	s_cbranch_execnz .LBB51_503
; %bb.504:
	s_or_b64 exec, exec, s[4:5]
.LBB51_505:
	s_or_b64 exec, exec, s[8:9]
	v_mov_b32_e32 v110, 0
	ds_read_b64 v[110:111], v110
	s_waitcnt lgkmcnt(0)
	v_mul_f64 v[105:106], v[105:106], v[110:111]
	buffer_store_dword v106, off, s[0:3], 0 offset:4
	buffer_store_dword v105, off, s[0:3], 0
.LBB51_506:
	s_or_b64 exec, exec, s[6:7]
	s_mov_b64 s[4:5], 0
.LBB51_507:
	s_and_b64 vcc, exec, s[4:5]
	s_cbranch_vccz .LBB51_1009
; %bb.508:
	buffer_load_dword v105, off, s[0:3], 0 offset:8
	buffer_load_dword v106, off, s[0:3], 0 offset:12
	v_cmp_eq_u32_e64 s[6:7], 0, v0
	s_waitcnt vmcnt(0)
	ds_write_b64 v108, v[105:106]
	s_waitcnt lgkmcnt(0)
	; wave barrier
	s_and_saveexec_b64 s[4:5], s[6:7]
	s_cbranch_execz .LBB51_514
; %bb.509:
	s_and_b64 vcc, exec, s[10:11]
	s_cbranch_vccz .LBB51_511
; %bb.510:
	buffer_load_dword v105, v109, s[0:3], 0 offen
	buffer_load_dword v106, v109, s[0:3], 0 offen offset:4
	ds_read_b64 v[110:111], v108
	s_waitcnt vmcnt(0) lgkmcnt(0)
	v_mul_f64 v[105:106], v[105:106], v[110:111]
	s_cbranch_execz .LBB51_512
	s_branch .LBB51_513
.LBB51_511:
                                        ; implicit-def: $vgpr105_vgpr106
.LBB51_512:
	ds_read_b64 v[105:106], v108
.LBB51_513:
	v_mov_b32_e32 v110, 0
	ds_read_b64 v[110:111], v110 offset:8
	s_waitcnt lgkmcnt(0)
	v_mul_f64 v[105:106], v[105:106], v[110:111]
	buffer_store_dword v106, off, s[0:3], 0 offset:12
	buffer_store_dword v105, off, s[0:3], 0 offset:8
.LBB51_514:
	s_or_b64 exec, exec, s[4:5]
	buffer_load_dword v105, off, s[0:3], 0 offset:16
	buffer_load_dword v106, off, s[0:3], 0 offset:20
	v_cndmask_b32_e64 v110, 0, 1, s[10:11]
	v_cmp_gt_u32_e32 vcc, 2, v0
	v_cmp_ne_u32_e64 s[4:5], 1, v110
	s_waitcnt vmcnt(0)
	ds_write_b64 v108, v[105:106]
	s_waitcnt lgkmcnt(0)
	; wave barrier
	s_and_saveexec_b64 s[8:9], vcc
	s_cbranch_execz .LBB51_520
; %bb.515:
	s_and_b64 vcc, exec, s[4:5]
	s_cbranch_vccnz .LBB51_517
; %bb.516:
	buffer_load_dword v105, v109, s[0:3], 0 offen
	buffer_load_dword v106, v109, s[0:3], 0 offen offset:4
	ds_read_b64 v[110:111], v108
	s_waitcnt vmcnt(0) lgkmcnt(0)
	v_mul_f64 v[105:106], v[105:106], v[110:111]
	s_cbranch_execz .LBB51_518
	s_branch .LBB51_519
.LBB51_517:
                                        ; implicit-def: $vgpr105_vgpr106
.LBB51_518:
	ds_read_b64 v[105:106], v108
.LBB51_519:
	buffer_load_dword v114, off, s[0:3], 0 offset:8
	buffer_load_dword v115, off, s[0:3], 0 offset:12
	v_mov_b32_e32 v110, 0
	ds_read2_b64 v[110:113], v110 offset0:2 offset1:53
	s_waitcnt vmcnt(0) lgkmcnt(0)
	v_fma_f64 v[112:113], v[114:115], v[112:113], v[105:106]
	v_cndmask_b32_e64 v106, v106, v113, s[6:7]
	v_cndmask_b32_e64 v105, v105, v112, s[6:7]
	v_mul_f64 v[105:106], v[105:106], v[110:111]
	buffer_store_dword v106, off, s[0:3], 0 offset:20
	buffer_store_dword v105, off, s[0:3], 0 offset:16
.LBB51_520:
	s_or_b64 exec, exec, s[8:9]
	buffer_load_dword v105, off, s[0:3], 0 offset:24
	buffer_load_dword v106, off, s[0:3], 0 offset:28
	v_cmp_gt_u32_e32 vcc, 3, v0
	s_waitcnt vmcnt(0)
	ds_write_b64 v108, v[105:106]
	s_waitcnt lgkmcnt(0)
	; wave barrier
	s_and_saveexec_b64 s[8:9], vcc
	s_cbranch_execz .LBB51_528
; %bb.521:
	s_and_b64 vcc, exec, s[4:5]
	s_cbranch_vccnz .LBB51_523
; %bb.522:
	buffer_load_dword v105, v109, s[0:3], 0 offen
	buffer_load_dword v106, v109, s[0:3], 0 offen offset:4
	ds_read_b64 v[110:111], v108
	s_waitcnt vmcnt(0) lgkmcnt(0)
	v_mul_f64 v[105:106], v[105:106], v[110:111]
	s_cbranch_execz .LBB51_524
	s_branch .LBB51_525
.LBB51_523:
                                        ; implicit-def: $vgpr105_vgpr106
.LBB51_524:
	ds_read_b64 v[105:106], v108
.LBB51_525:
	v_cmp_ne_u32_e32 vcc, 2, v0
	s_and_saveexec_b64 s[10:11], vcc
	s_cbranch_execz .LBB51_527
; %bb.526:
	buffer_load_dword v110, v109, s[0:3], 0 offen offset:8
	buffer_load_dword v111, v109, s[0:3], 0 offen offset:12
	buffer_load_dword v112, off, s[0:3], 0 offset:16
	buffer_load_dword v113, off, s[0:3], 0 offset:20
	ds_read_b64 v[114:115], v108 offset:8
	v_mov_b32_e32 v116, 0
	ds_read_b64 v[116:117], v116 offset:432
	s_waitcnt vmcnt(2) lgkmcnt(1)
	v_fma_f64 v[105:106], v[110:111], v[114:115], v[105:106]
	s_waitcnt vmcnt(0) lgkmcnt(0)
	v_fma_f64 v[110:111], v[112:113], v[116:117], v[105:106]
	v_cndmask_b32_e64 v106, v106, v111, s[6:7]
	v_cndmask_b32_e64 v105, v105, v110, s[6:7]
.LBB51_527:
	s_or_b64 exec, exec, s[10:11]
	v_mov_b32_e32 v110, 0
	ds_read_b64 v[110:111], v110 offset:24
	s_waitcnt lgkmcnt(0)
	v_mul_f64 v[105:106], v[105:106], v[110:111]
	buffer_store_dword v106, off, s[0:3], 0 offset:28
	buffer_store_dword v105, off, s[0:3], 0 offset:24
.LBB51_528:
	s_or_b64 exec, exec, s[8:9]
	buffer_load_dword v105, off, s[0:3], 0 offset:32
	buffer_load_dword v106, off, s[0:3], 0 offset:36
	v_cmp_gt_u32_e32 vcc, 4, v0
	s_waitcnt vmcnt(0)
	ds_write_b64 v108, v[105:106]
	s_waitcnt lgkmcnt(0)
	; wave barrier
	s_and_saveexec_b64 s[6:7], vcc
	s_cbranch_execz .LBB51_538
; %bb.529:
	s_and_b64 vcc, exec, s[4:5]
	s_cbranch_vccnz .LBB51_531
; %bb.530:
	buffer_load_dword v105, v109, s[0:3], 0 offen
	buffer_load_dword v106, v109, s[0:3], 0 offen offset:4
	ds_read_b64 v[110:111], v108
	s_waitcnt vmcnt(0) lgkmcnt(0)
	v_mul_f64 v[105:106], v[105:106], v[110:111]
	s_cbranch_execz .LBB51_532
	s_branch .LBB51_533
.LBB51_531:
                                        ; implicit-def: $vgpr105_vgpr106
.LBB51_532:
	ds_read_b64 v[105:106], v108
.LBB51_533:
	v_cmp_ne_u32_e32 vcc, 3, v0
	s_and_saveexec_b64 s[8:9], vcc
	s_cbranch_execz .LBB51_537
; %bb.534:
	s_mov_b32 s10, 0
	v_add_u32_e32 v110, 0x1a8, v107
	v_add3_u32 v111, v107, s10, 8
	s_mov_b64 s[10:11], 0
	v_mov_b32_e32 v112, v0
.LBB51_535:                             ; =>This Inner Loop Header: Depth=1
	buffer_load_dword v113, v111, s[0:3], 0 offen
	buffer_load_dword v114, v111, s[0:3], 0 offen offset:4
	ds_read_b64 v[115:116], v110
	v_add_u32_e32 v112, 1, v112
	v_cmp_lt_u32_e32 vcc, 2, v112
	v_add_u32_e32 v110, 8, v110
	s_or_b64 s[10:11], vcc, s[10:11]
	v_add_u32_e32 v111, 8, v111
	s_waitcnt vmcnt(0) lgkmcnt(0)
	v_fma_f64 v[105:106], v[113:114], v[115:116], v[105:106]
	s_andn2_b64 exec, exec, s[10:11]
	s_cbranch_execnz .LBB51_535
; %bb.536:
	s_or_b64 exec, exec, s[10:11]
.LBB51_537:
	s_or_b64 exec, exec, s[8:9]
	v_mov_b32_e32 v110, 0
	ds_read_b64 v[110:111], v110 offset:32
	s_waitcnt lgkmcnt(0)
	v_mul_f64 v[105:106], v[105:106], v[110:111]
	buffer_store_dword v106, off, s[0:3], 0 offset:36
	buffer_store_dword v105, off, s[0:3], 0 offset:32
.LBB51_538:
	s_or_b64 exec, exec, s[6:7]
	buffer_load_dword v105, off, s[0:3], 0 offset:40
	buffer_load_dword v106, off, s[0:3], 0 offset:44
	v_cmp_gt_u32_e32 vcc, 5, v0
	s_waitcnt vmcnt(0)
	ds_write_b64 v108, v[105:106]
	s_waitcnt lgkmcnt(0)
	; wave barrier
	s_and_saveexec_b64 s[6:7], vcc
	s_cbranch_execz .LBB51_548
; %bb.539:
	s_and_b64 vcc, exec, s[4:5]
	s_cbranch_vccnz .LBB51_541
; %bb.540:
	buffer_load_dword v105, v109, s[0:3], 0 offen
	buffer_load_dword v106, v109, s[0:3], 0 offen offset:4
	ds_read_b64 v[110:111], v108
	s_waitcnt vmcnt(0) lgkmcnt(0)
	v_mul_f64 v[105:106], v[105:106], v[110:111]
	s_cbranch_execz .LBB51_542
	s_branch .LBB51_543
.LBB51_541:
                                        ; implicit-def: $vgpr105_vgpr106
.LBB51_542:
	ds_read_b64 v[105:106], v108
.LBB51_543:
	v_cmp_ne_u32_e32 vcc, 4, v0
	s_and_saveexec_b64 s[8:9], vcc
	s_cbranch_execz .LBB51_547
; %bb.544:
	s_mov_b32 s10, 0
	v_add_u32_e32 v110, 0x1a8, v107
	v_add3_u32 v111, v107, s10, 8
	s_mov_b64 s[10:11], 0
	v_mov_b32_e32 v112, v0
.LBB51_545:                             ; =>This Inner Loop Header: Depth=1
	buffer_load_dword v113, v111, s[0:3], 0 offen
	buffer_load_dword v114, v111, s[0:3], 0 offen offset:4
	ds_read_b64 v[115:116], v110
	v_add_u32_e32 v112, 1, v112
	v_cmp_lt_u32_e32 vcc, 3, v112
	v_add_u32_e32 v110, 8, v110
	s_or_b64 s[10:11], vcc, s[10:11]
	v_add_u32_e32 v111, 8, v111
	s_waitcnt vmcnt(0) lgkmcnt(0)
	v_fma_f64 v[105:106], v[113:114], v[115:116], v[105:106]
	s_andn2_b64 exec, exec, s[10:11]
	s_cbranch_execnz .LBB51_545
; %bb.546:
	s_or_b64 exec, exec, s[10:11]
.LBB51_547:
	s_or_b64 exec, exec, s[8:9]
	v_mov_b32_e32 v110, 0
	ds_read_b64 v[110:111], v110 offset:40
	s_waitcnt lgkmcnt(0)
	v_mul_f64 v[105:106], v[105:106], v[110:111]
	buffer_store_dword v106, off, s[0:3], 0 offset:44
	buffer_store_dword v105, off, s[0:3], 0 offset:40
.LBB51_548:
	;; [unrolled: 59-line block ×46, first 2 shown]
	s_or_b64 exec, exec, s[6:7]
	buffer_load_dword v105, off, s[0:3], 0 offset:400
	buffer_load_dword v106, off, s[0:3], 0 offset:404
	v_cmp_gt_u32_e64 s[6:7], 50, v0
	s_waitcnt vmcnt(0)
	ds_write_b64 v108, v[105:106]
	s_waitcnt lgkmcnt(0)
	; wave barrier
	s_and_saveexec_b64 s[8:9], s[6:7]
	s_cbranch_execz .LBB51_998
; %bb.989:
	s_and_b64 vcc, exec, s[4:5]
	s_cbranch_vccnz .LBB51_991
; %bb.990:
	buffer_load_dword v105, v109, s[0:3], 0 offen
	buffer_load_dword v106, v109, s[0:3], 0 offen offset:4
	ds_read_b64 v[110:111], v108
	s_waitcnt vmcnt(0) lgkmcnt(0)
	v_mul_f64 v[105:106], v[105:106], v[110:111]
	s_cbranch_execz .LBB51_992
	s_branch .LBB51_993
.LBB51_991:
                                        ; implicit-def: $vgpr105_vgpr106
.LBB51_992:
	ds_read_b64 v[105:106], v108
.LBB51_993:
	v_cmp_ne_u32_e32 vcc, 49, v0
	s_and_saveexec_b64 s[10:11], vcc
	s_cbranch_execz .LBB51_997
; %bb.994:
	s_mov_b32 s12, 0
	v_add_u32_e32 v110, 0x1a8, v107
	v_add3_u32 v111, v107, s12, 8
	s_mov_b64 s[12:13], 0
	v_mov_b32_e32 v112, v0
.LBB51_995:                             ; =>This Inner Loop Header: Depth=1
	buffer_load_dword v113, v111, s[0:3], 0 offen
	buffer_load_dword v114, v111, s[0:3], 0 offen offset:4
	ds_read_b64 v[115:116], v110
	v_add_u32_e32 v112, 1, v112
	v_cmp_lt_u32_e32 vcc, 48, v112
	v_add_u32_e32 v110, 8, v110
	s_or_b64 s[12:13], vcc, s[12:13]
	v_add_u32_e32 v111, 8, v111
	s_waitcnt vmcnt(0) lgkmcnt(0)
	v_fma_f64 v[105:106], v[113:114], v[115:116], v[105:106]
	s_andn2_b64 exec, exec, s[12:13]
	s_cbranch_execnz .LBB51_995
; %bb.996:
	s_or_b64 exec, exec, s[12:13]
.LBB51_997:
	s_or_b64 exec, exec, s[10:11]
	v_mov_b32_e32 v110, 0
	ds_read_b64 v[110:111], v110 offset:400
	s_waitcnt lgkmcnt(0)
	v_mul_f64 v[105:106], v[105:106], v[110:111]
	buffer_store_dword v106, off, s[0:3], 0 offset:404
	buffer_store_dword v105, off, s[0:3], 0 offset:400
.LBB51_998:
	s_or_b64 exec, exec, s[8:9]
	buffer_load_dword v105, off, s[0:3], 0 offset:408
	buffer_load_dword v106, off, s[0:3], 0 offset:412
	v_cmp_ne_u32_e32 vcc, 51, v0
	s_waitcnt vmcnt(0)
	ds_write_b64 v108, v[105:106]
	s_waitcnt lgkmcnt(0)
	; wave barrier
	s_and_saveexec_b64 s[8:9], vcc
	s_cbranch_execz .LBB51_1008
; %bb.999:
	s_and_b64 vcc, exec, s[4:5]
	s_cbranch_vccnz .LBB51_1001
; %bb.1000:
	buffer_load_dword v105, v109, s[0:3], 0 offen
	buffer_load_dword v106, v109, s[0:3], 0 offen offset:4
	ds_read_b64 v[109:110], v108
	s_waitcnt vmcnt(0) lgkmcnt(0)
	v_mul_f64 v[105:106], v[105:106], v[109:110]
	s_cbranch_execz .LBB51_1002
	s_branch .LBB51_1003
.LBB51_1001:
                                        ; implicit-def: $vgpr105_vgpr106
.LBB51_1002:
	ds_read_b64 v[105:106], v108
.LBB51_1003:
	s_and_saveexec_b64 s[4:5], s[6:7]
	s_cbranch_execz .LBB51_1007
; %bb.1004:
	s_mov_b32 s6, 0
	v_add_u32_e32 v108, 0x1a8, v107
	v_add3_u32 v107, v107, s6, 8
	s_mov_b64 s[6:7], 0
.LBB51_1005:                            ; =>This Inner Loop Header: Depth=1
	buffer_load_dword v109, v107, s[0:3], 0 offen
	buffer_load_dword v110, v107, s[0:3], 0 offen offset:4
	ds_read_b64 v[111:112], v108
	v_add_u32_e32 v0, 1, v0
	v_cmp_lt_u32_e32 vcc, 49, v0
	v_add_u32_e32 v108, 8, v108
	s_or_b64 s[6:7], vcc, s[6:7]
	v_add_u32_e32 v107, 8, v107
	s_waitcnt vmcnt(0) lgkmcnt(0)
	v_fma_f64 v[105:106], v[109:110], v[111:112], v[105:106]
	s_andn2_b64 exec, exec, s[6:7]
	s_cbranch_execnz .LBB51_1005
; %bb.1006:
	s_or_b64 exec, exec, s[6:7]
.LBB51_1007:
	s_or_b64 exec, exec, s[4:5]
	v_mov_b32_e32 v0, 0
	ds_read_b64 v[107:108], v0 offset:408
	s_waitcnt lgkmcnt(0)
	v_mul_f64 v[105:106], v[105:106], v[107:108]
	buffer_store_dword v106, off, s[0:3], 0 offset:412
	buffer_store_dword v105, off, s[0:3], 0 offset:408
.LBB51_1008:
	s_or_b64 exec, exec, s[8:9]
.LBB51_1009:
	buffer_load_dword v105, off, s[0:3], 0
	buffer_load_dword v106, off, s[0:3], 0 offset:4
	buffer_load_dword v107, off, s[0:3], 0 offset:8
	;; [unrolled: 1-line block ×15, first 2 shown]
	s_waitcnt vmcnt(14)
	global_store_dwordx2 v[103:104], v[105:106], off
	buffer_load_dword v104, off, s[0:3], 0 offset:68
	s_nop 0
	buffer_load_dword v105, off, s[0:3], 0 offset:72
	buffer_load_dword v106, off, s[0:3], 0 offset:76
	;; [unrolled: 1-line block ×7, first 2 shown]
	s_waitcnt vmcnt(21)
	global_store_dwordx2 v[101:102], v[107:108], off
	s_waitcnt vmcnt(20)
	global_store_dwordx2 v[5:6], v[109:110], off
	buffer_load_dword v5, off, s[0:3], 0 offset:96
	s_nop 0
	buffer_load_dword v6, off, s[0:3], 0 offset:100
	buffer_load_dword v101, off, s[0:3], 0 offset:104
	;; [unrolled: 1-line block ×7, first 2 shown]
	s_waitcnt vmcnt(27)
	global_store_dwordx2 v[1:2], v[111:112], off
	s_waitcnt vmcnt(26)
	global_store_dwordx2 v[9:10], v[113:114], off
	buffer_load_dword v0, off, s[0:3], 0 offset:128
	buffer_load_dword v1, off, s[0:3], 0 offset:132
	s_nop 0
	buffer_load_dword v9, off, s[0:3], 0 offset:136
	buffer_load_dword v10, off, s[0:3], 0 offset:140
	;; [unrolled: 1-line block ×6, first 2 shown]
	s_waitcnt vmcnt(33)
	global_store_dwordx2 v[3:4], v[115:116], off
	buffer_load_dword v2, off, s[0:3], 0 offset:160
	s_nop 0
	buffer_load_dword v3, off, s[0:3], 0 offset:164
	s_waitcnt vmcnt(34)
	global_store_dwordx2 v[11:12], v[117:118], off
	buffer_load_dword v11, off, s[0:3], 0 offset:168
	s_nop 0
	buffer_load_dword v12, off, s[0:3], 0 offset:172
	buffer_load_dword v115, off, s[0:3], 0 offset:176
	;; [unrolled: 1-line block ×5, first 2 shown]
	s_waitcnt vmcnt(39)
	global_store_dwordx2 v[7:8], v[119:120], off
	s_waitcnt vmcnt(31)
	global_store_dwordx2 v[15:16], v[103:104], off
	buffer_load_dword v7, off, s[0:3], 0 offset:192
	buffer_load_dword v8, off, s[0:3], 0 offset:196
	s_nop 0
	buffer_load_dword v15, off, s[0:3], 0 offset:200
	buffer_load_dword v16, off, s[0:3], 0 offset:204
	;; [unrolled: 1-line block ×6, first 2 shown]
	s_nop 0
	global_store_dwordx2 v[13:14], v[105:106], off
	global_store_dwordx2 v[17:18], v[121:122], off
	;; [unrolled: 1-line block ×3, first 2 shown]
	s_waitcnt vmcnt(39)
	global_store_dwordx2 v[21:22], v[5:6], off
	s_waitcnt vmcnt(38)
	global_store_dwordx2 v[25:26], v[101:102], off
	;; [unrolled: 2-line block ×9, first 2 shown]
	buffer_load_dword v0, off, s[0:3], 0 offset:224
	buffer_load_dword v1, off, s[0:3], 0 offset:228
	s_nop 0
	buffer_load_dword v2, off, s[0:3], 0 offset:232
	buffer_load_dword v3, off, s[0:3], 0 offset:236
	buffer_load_dword v4, off, s[0:3], 0 offset:240
	buffer_load_dword v5, off, s[0:3], 0 offset:244
	buffer_load_dword v9, off, s[0:3], 0 offset:248
	buffer_load_dword v10, off, s[0:3], 0 offset:252
	buffer_load_dword v13, off, s[0:3], 0 offset:256
	buffer_load_dword v14, off, s[0:3], 0 offset:260
	buffer_load_dword v17, off, s[0:3], 0 offset:264
	buffer_load_dword v18, off, s[0:3], 0 offset:268
	buffer_load_dword v19, off, s[0:3], 0 offset:272
	buffer_load_dword v20, off, s[0:3], 0 offset:276
	buffer_load_dword v21, off, s[0:3], 0 offset:280
	buffer_load_dword v22, off, s[0:3], 0 offset:284
	buffer_load_dword v25, off, s[0:3], 0 offset:288
	buffer_load_dword v26, off, s[0:3], 0 offset:292
	buffer_load_dword v29, off, s[0:3], 0 offset:296
	buffer_load_dword v30, off, s[0:3], 0 offset:300
	buffer_load_dword v33, off, s[0:3], 0 offset:304
	buffer_load_dword v34, off, s[0:3], 0 offset:308
	buffer_load_dword v37, off, s[0:3], 0 offset:312
	buffer_load_dword v38, off, s[0:3], 0 offset:316
	buffer_load_dword v41, off, s[0:3], 0 offset:320
	buffer_load_dword v42, off, s[0:3], 0 offset:324
	buffer_load_dword v45, off, s[0:3], 0 offset:328
	buffer_load_dword v46, off, s[0:3], 0 offset:332
	buffer_load_dword v49, off, s[0:3], 0 offset:336
	buffer_load_dword v50, off, s[0:3], 0 offset:340
	buffer_load_dword v53, off, s[0:3], 0 offset:344
	buffer_load_dword v54, off, s[0:3], 0 offset:348
	buffer_load_dword v101, off, s[0:3], 0 offset:352
	buffer_load_dword v102, off, s[0:3], 0 offset:356
	buffer_load_dword v105, off, s[0:3], 0 offset:360
	buffer_load_dword v106, off, s[0:3], 0 offset:364
	buffer_load_dword v107, off, s[0:3], 0 offset:368
	buffer_load_dword v108, off, s[0:3], 0 offset:372
	buffer_load_dword v109, off, s[0:3], 0 offset:376
	buffer_load_dword v110, off, s[0:3], 0 offset:380
	buffer_load_dword v111, off, s[0:3], 0 offset:384
	buffer_load_dword v112, off, s[0:3], 0 offset:388
	buffer_load_dword v113, off, s[0:3], 0 offset:392
	buffer_load_dword v114, off, s[0:3], 0 offset:396
	buffer_load_dword v121, off, s[0:3], 0 offset:400
	buffer_load_dword v122, off, s[0:3], 0 offset:404
	buffer_load_dword v123, off, s[0:3], 0 offset:408
	buffer_load_dword v124, off, s[0:3], 0 offset:412
	s_waitcnt vmcnt(62)
	global_store_dwordx2 v[23:24], v[11:12], off
	global_store_dwordx2 v[27:28], v[115:116], off
	;; [unrolled: 1-line block ×6, first 2 shown]
	s_waitcnt vmcnt(62)
	global_store_dwordx2 v[47:48], v[119:120], off
	s_waitcnt vmcnt(53)
	global_store_dwordx2 v[51:52], v[0:1], off
	;; [unrolled: 2-line block ×25, first 2 shown]
.LBB51_1010:
	s_endpgm
	.section	.rodata,"a",@progbits
	.p2align	6, 0x0
	.amdhsa_kernel _ZN9rocsolver6v33100L18trti2_kernel_smallILi52EdPdEEv13rocblas_fill_17rocblas_diagonal_T1_iil
		.amdhsa_group_segment_fixed_size 832
		.amdhsa_private_segment_fixed_size 432
		.amdhsa_kernarg_size 32
		.amdhsa_user_sgpr_count 6
		.amdhsa_user_sgpr_private_segment_buffer 1
		.amdhsa_user_sgpr_dispatch_ptr 0
		.amdhsa_user_sgpr_queue_ptr 0
		.amdhsa_user_sgpr_kernarg_segment_ptr 1
		.amdhsa_user_sgpr_dispatch_id 0
		.amdhsa_user_sgpr_flat_scratch_init 0
		.amdhsa_user_sgpr_private_segment_size 0
		.amdhsa_uses_dynamic_stack 0
		.amdhsa_system_sgpr_private_segment_wavefront_offset 1
		.amdhsa_system_sgpr_workgroup_id_x 1
		.amdhsa_system_sgpr_workgroup_id_y 0
		.amdhsa_system_sgpr_workgroup_id_z 0
		.amdhsa_system_sgpr_workgroup_info 0
		.amdhsa_system_vgpr_workitem_id 0
		.amdhsa_next_free_vgpr 125
		.amdhsa_next_free_sgpr 65
		.amdhsa_reserve_vcc 1
		.amdhsa_reserve_flat_scratch 0
		.amdhsa_float_round_mode_32 0
		.amdhsa_float_round_mode_16_64 0
		.amdhsa_float_denorm_mode_32 3
		.amdhsa_float_denorm_mode_16_64 3
		.amdhsa_dx10_clamp 1
		.amdhsa_ieee_mode 1
		.amdhsa_fp16_overflow 0
		.amdhsa_exception_fp_ieee_invalid_op 0
		.amdhsa_exception_fp_denorm_src 0
		.amdhsa_exception_fp_ieee_div_zero 0
		.amdhsa_exception_fp_ieee_overflow 0
		.amdhsa_exception_fp_ieee_underflow 0
		.amdhsa_exception_fp_ieee_inexact 0
		.amdhsa_exception_int_div_zero 0
	.end_amdhsa_kernel
	.section	.text._ZN9rocsolver6v33100L18trti2_kernel_smallILi52EdPdEEv13rocblas_fill_17rocblas_diagonal_T1_iil,"axG",@progbits,_ZN9rocsolver6v33100L18trti2_kernel_smallILi52EdPdEEv13rocblas_fill_17rocblas_diagonal_T1_iil,comdat
.Lfunc_end51:
	.size	_ZN9rocsolver6v33100L18trti2_kernel_smallILi52EdPdEEv13rocblas_fill_17rocblas_diagonal_T1_iil, .Lfunc_end51-_ZN9rocsolver6v33100L18trti2_kernel_smallILi52EdPdEEv13rocblas_fill_17rocblas_diagonal_T1_iil
                                        ; -- End function
	.set _ZN9rocsolver6v33100L18trti2_kernel_smallILi52EdPdEEv13rocblas_fill_17rocblas_diagonal_T1_iil.num_vgpr, 125
	.set _ZN9rocsolver6v33100L18trti2_kernel_smallILi52EdPdEEv13rocblas_fill_17rocblas_diagonal_T1_iil.num_agpr, 0
	.set _ZN9rocsolver6v33100L18trti2_kernel_smallILi52EdPdEEv13rocblas_fill_17rocblas_diagonal_T1_iil.numbered_sgpr, 65
	.set _ZN9rocsolver6v33100L18trti2_kernel_smallILi52EdPdEEv13rocblas_fill_17rocblas_diagonal_T1_iil.num_named_barrier, 0
	.set _ZN9rocsolver6v33100L18trti2_kernel_smallILi52EdPdEEv13rocblas_fill_17rocblas_diagonal_T1_iil.private_seg_size, 432
	.set _ZN9rocsolver6v33100L18trti2_kernel_smallILi52EdPdEEv13rocblas_fill_17rocblas_diagonal_T1_iil.uses_vcc, 1
	.set _ZN9rocsolver6v33100L18trti2_kernel_smallILi52EdPdEEv13rocblas_fill_17rocblas_diagonal_T1_iil.uses_flat_scratch, 0
	.set _ZN9rocsolver6v33100L18trti2_kernel_smallILi52EdPdEEv13rocblas_fill_17rocblas_diagonal_T1_iil.has_dyn_sized_stack, 0
	.set _ZN9rocsolver6v33100L18trti2_kernel_smallILi52EdPdEEv13rocblas_fill_17rocblas_diagonal_T1_iil.has_recursion, 0
	.set _ZN9rocsolver6v33100L18trti2_kernel_smallILi52EdPdEEv13rocblas_fill_17rocblas_diagonal_T1_iil.has_indirect_call, 0
	.section	.AMDGPU.csdata,"",@progbits
; Kernel info:
; codeLenInByte = 30672
; TotalNumSgprs: 69
; NumVgprs: 125
; ScratchSize: 432
; MemoryBound: 0
; FloatMode: 240
; IeeeMode: 1
; LDSByteSize: 832 bytes/workgroup (compile time only)
; SGPRBlocks: 8
; VGPRBlocks: 31
; NumSGPRsForWavesPerEU: 69
; NumVGPRsForWavesPerEU: 125
; Occupancy: 2
; WaveLimiterHint : 0
; COMPUTE_PGM_RSRC2:SCRATCH_EN: 1
; COMPUTE_PGM_RSRC2:USER_SGPR: 6
; COMPUTE_PGM_RSRC2:TRAP_HANDLER: 0
; COMPUTE_PGM_RSRC2:TGID_X_EN: 1
; COMPUTE_PGM_RSRC2:TGID_Y_EN: 0
; COMPUTE_PGM_RSRC2:TGID_Z_EN: 0
; COMPUTE_PGM_RSRC2:TIDIG_COMP_CNT: 0
	.section	.text._ZN9rocsolver6v33100L18trti2_kernel_smallILi53EdPdEEv13rocblas_fill_17rocblas_diagonal_T1_iil,"axG",@progbits,_ZN9rocsolver6v33100L18trti2_kernel_smallILi53EdPdEEv13rocblas_fill_17rocblas_diagonal_T1_iil,comdat
	.globl	_ZN9rocsolver6v33100L18trti2_kernel_smallILi53EdPdEEv13rocblas_fill_17rocblas_diagonal_T1_iil ; -- Begin function _ZN9rocsolver6v33100L18trti2_kernel_smallILi53EdPdEEv13rocblas_fill_17rocblas_diagonal_T1_iil
	.p2align	8
	.type	_ZN9rocsolver6v33100L18trti2_kernel_smallILi53EdPdEEv13rocblas_fill_17rocblas_diagonal_T1_iil,@function
_ZN9rocsolver6v33100L18trti2_kernel_smallILi53EdPdEEv13rocblas_fill_17rocblas_diagonal_T1_iil: ; @_ZN9rocsolver6v33100L18trti2_kernel_smallILi53EdPdEEv13rocblas_fill_17rocblas_diagonal_T1_iil
; %bb.0:
	s_add_u32 s0, s0, s7
	s_addc_u32 s1, s1, 0
	v_cmp_gt_u32_e32 vcc, 53, v0
	s_and_saveexec_b64 s[8:9], vcc
	s_cbranch_execz .LBB52_1030
; %bb.1:
	s_load_dwordx8 s[8:15], s[4:5], 0x0
	s_ashr_i32 s7, s6, 31
	v_lshlrev_b32_e32 v109, 3, v0
	s_waitcnt lgkmcnt(0)
	s_ashr_i32 s5, s12, 31
	s_mov_b32 s4, s12
	s_mul_hi_u32 s12, s14, s6
	s_mul_i32 s7, s14, s7
	s_add_i32 s7, s12, s7
	s_mul_i32 s12, s15, s6
	s_add_i32 s7, s7, s12
	s_mul_i32 s6, s14, s6
	s_lshl_b64 s[6:7], s[6:7], 3
	s_add_u32 s6, s10, s6
	s_addc_u32 s7, s11, s7
	s_lshl_b64 s[4:5], s[4:5], 3
	s_add_u32 s4, s6, s4
	s_addc_u32 s5, s7, s5
	s_add_i32 s6, s13, s13
	v_add_u32_e32 v3, s6, v0
	v_ashrrev_i32_e32 v4, 31, v3
	v_lshlrev_b64 v[1:2], 3, v[3:4]
	v_mov_b32_e32 v4, s5
	v_add_co_u32_e32 v1, vcc, s4, v1
	v_add_u32_e32 v3, s13, v3
	v_addc_co_u32_e32 v2, vcc, v4, v2, vcc
	v_ashrrev_i32_e32 v4, 31, v3
	v_lshlrev_b64 v[4:5], 3, v[3:4]
	v_mov_b32_e32 v6, s5
	v_add_co_u32_e32 v7, vcc, s4, v4
	v_addc_co_u32_e32 v8, vcc, v6, v5, vcc
	v_add_u32_e32 v5, s13, v3
	v_ashrrev_i32_e32 v6, 31, v5
	v_lshlrev_b64 v[3:4], 3, v[5:6]
	v_mov_b32_e32 v6, s5
	v_add_co_u32_e32 v3, vcc, s4, v3
	v_add_u32_e32 v5, s13, v5
	v_addc_co_u32_e32 v4, vcc, v6, v4, vcc
	v_ashrrev_i32_e32 v6, 31, v5
	v_lshlrev_b64 v[9:10], 3, v[5:6]
	v_mov_b32_e32 v6, s5
	v_add_co_u32_e32 v13, vcc, s4, v9
	v_add_u32_e32 v9, s13, v5
	v_addc_co_u32_e32 v14, vcc, v6, v10, vcc
	v_ashrrev_i32_e32 v10, 31, v9
	v_lshlrev_b64 v[5:6], 3, v[9:10]
	v_add_u32_e32 v11, s13, v9
	v_mov_b32_e32 v10, s5
	v_add_co_u32_e32 v5, vcc, s4, v5
	v_ashrrev_i32_e32 v12, 31, v11
	v_addc_co_u32_e32 v6, vcc, v10, v6, vcc
	v_lshlrev_b64 v[9:10], 3, v[11:12]
	v_add_u32_e32 v15, s13, v11
	v_mov_b32_e32 v12, s5
	v_add_co_u32_e32 v9, vcc, s4, v9
	v_ashrrev_i32_e32 v16, 31, v15
	v_addc_co_u32_e32 v10, vcc, v12, v10, vcc
	v_lshlrev_b64 v[11:12], 3, v[15:16]
	v_mov_b32_e32 v16, s5
	v_add_co_u32_e32 v11, vcc, s4, v11
	v_add_u32_e32 v15, s13, v15
	v_addc_co_u32_e32 v12, vcc, v16, v12, vcc
	v_ashrrev_i32_e32 v16, 31, v15
	v_lshlrev_b64 v[17:18], 3, v[15:16]
	v_add_u32_e32 v19, s13, v15
	v_mov_b32_e32 v16, s5
	v_add_co_u32_e32 v17, vcc, s4, v17
	v_ashrrev_i32_e32 v20, 31, v19
	v_addc_co_u32_e32 v18, vcc, v16, v18, vcc
	v_lshlrev_b64 v[15:16], 3, v[19:20]
	v_mov_b32_e32 v21, s5
	v_add_co_u32_e32 v15, vcc, s4, v15
	v_addc_co_u32_e32 v16, vcc, v21, v16, vcc
	v_add_u32_e32 v21, s13, v19
	v_ashrrev_i32_e32 v22, 31, v21
	v_lshlrev_b64 v[19:20], 3, v[21:22]
	v_mov_b32_e32 v23, s5
	v_add_co_u32_e32 v19, vcc, s4, v19
	v_addc_co_u32_e32 v20, vcc, v23, v20, vcc
	v_add_u32_e32 v23, s13, v21
	v_ashrrev_i32_e32 v24, 31, v23
	;; [unrolled: 6-line block ×3, first 2 shown]
	v_lshlrev_b64 v[23:24], 3, v[25:26]
	v_add_u32_e32 v25, s13, v25
	v_mov_b32_e32 v27, s5
	v_add_co_u32_e32 v23, vcc, s4, v23
	v_ashrrev_i32_e32 v26, 31, v25
	v_addc_co_u32_e32 v24, vcc, v27, v24, vcc
	v_lshlrev_b64 v[27:28], 3, v[25:26]
	v_add_u32_e32 v25, s13, v25
	v_mov_b32_e32 v29, s5
	v_add_co_u32_e32 v27, vcc, s4, v27
	v_ashrrev_i32_e32 v26, 31, v25
	v_addc_co_u32_e32 v28, vcc, v29, v28, vcc
	;; [unrolled: 6-line block ×4, first 2 shown]
	v_lshlrev_b64 v[29:30], 3, v[25:26]
	v_add_u32_e32 v25, s13, v25
	v_add_co_u32_e32 v39, vcc, s4, v29
	v_ashrrev_i32_e32 v26, 31, v25
	v_addc_co_u32_e32 v40, vcc, v33, v30, vcc
	v_lshlrev_b64 v[29:30], 3, v[25:26]
	v_add_u32_e32 v25, s13, v25
	v_add_co_u32_e32 v43, vcc, s4, v29
	v_ashrrev_i32_e32 v26, 31, v25
	v_addc_co_u32_e32 v44, vcc, v33, v30, vcc
	v_lshlrev_b64 v[29:30], 3, v[25:26]
	v_add_u32_e32 v25, s13, v25
	v_add_co_u32_e32 v47, vcc, s4, v29
	v_ashrrev_i32_e32 v26, 31, v25
	v_addc_co_u32_e32 v48, vcc, v33, v30, vcc
	v_lshlrev_b64 v[29:30], 3, v[25:26]
	v_add_u32_e32 v25, s13, v25
	v_add_co_u32_e32 v51, vcc, s4, v29
	v_ashrrev_i32_e32 v26, 31, v25
	v_addc_co_u32_e32 v52, vcc, v33, v30, vcc
	v_lshlrev_b64 v[29:30], 3, v[25:26]
	v_mov_b32_e32 v37, s5
	v_add_co_u32_e32 v55, vcc, s4, v29
	v_add_u32_e32 v29, s13, v25
	v_addc_co_u32_e32 v56, vcc, v33, v30, vcc
	v_ashrrev_i32_e32 v30, 31, v29
	v_lshlrev_b64 v[25:26], 3, v[29:30]
	v_mov_b32_e32 v41, s5
	v_add_co_u32_e32 v25, vcc, s4, v25
	v_addc_co_u32_e32 v26, vcc, v33, v26, vcc
	v_add_u32_e32 v33, s13, v29
	v_ashrrev_i32_e32 v34, 31, v33
	v_lshlrev_b64 v[29:30], 3, v[33:34]
	v_mov_b32_e32 v45, s5
	v_add_co_u32_e32 v29, vcc, s4, v29
	v_addc_co_u32_e32 v30, vcc, v37, v30, vcc
	v_add_u32_e32 v37, s13, v33
	;; [unrolled: 6-line block ×21, first 2 shown]
	v_ashrrev_i32_e32 v86, 31, v85
	v_lshlrev_b64 v[83:84], 3, v[85:86]
	s_ashr_i32 s7, s13, 31
	v_add_co_u32_e32 v83, vcc, s4, v83
	v_addc_co_u32_e32 v84, vcc, v87, v84, vcc
	v_add_u32_e32 v87, s13, v85
	v_ashrrev_i32_e32 v88, 31, v87
	v_lshlrev_b64 v[85:86], 3, v[87:88]
	v_mov_b32_e32 v88, s5
	v_add_co_u32_e32 v85, vcc, s4, v85
	v_addc_co_u32_e32 v86, vcc, v89, v86, vcc
	v_add_co_u32_e32 v103, vcc, s4, v109
	s_mov_b32 s6, s13
	v_addc_co_u32_e32 v104, vcc, 0, v88, vcc
	s_lshl_b64 s[6:7], s[6:7], 3
	v_mov_b32_e32 v88, s7
	v_add_co_u32_e32 v105, vcc, s6, v103
	global_load_dwordx2 v[107:108], v109, s[4:5]
	v_addc_co_u32_e32 v106, vcc, v104, v88, vcc
	global_load_dwordx2 v[110:111], v[105:106], off
	global_load_dwordx2 v[112:113], v[1:2], off
	;; [unrolled: 1-line block ×4, first 2 shown]
	v_add_u32_e32 v89, s13, v87
	v_ashrrev_i32_e32 v90, 31, v89
	v_lshlrev_b64 v[87:88], 3, v[89:90]
	v_mov_b32_e32 v91, s5
	v_add_co_u32_e32 v87, vcc, s4, v87
	v_addc_co_u32_e32 v88, vcc, v91, v88, vcc
	v_add_u32_e32 v91, s13, v89
	v_ashrrev_i32_e32 v92, 31, v91
	v_lshlrev_b64 v[89:90], 3, v[91:92]
	v_mov_b32_e32 v93, s5
	v_add_co_u32_e32 v89, vcc, s4, v89
	v_addc_co_u32_e32 v90, vcc, v93, v90, vcc
	;; [unrolled: 6-line block ×6, first 2 shown]
	v_add_u32_e32 v101, s13, v99
	v_ashrrev_i32_e32 v102, 31, v101
	v_lshlrev_b64 v[99:100], 3, v[101:102]
	v_add_u32_e32 v101, s13, v101
	v_ashrrev_i32_e32 v102, 31, v101
	v_mov_b32_e32 v118, s5
	v_add_co_u32_e32 v99, vcc, s4, v99
	v_lshlrev_b64 v[101:102], 3, v[101:102]
	v_addc_co_u32_e32 v100, vcc, v118, v100, vcc
	v_mov_b32_e32 v120, s5
	global_load_dwordx2 v[118:119], v[13:14], off
	v_add_co_u32_e32 v101, vcc, s4, v101
	v_addc_co_u32_e32 v102, vcc, v120, v102, vcc
	global_load_dwordx2 v[120:121], v[5:6], off
	global_load_dwordx2 v[122:123], v[9:10], off
	s_waitcnt vmcnt(7)
	buffer_store_dword v108, off, s[0:3], 0 offset:4
	buffer_store_dword v107, off, s[0:3], 0
	global_load_dwordx2 v[107:108], v[11:12], off
	s_waitcnt vmcnt(9)
	buffer_store_dword v111, off, s[0:3], 0 offset:12
	buffer_store_dword v110, off, s[0:3], 0 offset:8
	global_load_dwordx2 v[110:111], v[17:18], off
	s_waitcnt vmcnt(11)
	buffer_store_dword v113, off, s[0:3], 0 offset:20
	buffer_store_dword v112, off, s[0:3], 0 offset:16
	;; [unrolled: 4-line block ×5, first 2 shown]
	s_waitcnt vmcnt(18)
	buffer_store_dword v121, off, s[0:3], 0 offset:52
	global_load_dwordx2 v[118:119], v[23:24], off
	s_cmpk_lg_i32 s9, 0x84
	buffer_store_dword v120, off, s[0:3], 0 offset:48
	global_load_dwordx2 v[120:121], v[27:28], off
	s_waitcnt vmcnt(21)
	buffer_store_dword v123, off, s[0:3], 0 offset:60
	buffer_store_dword v122, off, s[0:3], 0 offset:56
	global_load_dwordx2 v[122:123], v[31:32], off
	s_waitcnt vmcnt(21)
	buffer_store_dword v108, off, s[0:3], 0 offset:68
	;; [unrolled: 4-line block ×7, first 2 shown]
	buffer_store_dword v119, off, s[0:3], 0 offset:108
	s_waitcnt vmcnt(20)
	buffer_store_dword v121, off, s[0:3], 0 offset:116
	global_load_dwordx2 v[118:119], v[55:56], off
	s_cselect_b64 s[10:11], -1, 0
	buffer_store_dword v120, off, s[0:3], 0 offset:112
	global_load_dwordx2 v[120:121], v[25:26], off
	s_waitcnt vmcnt(21)
	buffer_store_dword v122, off, s[0:3], 0 offset:120
	buffer_store_dword v123, off, s[0:3], 0 offset:124
	global_load_dwordx2 v[122:123], v[29:30], off
	s_waitcnt vmcnt(21)
	buffer_store_dword v107, off, s[0:3], 0 offset:128
	;; [unrolled: 4-line block ×7, first 2 shown]
	buffer_store_dword v119, off, s[0:3], 0 offset:172
	s_waitcnt vmcnt(20)
	buffer_store_dword v120, off, s[0:3], 0 offset:176
	buffer_store_dword v121, off, s[0:3], 0 offset:180
	global_load_dwordx2 v[118:119], v[53:54], off
	s_nop 0
	global_load_dwordx2 v[120:121], v[57:58], off
	s_cmpk_eq_i32 s9, 0x84
	s_waitcnt vmcnt(21)
	buffer_store_dword v122, off, s[0:3], 0 offset:184
	buffer_store_dword v123, off, s[0:3], 0 offset:188
	global_load_dwordx2 v[122:123], v[59:60], off
	s_waitcnt vmcnt(21)
	buffer_store_dword v107, off, s[0:3], 0 offset:192
	buffer_store_dword v108, off, s[0:3], 0 offset:196
	global_load_dwordx2 v[107:108], v[61:62], off
	;; [unrolled: 4-line block ×6, first 2 shown]
	s_waitcnt vmcnt(19)
	buffer_store_dword v118, off, s[0:3], 0 offset:232
	buffer_store_dword v119, off, s[0:3], 0 offset:236
	s_waitcnt vmcnt(20)
	buffer_store_dword v120, off, s[0:3], 0 offset:240
	buffer_store_dword v121, off, s[0:3], 0 offset:244
	;; [unrolled: 3-line block ×3, first 2 shown]
	global_load_dwordx2 v[118:119], v[71:72], off
	global_load_dwordx2 v[120:121], v[73:74], off
	s_nop 0
	global_load_dwordx2 v[122:123], v[77:78], off
	s_waitcnt vmcnt(21)
	buffer_store_dword v108, off, s[0:3], 0 offset:260
	buffer_store_dword v107, off, s[0:3], 0 offset:256
	global_load_dwordx2 v[107:108], v[75:76], off
	s_waitcnt vmcnt(21)
	buffer_store_dword v110, off, s[0:3], 0 offset:264
	buffer_store_dword v111, off, s[0:3], 0 offset:268
	;; [unrolled: 4-line block ×6, first 2 shown]
	s_waitcnt vmcnt(18)
	buffer_store_dword v121, off, s[0:3], 0 offset:308
	buffer_store_dword v120, off, s[0:3], 0 offset:304
	s_waitcnt vmcnt(16)
	buffer_store_dword v107, off, s[0:3], 0 offset:312
	buffer_store_dword v108, off, s[0:3], 0 offset:316
	;; [unrolled: 1-line block ×4, first 2 shown]
	s_waitcnt vmcnt(17)
	buffer_store_dword v110, off, s[0:3], 0 offset:328
	global_load_dwordx2 v[107:108], v[87:88], off
	global_load_dwordx2 v[118:119], v[91:92], off
	;; [unrolled: 1-line block ×4, first 2 shown]
	s_nop 0
	buffer_store_dword v111, off, s[0:3], 0 offset:332
	global_load_dwordx2 v[110:111], v[89:90], off
	s_waitcnt vmcnt(21)
	buffer_store_dword v112, off, s[0:3], 0 offset:336
	s_waitcnt vmcnt(19)
	buffer_store_dword v115, off, s[0:3], 0 offset:348
	buffer_store_dword v114, off, s[0:3], 0 offset:344
	global_load_dwordx2 v[114:115], v[97:98], off
	s_waitcnt vmcnt(19)
	buffer_store_dword v117, off, s[0:3], 0 offset:356
	buffer_store_dword v116, off, s[0:3], 0 offset:352
	global_load_dwordx2 v[116:117], v[101:102], off
	s_nop 0
	buffer_store_dword v113, off, s[0:3], 0 offset:340
	global_load_dwordx2 v[112:113], v[93:94], off
	s_waitcnt vmcnt(14)
	buffer_store_dword v107, off, s[0:3], 0 offset:360
	buffer_store_dword v108, off, s[0:3], 0 offset:364
	s_waitcnt vmcnt(11)
	buffer_store_dword v110, off, s[0:3], 0 offset:368
	buffer_store_dword v111, off, s[0:3], 0 offset:372
	;; [unrolled: 1-line block ×4, first 2 shown]
	s_waitcnt vmcnt(6)
	buffer_store_dword v112, off, s[0:3], 0 offset:384
	buffer_store_dword v113, off, s[0:3], 0 offset:388
	buffer_store_dword v121, off, s[0:3], 0 offset:396
	buffer_store_dword v120, off, s[0:3], 0 offset:392
	buffer_store_dword v115, off, s[0:3], 0 offset:404
	buffer_store_dword v114, off, s[0:3], 0 offset:400
	buffer_store_dword v122, off, s[0:3], 0 offset:408
	buffer_store_dword v123, off, s[0:3], 0 offset:412
	buffer_store_dword v116, off, s[0:3], 0 offset:416
	v_mov_b32_e32 v107, 0
	v_mov_b32_e32 v108, 0xbff00000
	buffer_store_dword v117, off, s[0:3], 0 offset:420
	s_cbranch_scc1 .LBB52_3
; %bb.2:
	v_mov_b32_e32 v107, 0
	v_lshl_add_u32 v118, v0, 3, v107
	buffer_load_dword v107, v118, s[0:3], 0 offen
	buffer_load_dword v108, v118, s[0:3], 0 offen offset:4
	s_waitcnt vmcnt(0)
	v_div_scale_f64 v[110:111], s[4:5], v[107:108], v[107:108], 1.0
	v_rcp_f64_e32 v[112:113], v[110:111]
	v_fma_f64 v[114:115], -v[110:111], v[112:113], 1.0
	v_fma_f64 v[112:113], v[112:113], v[114:115], v[112:113]
	v_div_scale_f64 v[114:115], vcc, 1.0, v[107:108], 1.0
	v_fma_f64 v[116:117], -v[110:111], v[112:113], 1.0
	v_fma_f64 v[112:113], v[112:113], v[116:117], v[112:113]
	v_mul_f64 v[116:117], v[114:115], v[112:113]
	v_fma_f64 v[110:111], -v[110:111], v[116:117], v[114:115]
	v_div_fmas_f64 v[110:111], v[110:111], v[112:113], v[116:117]
	v_div_fixup_f64 v[107:108], v[110:111], v[107:108], 1.0
	buffer_store_dword v107, v118, s[0:3], 0 offen
	buffer_store_dword v108, v118, s[0:3], 0 offen offset:4
	v_xor_b32_e32 v108, 0x80000000, v108
.LBB52_3:
	s_cmpk_eq_i32 s8, 0x79
	v_add_u32_e32 v110, 0x1b0, v109
	v_mov_b32_e32 v111, v109
	s_mov_b64 s[4:5], -1
	ds_write_b64 v109, v[107:108]
	s_cbranch_scc1 .LBB52_517
; %bb.4:
	buffer_load_dword v107, off, s[0:3], 0 offset:408
	buffer_load_dword v108, off, s[0:3], 0 offset:412
	s_movk_i32 s12, 0x48
	s_movk_i32 s13, 0x50
	;; [unrolled: 1-line block ×42, first 2 shown]
	v_cmp_eq_u32_e64 s[4:5], 52, v0
	s_waitcnt vmcnt(0)
	ds_write_b64 v110, v[107:108]
	s_waitcnt lgkmcnt(0)
	; wave barrier
	s_and_saveexec_b64 s[6:7], s[4:5]
	s_cbranch_execz .LBB52_10
; %bb.5:
	s_and_b64 vcc, exec, s[10:11]
	s_cbranch_vccz .LBB52_7
; %bb.6:
	buffer_load_dword v107, v111, s[0:3], 0 offen
	buffer_load_dword v108, v111, s[0:3], 0 offen offset:4
	ds_read_b64 v[112:113], v110
	s_waitcnt vmcnt(0) lgkmcnt(0)
	v_mul_f64 v[107:108], v[107:108], v[112:113]
	s_cbranch_execz .LBB52_8
	s_branch .LBB52_9
.LBB52_7:
                                        ; implicit-def: $vgpr107_vgpr108
.LBB52_8:
	ds_read_b64 v[107:108], v110
.LBB52_9:
	v_mov_b32_e32 v112, 0
	ds_read_b64 v[112:113], v112 offset:408
	s_waitcnt lgkmcnt(0)
	v_mul_f64 v[107:108], v[107:108], v[112:113]
	buffer_store_dword v108, off, s[0:3], 0 offset:412
	buffer_store_dword v107, off, s[0:3], 0 offset:408
.LBB52_10:
	s_or_b64 exec, exec, s[6:7]
	buffer_load_dword v107, off, s[0:3], 0 offset:400
	buffer_load_dword v108, off, s[0:3], 0 offset:404
	s_or_b32 s14, 0, 8
	s_mov_b32 s15, 16
	s_mov_b32 s16, 24
	;; [unrolled: 1-line block ×9, first 2 shown]
	v_cmp_lt_u32_e64 s[6:7], 50, v0
	s_waitcnt vmcnt(0)
	ds_write_b64 v110, v[107:108]
	s_waitcnt lgkmcnt(0)
	; wave barrier
	s_and_saveexec_b64 s[8:9], s[6:7]
	s_cbranch_execz .LBB52_16
; %bb.11:
	s_andn2_b64 vcc, exec, s[10:11]
	s_cbranch_vccnz .LBB52_13
; %bb.12:
	buffer_load_dword v107, v111, s[0:3], 0 offen
	buffer_load_dword v108, v111, s[0:3], 0 offen offset:4
	ds_read_b64 v[112:113], v110
	s_waitcnt vmcnt(0) lgkmcnt(0)
	v_mul_f64 v[107:108], v[107:108], v[112:113]
	s_cbranch_execz .LBB52_14
	s_branch .LBB52_15
.LBB52_13:
                                        ; implicit-def: $vgpr107_vgpr108
.LBB52_14:
	ds_read_b64 v[107:108], v110
.LBB52_15:
	buffer_load_dword v116, off, s[0:3], 0 offset:408
	buffer_load_dword v117, off, s[0:3], 0 offset:412
	v_mov_b32_e32 v112, 0
	ds_read2_b64 v[112:115], v112 offset0:50 offset1:105
	s_waitcnt vmcnt(0) lgkmcnt(0)
	v_fma_f64 v[114:115], v[116:117], v[114:115], v[107:108]
	v_cndmask_b32_e64 v108, v108, v115, s[4:5]
	v_cndmask_b32_e64 v107, v107, v114, s[4:5]
	v_mul_f64 v[107:108], v[107:108], v[112:113]
	buffer_store_dword v108, off, s[0:3], 0 offset:404
	buffer_store_dword v107, off, s[0:3], 0 offset:400
.LBB52_16:
	s_or_b64 exec, exec, s[8:9]
	buffer_load_dword v107, off, s[0:3], 0 offset:392
	buffer_load_dword v108, off, s[0:3], 0 offset:396
	v_cmp_lt_u32_e64 s[4:5], 49, v0
	s_waitcnt vmcnt(0)
	ds_write_b64 v110, v[107:108]
	s_waitcnt lgkmcnt(0)
	; wave barrier
	s_and_saveexec_b64 s[8:9], s[4:5]
	s_cbranch_execz .LBB52_26
; %bb.17:
	s_andn2_b64 vcc, exec, s[10:11]
	s_cbranch_vccnz .LBB52_19
; %bb.18:
	buffer_load_dword v107, v111, s[0:3], 0 offen
	buffer_load_dword v108, v111, s[0:3], 0 offen offset:4
	ds_read_b64 v[112:113], v110
	s_waitcnt vmcnt(0) lgkmcnt(0)
	v_mul_f64 v[107:108], v[107:108], v[112:113]
	s_cbranch_execz .LBB52_20
	s_branch .LBB52_21
.LBB52_19:
                                        ; implicit-def: $vgpr107_vgpr108
.LBB52_20:
	ds_read_b64 v[107:108], v110
.LBB52_21:
	s_and_saveexec_b64 s[12:13], s[6:7]
	s_cbranch_execz .LBB52_25
; %bb.22:
	v_subrev_u32_e32 v112, 50, v0
	s_movk_i32 s65, 0x340
	s_mov_b64 s[6:7], 0
.LBB52_23:                              ; =>This Inner Loop Header: Depth=1
	v_mov_b32_e32 v114, s64
	buffer_load_dword v113, v114, s[0:3], 0 offen
	s_nop 0
	buffer_load_dword v114, v114, s[0:3], 0 offen offset:4
	v_mov_b32_e32 v115, s65
	ds_read_b64 v[115:116], v115
	v_add_u32_e32 v112, -1, v112
	s_add_i32 s65, s65, 8
	s_add_i32 s64, s64, 8
	v_cmp_eq_u32_e32 vcc, 0, v112
	s_or_b64 s[6:7], vcc, s[6:7]
	s_waitcnt vmcnt(0) lgkmcnt(0)
	v_fma_f64 v[107:108], v[113:114], v[115:116], v[107:108]
	s_andn2_b64 exec, exec, s[6:7]
	s_cbranch_execnz .LBB52_23
; %bb.24:
	s_or_b64 exec, exec, s[6:7]
.LBB52_25:
	s_or_b64 exec, exec, s[12:13]
	v_mov_b32_e32 v112, 0
	ds_read_b64 v[112:113], v112 offset:392
	s_waitcnt lgkmcnt(0)
	v_mul_f64 v[107:108], v[107:108], v[112:113]
	buffer_store_dword v108, off, s[0:3], 0 offset:396
	buffer_store_dword v107, off, s[0:3], 0 offset:392
.LBB52_26:
	s_or_b64 exec, exec, s[8:9]
	buffer_load_dword v107, off, s[0:3], 0 offset:384
	buffer_load_dword v108, off, s[0:3], 0 offset:388
	v_cmp_lt_u32_e64 s[6:7], 48, v0
	s_waitcnt vmcnt(0)
	ds_write_b64 v110, v[107:108]
	s_waitcnt lgkmcnt(0)
	; wave barrier
	s_and_saveexec_b64 s[8:9], s[6:7]
	s_cbranch_execz .LBB52_36
; %bb.27:
	s_andn2_b64 vcc, exec, s[10:11]
	s_cbranch_vccnz .LBB52_29
; %bb.28:
	buffer_load_dword v107, v111, s[0:3], 0 offen
	buffer_load_dword v108, v111, s[0:3], 0 offen offset:4
	ds_read_b64 v[112:113], v110
	s_waitcnt vmcnt(0) lgkmcnt(0)
	v_mul_f64 v[107:108], v[107:108], v[112:113]
	s_cbranch_execz .LBB52_30
	s_branch .LBB52_31
.LBB52_29:
                                        ; implicit-def: $vgpr107_vgpr108
.LBB52_30:
	ds_read_b64 v[107:108], v110
.LBB52_31:
	s_and_saveexec_b64 s[12:13], s[4:5]
	s_cbranch_execz .LBB52_35
; %bb.32:
	v_subrev_u32_e32 v112, 49, v0
	s_movk_i32 s64, 0x338
	s_mov_b64 s[4:5], 0
.LBB52_33:                              ; =>This Inner Loop Header: Depth=1
	v_mov_b32_e32 v114, s63
	buffer_load_dword v113, v114, s[0:3], 0 offen
	s_nop 0
	buffer_load_dword v114, v114, s[0:3], 0 offen offset:4
	v_mov_b32_e32 v115, s64
	ds_read_b64 v[115:116], v115
	v_add_u32_e32 v112, -1, v112
	s_add_i32 s64, s64, 8
	s_add_i32 s63, s63, 8
	v_cmp_eq_u32_e32 vcc, 0, v112
	s_or_b64 s[4:5], vcc, s[4:5]
	s_waitcnt vmcnt(0) lgkmcnt(0)
	v_fma_f64 v[107:108], v[113:114], v[115:116], v[107:108]
	s_andn2_b64 exec, exec, s[4:5]
	s_cbranch_execnz .LBB52_33
; %bb.34:
	s_or_b64 exec, exec, s[4:5]
.LBB52_35:
	s_or_b64 exec, exec, s[12:13]
	v_mov_b32_e32 v112, 0
	ds_read_b64 v[112:113], v112 offset:384
	s_waitcnt lgkmcnt(0)
	v_mul_f64 v[107:108], v[107:108], v[112:113]
	buffer_store_dword v108, off, s[0:3], 0 offset:388
	buffer_store_dword v107, off, s[0:3], 0 offset:384
.LBB52_36:
	s_or_b64 exec, exec, s[8:9]
	buffer_load_dword v107, off, s[0:3], 0 offset:376
	buffer_load_dword v108, off, s[0:3], 0 offset:380
	v_cmp_lt_u32_e64 s[4:5], 47, v0
	s_waitcnt vmcnt(0)
	ds_write_b64 v110, v[107:108]
	s_waitcnt lgkmcnt(0)
	; wave barrier
	s_and_saveexec_b64 s[8:9], s[4:5]
	s_cbranch_execz .LBB52_46
; %bb.37:
	s_andn2_b64 vcc, exec, s[10:11]
	s_cbranch_vccnz .LBB52_39
; %bb.38:
	buffer_load_dword v107, v111, s[0:3], 0 offen
	buffer_load_dword v108, v111, s[0:3], 0 offen offset:4
	ds_read_b64 v[112:113], v110
	s_waitcnt vmcnt(0) lgkmcnt(0)
	v_mul_f64 v[107:108], v[107:108], v[112:113]
	s_cbranch_execz .LBB52_40
	s_branch .LBB52_41
.LBB52_39:
                                        ; implicit-def: $vgpr107_vgpr108
.LBB52_40:
	ds_read_b64 v[107:108], v110
.LBB52_41:
	s_and_saveexec_b64 s[12:13], s[6:7]
	s_cbranch_execz .LBB52_45
; %bb.42:
	v_subrev_u32_e32 v112, 48, v0
	s_movk_i32 s63, 0x330
	s_mov_b64 s[6:7], 0
.LBB52_43:                              ; =>This Inner Loop Header: Depth=1
	v_mov_b32_e32 v114, s62
	buffer_load_dword v113, v114, s[0:3], 0 offen
	s_nop 0
	buffer_load_dword v114, v114, s[0:3], 0 offen offset:4
	v_mov_b32_e32 v115, s63
	ds_read_b64 v[115:116], v115
	v_add_u32_e32 v112, -1, v112
	s_add_i32 s63, s63, 8
	s_add_i32 s62, s62, 8
	v_cmp_eq_u32_e32 vcc, 0, v112
	s_or_b64 s[6:7], vcc, s[6:7]
	s_waitcnt vmcnt(0) lgkmcnt(0)
	v_fma_f64 v[107:108], v[113:114], v[115:116], v[107:108]
	s_andn2_b64 exec, exec, s[6:7]
	s_cbranch_execnz .LBB52_43
; %bb.44:
	s_or_b64 exec, exec, s[6:7]
.LBB52_45:
	s_or_b64 exec, exec, s[12:13]
	v_mov_b32_e32 v112, 0
	ds_read_b64 v[112:113], v112 offset:376
	s_waitcnt lgkmcnt(0)
	v_mul_f64 v[107:108], v[107:108], v[112:113]
	buffer_store_dword v108, off, s[0:3], 0 offset:380
	buffer_store_dword v107, off, s[0:3], 0 offset:376
.LBB52_46:
	s_or_b64 exec, exec, s[8:9]
	buffer_load_dword v107, off, s[0:3], 0 offset:368
	buffer_load_dword v108, off, s[0:3], 0 offset:372
	v_cmp_lt_u32_e64 s[6:7], 46, v0
	s_waitcnt vmcnt(0)
	ds_write_b64 v110, v[107:108]
	s_waitcnt lgkmcnt(0)
	; wave barrier
	s_and_saveexec_b64 s[8:9], s[6:7]
	s_cbranch_execz .LBB52_56
; %bb.47:
	s_andn2_b64 vcc, exec, s[10:11]
	s_cbranch_vccnz .LBB52_49
; %bb.48:
	buffer_load_dword v107, v111, s[0:3], 0 offen
	buffer_load_dword v108, v111, s[0:3], 0 offen offset:4
	ds_read_b64 v[112:113], v110
	s_waitcnt vmcnt(0) lgkmcnt(0)
	v_mul_f64 v[107:108], v[107:108], v[112:113]
	s_cbranch_execz .LBB52_50
	s_branch .LBB52_51
.LBB52_49:
                                        ; implicit-def: $vgpr107_vgpr108
.LBB52_50:
	ds_read_b64 v[107:108], v110
.LBB52_51:
	s_and_saveexec_b64 s[12:13], s[4:5]
	s_cbranch_execz .LBB52_55
; %bb.52:
	v_subrev_u32_e32 v112, 47, v0
	s_movk_i32 s62, 0x328
	s_mov_b64 s[4:5], 0
.LBB52_53:                              ; =>This Inner Loop Header: Depth=1
	v_mov_b32_e32 v114, s61
	buffer_load_dword v113, v114, s[0:3], 0 offen
	s_nop 0
	buffer_load_dword v114, v114, s[0:3], 0 offen offset:4
	v_mov_b32_e32 v115, s62
	ds_read_b64 v[115:116], v115
	v_add_u32_e32 v112, -1, v112
	s_add_i32 s62, s62, 8
	s_add_i32 s61, s61, 8
	v_cmp_eq_u32_e32 vcc, 0, v112
	s_or_b64 s[4:5], vcc, s[4:5]
	s_waitcnt vmcnt(0) lgkmcnt(0)
	v_fma_f64 v[107:108], v[113:114], v[115:116], v[107:108]
	s_andn2_b64 exec, exec, s[4:5]
	s_cbranch_execnz .LBB52_53
; %bb.54:
	s_or_b64 exec, exec, s[4:5]
.LBB52_55:
	s_or_b64 exec, exec, s[12:13]
	v_mov_b32_e32 v112, 0
	ds_read_b64 v[112:113], v112 offset:368
	s_waitcnt lgkmcnt(0)
	v_mul_f64 v[107:108], v[107:108], v[112:113]
	buffer_store_dword v108, off, s[0:3], 0 offset:372
	buffer_store_dword v107, off, s[0:3], 0 offset:368
.LBB52_56:
	s_or_b64 exec, exec, s[8:9]
	buffer_load_dword v107, off, s[0:3], 0 offset:360
	buffer_load_dword v108, off, s[0:3], 0 offset:364
	v_cmp_lt_u32_e64 s[4:5], 45, v0
	s_waitcnt vmcnt(0)
	ds_write_b64 v110, v[107:108]
	s_waitcnt lgkmcnt(0)
	; wave barrier
	s_and_saveexec_b64 s[8:9], s[4:5]
	s_cbranch_execz .LBB52_66
; %bb.57:
	s_andn2_b64 vcc, exec, s[10:11]
	s_cbranch_vccnz .LBB52_59
; %bb.58:
	buffer_load_dword v107, v111, s[0:3], 0 offen
	buffer_load_dword v108, v111, s[0:3], 0 offen offset:4
	ds_read_b64 v[112:113], v110
	s_waitcnt vmcnt(0) lgkmcnt(0)
	v_mul_f64 v[107:108], v[107:108], v[112:113]
	s_cbranch_execz .LBB52_60
	s_branch .LBB52_61
.LBB52_59:
                                        ; implicit-def: $vgpr107_vgpr108
.LBB52_60:
	ds_read_b64 v[107:108], v110
.LBB52_61:
	s_and_saveexec_b64 s[12:13], s[6:7]
	s_cbranch_execz .LBB52_65
; %bb.62:
	v_subrev_u32_e32 v112, 46, v0
	s_movk_i32 s61, 0x320
	s_mov_b64 s[6:7], 0
.LBB52_63:                              ; =>This Inner Loop Header: Depth=1
	v_mov_b32_e32 v114, s60
	buffer_load_dword v113, v114, s[0:3], 0 offen
	s_nop 0
	buffer_load_dword v114, v114, s[0:3], 0 offen offset:4
	v_mov_b32_e32 v115, s61
	ds_read_b64 v[115:116], v115
	v_add_u32_e32 v112, -1, v112
	s_add_i32 s61, s61, 8
	s_add_i32 s60, s60, 8
	v_cmp_eq_u32_e32 vcc, 0, v112
	s_or_b64 s[6:7], vcc, s[6:7]
	s_waitcnt vmcnt(0) lgkmcnt(0)
	v_fma_f64 v[107:108], v[113:114], v[115:116], v[107:108]
	s_andn2_b64 exec, exec, s[6:7]
	s_cbranch_execnz .LBB52_63
; %bb.64:
	s_or_b64 exec, exec, s[6:7]
.LBB52_65:
	s_or_b64 exec, exec, s[12:13]
	v_mov_b32_e32 v112, 0
	ds_read_b64 v[112:113], v112 offset:360
	s_waitcnt lgkmcnt(0)
	v_mul_f64 v[107:108], v[107:108], v[112:113]
	buffer_store_dword v108, off, s[0:3], 0 offset:364
	buffer_store_dword v107, off, s[0:3], 0 offset:360
.LBB52_66:
	s_or_b64 exec, exec, s[8:9]
	buffer_load_dword v107, off, s[0:3], 0 offset:352
	buffer_load_dword v108, off, s[0:3], 0 offset:356
	v_cmp_lt_u32_e64 s[6:7], 44, v0
	s_waitcnt vmcnt(0)
	ds_write_b64 v110, v[107:108]
	s_waitcnt lgkmcnt(0)
	; wave barrier
	s_and_saveexec_b64 s[8:9], s[6:7]
	s_cbranch_execz .LBB52_76
; %bb.67:
	s_andn2_b64 vcc, exec, s[10:11]
	s_cbranch_vccnz .LBB52_69
; %bb.68:
	buffer_load_dword v107, v111, s[0:3], 0 offen
	buffer_load_dword v108, v111, s[0:3], 0 offen offset:4
	ds_read_b64 v[112:113], v110
	s_waitcnt vmcnt(0) lgkmcnt(0)
	v_mul_f64 v[107:108], v[107:108], v[112:113]
	s_cbranch_execz .LBB52_70
	s_branch .LBB52_71
.LBB52_69:
                                        ; implicit-def: $vgpr107_vgpr108
.LBB52_70:
	ds_read_b64 v[107:108], v110
.LBB52_71:
	s_and_saveexec_b64 s[12:13], s[4:5]
	s_cbranch_execz .LBB52_75
; %bb.72:
	v_subrev_u32_e32 v112, 45, v0
	s_movk_i32 s60, 0x318
	s_mov_b64 s[4:5], 0
.LBB52_73:                              ; =>This Inner Loop Header: Depth=1
	v_mov_b32_e32 v114, s59
	buffer_load_dword v113, v114, s[0:3], 0 offen
	s_nop 0
	buffer_load_dword v114, v114, s[0:3], 0 offen offset:4
	v_mov_b32_e32 v115, s60
	ds_read_b64 v[115:116], v115
	v_add_u32_e32 v112, -1, v112
	s_add_i32 s60, s60, 8
	s_add_i32 s59, s59, 8
	v_cmp_eq_u32_e32 vcc, 0, v112
	s_or_b64 s[4:5], vcc, s[4:5]
	s_waitcnt vmcnt(0) lgkmcnt(0)
	v_fma_f64 v[107:108], v[113:114], v[115:116], v[107:108]
	s_andn2_b64 exec, exec, s[4:5]
	s_cbranch_execnz .LBB52_73
; %bb.74:
	s_or_b64 exec, exec, s[4:5]
.LBB52_75:
	s_or_b64 exec, exec, s[12:13]
	v_mov_b32_e32 v112, 0
	ds_read_b64 v[112:113], v112 offset:352
	s_waitcnt lgkmcnt(0)
	v_mul_f64 v[107:108], v[107:108], v[112:113]
	buffer_store_dword v108, off, s[0:3], 0 offset:356
	buffer_store_dword v107, off, s[0:3], 0 offset:352
.LBB52_76:
	s_or_b64 exec, exec, s[8:9]
	buffer_load_dword v107, off, s[0:3], 0 offset:344
	buffer_load_dword v108, off, s[0:3], 0 offset:348
	v_cmp_lt_u32_e64 s[4:5], 43, v0
	s_waitcnt vmcnt(0)
	ds_write_b64 v110, v[107:108]
	s_waitcnt lgkmcnt(0)
	; wave barrier
	s_and_saveexec_b64 s[8:9], s[4:5]
	s_cbranch_execz .LBB52_86
; %bb.77:
	s_andn2_b64 vcc, exec, s[10:11]
	s_cbranch_vccnz .LBB52_79
; %bb.78:
	buffer_load_dword v107, v111, s[0:3], 0 offen
	buffer_load_dword v108, v111, s[0:3], 0 offen offset:4
	ds_read_b64 v[112:113], v110
	s_waitcnt vmcnt(0) lgkmcnt(0)
	v_mul_f64 v[107:108], v[107:108], v[112:113]
	s_cbranch_execz .LBB52_80
	s_branch .LBB52_81
.LBB52_79:
                                        ; implicit-def: $vgpr107_vgpr108
.LBB52_80:
	ds_read_b64 v[107:108], v110
.LBB52_81:
	s_and_saveexec_b64 s[12:13], s[6:7]
	s_cbranch_execz .LBB52_85
; %bb.82:
	v_subrev_u32_e32 v112, 44, v0
	s_movk_i32 s59, 0x310
	s_mov_b64 s[6:7], 0
.LBB52_83:                              ; =>This Inner Loop Header: Depth=1
	v_mov_b32_e32 v114, s58
	buffer_load_dword v113, v114, s[0:3], 0 offen
	s_nop 0
	buffer_load_dword v114, v114, s[0:3], 0 offen offset:4
	v_mov_b32_e32 v115, s59
	ds_read_b64 v[115:116], v115
	v_add_u32_e32 v112, -1, v112
	s_add_i32 s59, s59, 8
	s_add_i32 s58, s58, 8
	v_cmp_eq_u32_e32 vcc, 0, v112
	s_or_b64 s[6:7], vcc, s[6:7]
	s_waitcnt vmcnt(0) lgkmcnt(0)
	v_fma_f64 v[107:108], v[113:114], v[115:116], v[107:108]
	s_andn2_b64 exec, exec, s[6:7]
	s_cbranch_execnz .LBB52_83
; %bb.84:
	s_or_b64 exec, exec, s[6:7]
.LBB52_85:
	s_or_b64 exec, exec, s[12:13]
	v_mov_b32_e32 v112, 0
	ds_read_b64 v[112:113], v112 offset:344
	s_waitcnt lgkmcnt(0)
	v_mul_f64 v[107:108], v[107:108], v[112:113]
	buffer_store_dword v108, off, s[0:3], 0 offset:348
	buffer_store_dword v107, off, s[0:3], 0 offset:344
.LBB52_86:
	s_or_b64 exec, exec, s[8:9]
	buffer_load_dword v107, off, s[0:3], 0 offset:336
	buffer_load_dword v108, off, s[0:3], 0 offset:340
	v_cmp_lt_u32_e64 s[6:7], 42, v0
	s_waitcnt vmcnt(0)
	ds_write_b64 v110, v[107:108]
	s_waitcnt lgkmcnt(0)
	; wave barrier
	s_and_saveexec_b64 s[8:9], s[6:7]
	s_cbranch_execz .LBB52_96
; %bb.87:
	s_andn2_b64 vcc, exec, s[10:11]
	s_cbranch_vccnz .LBB52_89
; %bb.88:
	buffer_load_dword v107, v111, s[0:3], 0 offen
	buffer_load_dword v108, v111, s[0:3], 0 offen offset:4
	ds_read_b64 v[112:113], v110
	s_waitcnt vmcnt(0) lgkmcnt(0)
	v_mul_f64 v[107:108], v[107:108], v[112:113]
	s_cbranch_execz .LBB52_90
	s_branch .LBB52_91
.LBB52_89:
                                        ; implicit-def: $vgpr107_vgpr108
.LBB52_90:
	ds_read_b64 v[107:108], v110
.LBB52_91:
	s_and_saveexec_b64 s[12:13], s[4:5]
	s_cbranch_execz .LBB52_95
; %bb.92:
	v_subrev_u32_e32 v112, 43, v0
	s_movk_i32 s58, 0x308
	s_mov_b64 s[4:5], 0
.LBB52_93:                              ; =>This Inner Loop Header: Depth=1
	v_mov_b32_e32 v114, s57
	buffer_load_dword v113, v114, s[0:3], 0 offen
	s_nop 0
	buffer_load_dword v114, v114, s[0:3], 0 offen offset:4
	v_mov_b32_e32 v115, s58
	ds_read_b64 v[115:116], v115
	v_add_u32_e32 v112, -1, v112
	s_add_i32 s58, s58, 8
	s_add_i32 s57, s57, 8
	v_cmp_eq_u32_e32 vcc, 0, v112
	s_or_b64 s[4:5], vcc, s[4:5]
	s_waitcnt vmcnt(0) lgkmcnt(0)
	v_fma_f64 v[107:108], v[113:114], v[115:116], v[107:108]
	s_andn2_b64 exec, exec, s[4:5]
	s_cbranch_execnz .LBB52_93
; %bb.94:
	s_or_b64 exec, exec, s[4:5]
.LBB52_95:
	s_or_b64 exec, exec, s[12:13]
	v_mov_b32_e32 v112, 0
	ds_read_b64 v[112:113], v112 offset:336
	s_waitcnt lgkmcnt(0)
	v_mul_f64 v[107:108], v[107:108], v[112:113]
	buffer_store_dword v108, off, s[0:3], 0 offset:340
	buffer_store_dword v107, off, s[0:3], 0 offset:336
.LBB52_96:
	s_or_b64 exec, exec, s[8:9]
	buffer_load_dword v107, off, s[0:3], 0 offset:328
	buffer_load_dword v108, off, s[0:3], 0 offset:332
	v_cmp_lt_u32_e64 s[4:5], 41, v0
	s_waitcnt vmcnt(0)
	ds_write_b64 v110, v[107:108]
	s_waitcnt lgkmcnt(0)
	; wave barrier
	s_and_saveexec_b64 s[8:9], s[4:5]
	s_cbranch_execz .LBB52_106
; %bb.97:
	s_andn2_b64 vcc, exec, s[10:11]
	s_cbranch_vccnz .LBB52_99
; %bb.98:
	buffer_load_dword v107, v111, s[0:3], 0 offen
	buffer_load_dword v108, v111, s[0:3], 0 offen offset:4
	ds_read_b64 v[112:113], v110
	s_waitcnt vmcnt(0) lgkmcnt(0)
	v_mul_f64 v[107:108], v[107:108], v[112:113]
	s_cbranch_execz .LBB52_100
	s_branch .LBB52_101
.LBB52_99:
                                        ; implicit-def: $vgpr107_vgpr108
.LBB52_100:
	ds_read_b64 v[107:108], v110
.LBB52_101:
	s_and_saveexec_b64 s[12:13], s[6:7]
	s_cbranch_execz .LBB52_105
; %bb.102:
	v_subrev_u32_e32 v112, 42, v0
	s_movk_i32 s57, 0x300
	s_mov_b64 s[6:7], 0
.LBB52_103:                             ; =>This Inner Loop Header: Depth=1
	v_mov_b32_e32 v114, s56
	buffer_load_dword v113, v114, s[0:3], 0 offen
	s_nop 0
	buffer_load_dword v114, v114, s[0:3], 0 offen offset:4
	v_mov_b32_e32 v115, s57
	ds_read_b64 v[115:116], v115
	v_add_u32_e32 v112, -1, v112
	s_add_i32 s57, s57, 8
	s_add_i32 s56, s56, 8
	v_cmp_eq_u32_e32 vcc, 0, v112
	s_or_b64 s[6:7], vcc, s[6:7]
	s_waitcnt vmcnt(0) lgkmcnt(0)
	v_fma_f64 v[107:108], v[113:114], v[115:116], v[107:108]
	s_andn2_b64 exec, exec, s[6:7]
	s_cbranch_execnz .LBB52_103
; %bb.104:
	s_or_b64 exec, exec, s[6:7]
.LBB52_105:
	s_or_b64 exec, exec, s[12:13]
	v_mov_b32_e32 v112, 0
	ds_read_b64 v[112:113], v112 offset:328
	s_waitcnt lgkmcnt(0)
	v_mul_f64 v[107:108], v[107:108], v[112:113]
	buffer_store_dword v108, off, s[0:3], 0 offset:332
	buffer_store_dword v107, off, s[0:3], 0 offset:328
.LBB52_106:
	s_or_b64 exec, exec, s[8:9]
	buffer_load_dword v107, off, s[0:3], 0 offset:320
	buffer_load_dword v108, off, s[0:3], 0 offset:324
	v_cmp_lt_u32_e64 s[6:7], 40, v0
	s_waitcnt vmcnt(0)
	ds_write_b64 v110, v[107:108]
	s_waitcnt lgkmcnt(0)
	; wave barrier
	s_and_saveexec_b64 s[8:9], s[6:7]
	s_cbranch_execz .LBB52_116
; %bb.107:
	s_andn2_b64 vcc, exec, s[10:11]
	s_cbranch_vccnz .LBB52_109
; %bb.108:
	buffer_load_dword v107, v111, s[0:3], 0 offen
	buffer_load_dword v108, v111, s[0:3], 0 offen offset:4
	ds_read_b64 v[112:113], v110
	s_waitcnt vmcnt(0) lgkmcnt(0)
	v_mul_f64 v[107:108], v[107:108], v[112:113]
	s_cbranch_execz .LBB52_110
	s_branch .LBB52_111
.LBB52_109:
                                        ; implicit-def: $vgpr107_vgpr108
.LBB52_110:
	ds_read_b64 v[107:108], v110
.LBB52_111:
	s_and_saveexec_b64 s[12:13], s[4:5]
	s_cbranch_execz .LBB52_115
; %bb.112:
	v_subrev_u32_e32 v112, 41, v0
	s_movk_i32 s56, 0x2f8
	s_mov_b64 s[4:5], 0
.LBB52_113:                             ; =>This Inner Loop Header: Depth=1
	v_mov_b32_e32 v114, s55
	buffer_load_dword v113, v114, s[0:3], 0 offen
	s_nop 0
	buffer_load_dword v114, v114, s[0:3], 0 offen offset:4
	v_mov_b32_e32 v115, s56
	ds_read_b64 v[115:116], v115
	v_add_u32_e32 v112, -1, v112
	s_add_i32 s56, s56, 8
	s_add_i32 s55, s55, 8
	v_cmp_eq_u32_e32 vcc, 0, v112
	s_or_b64 s[4:5], vcc, s[4:5]
	s_waitcnt vmcnt(0) lgkmcnt(0)
	v_fma_f64 v[107:108], v[113:114], v[115:116], v[107:108]
	s_andn2_b64 exec, exec, s[4:5]
	s_cbranch_execnz .LBB52_113
; %bb.114:
	s_or_b64 exec, exec, s[4:5]
.LBB52_115:
	s_or_b64 exec, exec, s[12:13]
	v_mov_b32_e32 v112, 0
	ds_read_b64 v[112:113], v112 offset:320
	s_waitcnt lgkmcnt(0)
	v_mul_f64 v[107:108], v[107:108], v[112:113]
	buffer_store_dword v108, off, s[0:3], 0 offset:324
	buffer_store_dword v107, off, s[0:3], 0 offset:320
.LBB52_116:
	s_or_b64 exec, exec, s[8:9]
	buffer_load_dword v107, off, s[0:3], 0 offset:312
	buffer_load_dword v108, off, s[0:3], 0 offset:316
	v_cmp_lt_u32_e64 s[4:5], 39, v0
	s_waitcnt vmcnt(0)
	ds_write_b64 v110, v[107:108]
	s_waitcnt lgkmcnt(0)
	; wave barrier
	s_and_saveexec_b64 s[8:9], s[4:5]
	s_cbranch_execz .LBB52_126
; %bb.117:
	s_andn2_b64 vcc, exec, s[10:11]
	s_cbranch_vccnz .LBB52_119
; %bb.118:
	buffer_load_dword v107, v111, s[0:3], 0 offen
	buffer_load_dword v108, v111, s[0:3], 0 offen offset:4
	ds_read_b64 v[112:113], v110
	s_waitcnt vmcnt(0) lgkmcnt(0)
	v_mul_f64 v[107:108], v[107:108], v[112:113]
	s_cbranch_execz .LBB52_120
	s_branch .LBB52_121
.LBB52_119:
                                        ; implicit-def: $vgpr107_vgpr108
.LBB52_120:
	ds_read_b64 v[107:108], v110
.LBB52_121:
	s_and_saveexec_b64 s[12:13], s[6:7]
	s_cbranch_execz .LBB52_125
; %bb.122:
	v_subrev_u32_e32 v112, 40, v0
	s_movk_i32 s55, 0x2f0
	s_mov_b64 s[6:7], 0
.LBB52_123:                             ; =>This Inner Loop Header: Depth=1
	v_mov_b32_e32 v114, s54
	buffer_load_dword v113, v114, s[0:3], 0 offen
	s_nop 0
	buffer_load_dword v114, v114, s[0:3], 0 offen offset:4
	v_mov_b32_e32 v115, s55
	ds_read_b64 v[115:116], v115
	v_add_u32_e32 v112, -1, v112
	s_add_i32 s55, s55, 8
	s_add_i32 s54, s54, 8
	v_cmp_eq_u32_e32 vcc, 0, v112
	s_or_b64 s[6:7], vcc, s[6:7]
	s_waitcnt vmcnt(0) lgkmcnt(0)
	v_fma_f64 v[107:108], v[113:114], v[115:116], v[107:108]
	s_andn2_b64 exec, exec, s[6:7]
	s_cbranch_execnz .LBB52_123
; %bb.124:
	s_or_b64 exec, exec, s[6:7]
.LBB52_125:
	s_or_b64 exec, exec, s[12:13]
	v_mov_b32_e32 v112, 0
	ds_read_b64 v[112:113], v112 offset:312
	s_waitcnt lgkmcnt(0)
	v_mul_f64 v[107:108], v[107:108], v[112:113]
	buffer_store_dword v108, off, s[0:3], 0 offset:316
	buffer_store_dword v107, off, s[0:3], 0 offset:312
.LBB52_126:
	s_or_b64 exec, exec, s[8:9]
	buffer_load_dword v107, off, s[0:3], 0 offset:304
	buffer_load_dword v108, off, s[0:3], 0 offset:308
	v_cmp_lt_u32_e64 s[6:7], 38, v0
	s_waitcnt vmcnt(0)
	ds_write_b64 v110, v[107:108]
	s_waitcnt lgkmcnt(0)
	; wave barrier
	s_and_saveexec_b64 s[8:9], s[6:7]
	s_cbranch_execz .LBB52_136
; %bb.127:
	s_andn2_b64 vcc, exec, s[10:11]
	s_cbranch_vccnz .LBB52_129
; %bb.128:
	buffer_load_dword v107, v111, s[0:3], 0 offen
	buffer_load_dword v108, v111, s[0:3], 0 offen offset:4
	ds_read_b64 v[112:113], v110
	s_waitcnt vmcnt(0) lgkmcnt(0)
	v_mul_f64 v[107:108], v[107:108], v[112:113]
	s_cbranch_execz .LBB52_130
	s_branch .LBB52_131
.LBB52_129:
                                        ; implicit-def: $vgpr107_vgpr108
.LBB52_130:
	ds_read_b64 v[107:108], v110
.LBB52_131:
	s_and_saveexec_b64 s[12:13], s[4:5]
	s_cbranch_execz .LBB52_135
; %bb.132:
	v_subrev_u32_e32 v112, 39, v0
	s_movk_i32 s54, 0x2e8
	s_mov_b64 s[4:5], 0
.LBB52_133:                             ; =>This Inner Loop Header: Depth=1
	v_mov_b32_e32 v114, s53
	buffer_load_dword v113, v114, s[0:3], 0 offen
	s_nop 0
	buffer_load_dword v114, v114, s[0:3], 0 offen offset:4
	v_mov_b32_e32 v115, s54
	ds_read_b64 v[115:116], v115
	v_add_u32_e32 v112, -1, v112
	s_add_i32 s54, s54, 8
	s_add_i32 s53, s53, 8
	v_cmp_eq_u32_e32 vcc, 0, v112
	s_or_b64 s[4:5], vcc, s[4:5]
	s_waitcnt vmcnt(0) lgkmcnt(0)
	v_fma_f64 v[107:108], v[113:114], v[115:116], v[107:108]
	s_andn2_b64 exec, exec, s[4:5]
	s_cbranch_execnz .LBB52_133
; %bb.134:
	s_or_b64 exec, exec, s[4:5]
.LBB52_135:
	s_or_b64 exec, exec, s[12:13]
	v_mov_b32_e32 v112, 0
	ds_read_b64 v[112:113], v112 offset:304
	s_waitcnt lgkmcnt(0)
	v_mul_f64 v[107:108], v[107:108], v[112:113]
	buffer_store_dword v108, off, s[0:3], 0 offset:308
	buffer_store_dword v107, off, s[0:3], 0 offset:304
.LBB52_136:
	s_or_b64 exec, exec, s[8:9]
	buffer_load_dword v107, off, s[0:3], 0 offset:296
	buffer_load_dword v108, off, s[0:3], 0 offset:300
	v_cmp_lt_u32_e64 s[4:5], 37, v0
	s_waitcnt vmcnt(0)
	ds_write_b64 v110, v[107:108]
	s_waitcnt lgkmcnt(0)
	; wave barrier
	s_and_saveexec_b64 s[8:9], s[4:5]
	s_cbranch_execz .LBB52_146
; %bb.137:
	s_andn2_b64 vcc, exec, s[10:11]
	s_cbranch_vccnz .LBB52_139
; %bb.138:
	buffer_load_dword v107, v111, s[0:3], 0 offen
	buffer_load_dword v108, v111, s[0:3], 0 offen offset:4
	ds_read_b64 v[112:113], v110
	s_waitcnt vmcnt(0) lgkmcnt(0)
	v_mul_f64 v[107:108], v[107:108], v[112:113]
	s_cbranch_execz .LBB52_140
	s_branch .LBB52_141
.LBB52_139:
                                        ; implicit-def: $vgpr107_vgpr108
.LBB52_140:
	ds_read_b64 v[107:108], v110
.LBB52_141:
	s_and_saveexec_b64 s[12:13], s[6:7]
	s_cbranch_execz .LBB52_145
; %bb.142:
	v_subrev_u32_e32 v112, 38, v0
	s_movk_i32 s53, 0x2e0
	s_mov_b64 s[6:7], 0
.LBB52_143:                             ; =>This Inner Loop Header: Depth=1
	v_mov_b32_e32 v114, s52
	buffer_load_dword v113, v114, s[0:3], 0 offen
	s_nop 0
	buffer_load_dword v114, v114, s[0:3], 0 offen offset:4
	v_mov_b32_e32 v115, s53
	ds_read_b64 v[115:116], v115
	v_add_u32_e32 v112, -1, v112
	s_add_i32 s53, s53, 8
	s_add_i32 s52, s52, 8
	v_cmp_eq_u32_e32 vcc, 0, v112
	s_or_b64 s[6:7], vcc, s[6:7]
	s_waitcnt vmcnt(0) lgkmcnt(0)
	v_fma_f64 v[107:108], v[113:114], v[115:116], v[107:108]
	s_andn2_b64 exec, exec, s[6:7]
	s_cbranch_execnz .LBB52_143
; %bb.144:
	s_or_b64 exec, exec, s[6:7]
.LBB52_145:
	s_or_b64 exec, exec, s[12:13]
	v_mov_b32_e32 v112, 0
	ds_read_b64 v[112:113], v112 offset:296
	s_waitcnt lgkmcnt(0)
	v_mul_f64 v[107:108], v[107:108], v[112:113]
	buffer_store_dword v108, off, s[0:3], 0 offset:300
	buffer_store_dword v107, off, s[0:3], 0 offset:296
.LBB52_146:
	s_or_b64 exec, exec, s[8:9]
	buffer_load_dword v107, off, s[0:3], 0 offset:288
	buffer_load_dword v108, off, s[0:3], 0 offset:292
	v_cmp_lt_u32_e64 s[6:7], 36, v0
	s_waitcnt vmcnt(0)
	ds_write_b64 v110, v[107:108]
	s_waitcnt lgkmcnt(0)
	; wave barrier
	s_and_saveexec_b64 s[8:9], s[6:7]
	s_cbranch_execz .LBB52_156
; %bb.147:
	s_andn2_b64 vcc, exec, s[10:11]
	s_cbranch_vccnz .LBB52_149
; %bb.148:
	buffer_load_dword v107, v111, s[0:3], 0 offen
	buffer_load_dword v108, v111, s[0:3], 0 offen offset:4
	ds_read_b64 v[112:113], v110
	s_waitcnt vmcnt(0) lgkmcnt(0)
	v_mul_f64 v[107:108], v[107:108], v[112:113]
	s_cbranch_execz .LBB52_150
	s_branch .LBB52_151
.LBB52_149:
                                        ; implicit-def: $vgpr107_vgpr108
.LBB52_150:
	ds_read_b64 v[107:108], v110
.LBB52_151:
	s_and_saveexec_b64 s[12:13], s[4:5]
	s_cbranch_execz .LBB52_155
; %bb.152:
	v_subrev_u32_e32 v112, 37, v0
	s_movk_i32 s52, 0x2d8
	s_mov_b64 s[4:5], 0
.LBB52_153:                             ; =>This Inner Loop Header: Depth=1
	v_mov_b32_e32 v114, s51
	buffer_load_dword v113, v114, s[0:3], 0 offen
	s_nop 0
	buffer_load_dword v114, v114, s[0:3], 0 offen offset:4
	v_mov_b32_e32 v115, s52
	ds_read_b64 v[115:116], v115
	v_add_u32_e32 v112, -1, v112
	s_add_i32 s52, s52, 8
	s_add_i32 s51, s51, 8
	v_cmp_eq_u32_e32 vcc, 0, v112
	s_or_b64 s[4:5], vcc, s[4:5]
	s_waitcnt vmcnt(0) lgkmcnt(0)
	v_fma_f64 v[107:108], v[113:114], v[115:116], v[107:108]
	s_andn2_b64 exec, exec, s[4:5]
	s_cbranch_execnz .LBB52_153
; %bb.154:
	s_or_b64 exec, exec, s[4:5]
.LBB52_155:
	s_or_b64 exec, exec, s[12:13]
	v_mov_b32_e32 v112, 0
	ds_read_b64 v[112:113], v112 offset:288
	s_waitcnt lgkmcnt(0)
	v_mul_f64 v[107:108], v[107:108], v[112:113]
	buffer_store_dword v108, off, s[0:3], 0 offset:292
	buffer_store_dword v107, off, s[0:3], 0 offset:288
.LBB52_156:
	s_or_b64 exec, exec, s[8:9]
	buffer_load_dword v107, off, s[0:3], 0 offset:280
	buffer_load_dword v108, off, s[0:3], 0 offset:284
	v_cmp_lt_u32_e64 s[4:5], 35, v0
	s_waitcnt vmcnt(0)
	ds_write_b64 v110, v[107:108]
	s_waitcnt lgkmcnt(0)
	; wave barrier
	s_and_saveexec_b64 s[8:9], s[4:5]
	s_cbranch_execz .LBB52_166
; %bb.157:
	s_andn2_b64 vcc, exec, s[10:11]
	s_cbranch_vccnz .LBB52_159
; %bb.158:
	buffer_load_dword v107, v111, s[0:3], 0 offen
	buffer_load_dword v108, v111, s[0:3], 0 offen offset:4
	ds_read_b64 v[112:113], v110
	s_waitcnt vmcnt(0) lgkmcnt(0)
	v_mul_f64 v[107:108], v[107:108], v[112:113]
	s_cbranch_execz .LBB52_160
	s_branch .LBB52_161
.LBB52_159:
                                        ; implicit-def: $vgpr107_vgpr108
.LBB52_160:
	ds_read_b64 v[107:108], v110
.LBB52_161:
	s_and_saveexec_b64 s[12:13], s[6:7]
	s_cbranch_execz .LBB52_165
; %bb.162:
	v_subrev_u32_e32 v112, 36, v0
	s_movk_i32 s51, 0x2d0
	s_mov_b64 s[6:7], 0
.LBB52_163:                             ; =>This Inner Loop Header: Depth=1
	v_mov_b32_e32 v115, s50
	buffer_load_dword v113, v115, s[0:3], 0 offen
	buffer_load_dword v114, v115, s[0:3], 0 offen offset:4
	v_mov_b32_e32 v115, s51
	ds_read_b64 v[115:116], v115
	v_add_u32_e32 v112, -1, v112
	s_add_i32 s51, s51, 8
	s_add_i32 s50, s50, 8
	v_cmp_eq_u32_e32 vcc, 0, v112
	s_or_b64 s[6:7], vcc, s[6:7]
	s_waitcnt vmcnt(0) lgkmcnt(0)
	v_fma_f64 v[107:108], v[113:114], v[115:116], v[107:108]
	s_andn2_b64 exec, exec, s[6:7]
	s_cbranch_execnz .LBB52_163
; %bb.164:
	s_or_b64 exec, exec, s[6:7]
.LBB52_165:
	s_or_b64 exec, exec, s[12:13]
	v_mov_b32_e32 v112, 0
	ds_read_b64 v[112:113], v112 offset:280
	s_waitcnt lgkmcnt(0)
	v_mul_f64 v[107:108], v[107:108], v[112:113]
	buffer_store_dword v108, off, s[0:3], 0 offset:284
	buffer_store_dword v107, off, s[0:3], 0 offset:280
.LBB52_166:
	s_or_b64 exec, exec, s[8:9]
	buffer_load_dword v107, off, s[0:3], 0 offset:272
	buffer_load_dword v108, off, s[0:3], 0 offset:276
	v_cmp_lt_u32_e64 s[6:7], 34, v0
	s_waitcnt vmcnt(0)
	ds_write_b64 v110, v[107:108]
	s_waitcnt lgkmcnt(0)
	; wave barrier
	s_and_saveexec_b64 s[8:9], s[6:7]
	s_cbranch_execz .LBB52_176
; %bb.167:
	s_andn2_b64 vcc, exec, s[10:11]
	s_cbranch_vccnz .LBB52_169
; %bb.168:
	buffer_load_dword v107, v111, s[0:3], 0 offen
	buffer_load_dword v108, v111, s[0:3], 0 offen offset:4
	ds_read_b64 v[112:113], v110
	s_waitcnt vmcnt(0) lgkmcnt(0)
	v_mul_f64 v[107:108], v[107:108], v[112:113]
	s_cbranch_execz .LBB52_170
	s_branch .LBB52_171
.LBB52_169:
                                        ; implicit-def: $vgpr107_vgpr108
.LBB52_170:
	ds_read_b64 v[107:108], v110
.LBB52_171:
	s_and_saveexec_b64 s[12:13], s[4:5]
	s_cbranch_execz .LBB52_175
; %bb.172:
	v_subrev_u32_e32 v112, 35, v0
	s_movk_i32 s50, 0x2c8
	s_mov_b64 s[4:5], 0
.LBB52_173:                             ; =>This Inner Loop Header: Depth=1
	v_mov_b32_e32 v115, s49
	buffer_load_dword v113, v115, s[0:3], 0 offen
	buffer_load_dword v114, v115, s[0:3], 0 offen offset:4
	v_mov_b32_e32 v115, s50
	ds_read_b64 v[115:116], v115
	v_add_u32_e32 v112, -1, v112
	s_add_i32 s50, s50, 8
	s_add_i32 s49, s49, 8
	v_cmp_eq_u32_e32 vcc, 0, v112
	s_or_b64 s[4:5], vcc, s[4:5]
	s_waitcnt vmcnt(0) lgkmcnt(0)
	v_fma_f64 v[107:108], v[113:114], v[115:116], v[107:108]
	s_andn2_b64 exec, exec, s[4:5]
	s_cbranch_execnz .LBB52_173
; %bb.174:
	s_or_b64 exec, exec, s[4:5]
.LBB52_175:
	s_or_b64 exec, exec, s[12:13]
	v_mov_b32_e32 v112, 0
	ds_read_b64 v[112:113], v112 offset:272
	s_waitcnt lgkmcnt(0)
	v_mul_f64 v[107:108], v[107:108], v[112:113]
	buffer_store_dword v108, off, s[0:3], 0 offset:276
	buffer_store_dword v107, off, s[0:3], 0 offset:272
.LBB52_176:
	;; [unrolled: 58-line block ×20, first 2 shown]
	s_or_b64 exec, exec, s[8:9]
	buffer_load_dword v107, off, s[0:3], 0 offset:120
	buffer_load_dword v108, off, s[0:3], 0 offset:124
	v_cmp_lt_u32_e64 s[4:5], 15, v0
	s_waitcnt vmcnt(0)
	ds_write_b64 v110, v[107:108]
	s_waitcnt lgkmcnt(0)
	; wave barrier
	s_and_saveexec_b64 s[8:9], s[4:5]
	s_cbranch_execz .LBB52_366
; %bb.357:
	s_andn2_b64 vcc, exec, s[10:11]
	s_cbranch_vccnz .LBB52_359
; %bb.358:
	buffer_load_dword v107, v111, s[0:3], 0 offen
	buffer_load_dword v108, v111, s[0:3], 0 offen offset:4
	ds_read_b64 v[112:113], v110
	s_waitcnt vmcnt(0) lgkmcnt(0)
	v_mul_f64 v[107:108], v[107:108], v[112:113]
	s_cbranch_execz .LBB52_360
	s_branch .LBB52_361
.LBB52_359:
                                        ; implicit-def: $vgpr107_vgpr108
.LBB52_360:
	ds_read_b64 v[107:108], v110
.LBB52_361:
	s_and_saveexec_b64 s[12:13], s[6:7]
	s_cbranch_execz .LBB52_365
; %bb.362:
	v_add_u32_e32 v112, -16, v0
	s_movk_i32 s30, 0x230
	s_mov_b64 s[6:7], 0
.LBB52_363:                             ; =>This Inner Loop Header: Depth=1
	v_mov_b32_e32 v115, s29
	buffer_load_dword v113, v115, s[0:3], 0 offen
	buffer_load_dword v114, v115, s[0:3], 0 offen offset:4
	v_mov_b32_e32 v115, s30
	ds_read_b64 v[115:116], v115
	v_add_u32_e32 v112, -1, v112
	s_add_i32 s30, s30, 8
	s_add_i32 s29, s29, 8
	v_cmp_eq_u32_e32 vcc, 0, v112
	s_or_b64 s[6:7], vcc, s[6:7]
	s_waitcnt vmcnt(0) lgkmcnt(0)
	v_fma_f64 v[107:108], v[113:114], v[115:116], v[107:108]
	s_andn2_b64 exec, exec, s[6:7]
	s_cbranch_execnz .LBB52_363
; %bb.364:
	s_or_b64 exec, exec, s[6:7]
.LBB52_365:
	s_or_b64 exec, exec, s[12:13]
	v_mov_b32_e32 v112, 0
	ds_read_b64 v[112:113], v112 offset:120
	s_waitcnt lgkmcnt(0)
	v_mul_f64 v[107:108], v[107:108], v[112:113]
	buffer_store_dword v108, off, s[0:3], 0 offset:124
	buffer_store_dword v107, off, s[0:3], 0 offset:120
.LBB52_366:
	s_or_b64 exec, exec, s[8:9]
	buffer_load_dword v107, off, s[0:3], 0 offset:112
	buffer_load_dword v108, off, s[0:3], 0 offset:116
	v_cmp_lt_u32_e64 s[6:7], 14, v0
	s_waitcnt vmcnt(0)
	ds_write_b64 v110, v[107:108]
	s_waitcnt lgkmcnt(0)
	; wave barrier
	s_and_saveexec_b64 s[8:9], s[6:7]
	s_cbranch_execz .LBB52_376
; %bb.367:
	s_andn2_b64 vcc, exec, s[10:11]
	s_cbranch_vccnz .LBB52_369
; %bb.368:
	buffer_load_dword v107, v111, s[0:3], 0 offen
	buffer_load_dword v108, v111, s[0:3], 0 offen offset:4
	ds_read_b64 v[112:113], v110
	s_waitcnt vmcnt(0) lgkmcnt(0)
	v_mul_f64 v[107:108], v[107:108], v[112:113]
	s_cbranch_execz .LBB52_370
	s_branch .LBB52_371
.LBB52_369:
                                        ; implicit-def: $vgpr107_vgpr108
.LBB52_370:
	ds_read_b64 v[107:108], v110
.LBB52_371:
	s_and_saveexec_b64 s[12:13], s[4:5]
	s_cbranch_execz .LBB52_375
; %bb.372:
	v_add_u32_e32 v112, -15, v0
	s_movk_i32 s29, 0x228
	s_mov_b64 s[4:5], 0
.LBB52_373:                             ; =>This Inner Loop Header: Depth=1
	v_mov_b32_e32 v115, s28
	buffer_load_dword v113, v115, s[0:3], 0 offen
	buffer_load_dword v114, v115, s[0:3], 0 offen offset:4
	v_mov_b32_e32 v115, s29
	ds_read_b64 v[115:116], v115
	v_add_u32_e32 v112, -1, v112
	s_add_i32 s29, s29, 8
	s_add_i32 s28, s28, 8
	v_cmp_eq_u32_e32 vcc, 0, v112
	s_or_b64 s[4:5], vcc, s[4:5]
	s_waitcnt vmcnt(0) lgkmcnt(0)
	v_fma_f64 v[107:108], v[113:114], v[115:116], v[107:108]
	s_andn2_b64 exec, exec, s[4:5]
	s_cbranch_execnz .LBB52_373
; %bb.374:
	s_or_b64 exec, exec, s[4:5]
.LBB52_375:
	s_or_b64 exec, exec, s[12:13]
	v_mov_b32_e32 v112, 0
	ds_read_b64 v[112:113], v112 offset:112
	s_waitcnt lgkmcnt(0)
	v_mul_f64 v[107:108], v[107:108], v[112:113]
	buffer_store_dword v108, off, s[0:3], 0 offset:116
	buffer_store_dword v107, off, s[0:3], 0 offset:112
.LBB52_376:
	;; [unrolled: 58-line block ×15, first 2 shown]
	s_or_b64 exec, exec, s[8:9]
	buffer_load_dword v107, off, s[0:3], 0
	buffer_load_dword v108, off, s[0:3], 0 offset:4
	v_cmp_ne_u32_e32 vcc, 0, v0
	s_waitcnt vmcnt(0)
	ds_write_b64 v110, v[107:108]
	s_waitcnt lgkmcnt(0)
	; wave barrier
	s_and_saveexec_b64 s[6:7], vcc
	s_cbranch_execz .LBB52_516
; %bb.507:
	s_andn2_b64 vcc, exec, s[10:11]
	s_cbranch_vccnz .LBB52_509
; %bb.508:
	buffer_load_dword v107, v111, s[0:3], 0 offen
	buffer_load_dword v108, v111, s[0:3], 0 offen offset:4
	ds_read_b64 v[112:113], v110
	s_waitcnt vmcnt(0) lgkmcnt(0)
	v_mul_f64 v[107:108], v[107:108], v[112:113]
	s_cbranch_execz .LBB52_510
	s_branch .LBB52_511
.LBB52_509:
                                        ; implicit-def: $vgpr107_vgpr108
.LBB52_510:
	ds_read_b64 v[107:108], v110
.LBB52_511:
	s_and_saveexec_b64 s[8:9], s[4:5]
	s_cbranch_execz .LBB52_515
; %bb.512:
	v_add_u32_e32 v112, -1, v0
	s_movk_i32 s12, 0x1b8
	s_mov_b64 s[4:5], 0
.LBB52_513:                             ; =>This Inner Loop Header: Depth=1
	v_mov_b32_e32 v115, s14
	buffer_load_dword v113, v115, s[0:3], 0 offen
	buffer_load_dword v114, v115, s[0:3], 0 offen offset:4
	v_mov_b32_e32 v115, s12
	ds_read_b64 v[115:116], v115
	v_add_u32_e32 v112, -1, v112
	s_add_i32 s12, s12, 8
	s_add_i32 s14, s14, 8
	v_cmp_eq_u32_e32 vcc, 0, v112
	s_or_b64 s[4:5], vcc, s[4:5]
	s_waitcnt vmcnt(0) lgkmcnt(0)
	v_fma_f64 v[107:108], v[113:114], v[115:116], v[107:108]
	s_andn2_b64 exec, exec, s[4:5]
	s_cbranch_execnz .LBB52_513
; %bb.514:
	s_or_b64 exec, exec, s[4:5]
.LBB52_515:
	s_or_b64 exec, exec, s[8:9]
	v_mov_b32_e32 v112, 0
	ds_read_b64 v[112:113], v112
	s_waitcnt lgkmcnt(0)
	v_mul_f64 v[107:108], v[107:108], v[112:113]
	buffer_store_dword v108, off, s[0:3], 0 offset:4
	buffer_store_dword v107, off, s[0:3], 0
.LBB52_516:
	s_or_b64 exec, exec, s[6:7]
	s_mov_b64 s[4:5], 0
.LBB52_517:
	s_and_b64 vcc, exec, s[4:5]
	s_cbranch_vccz .LBB52_1029
; %bb.518:
	buffer_load_dword v107, off, s[0:3], 0 offset:8
	buffer_load_dword v108, off, s[0:3], 0 offset:12
	v_cmp_eq_u32_e64 s[6:7], 0, v0
	s_waitcnt vmcnt(0)
	ds_write_b64 v110, v[107:108]
	s_waitcnt lgkmcnt(0)
	; wave barrier
	s_and_saveexec_b64 s[4:5], s[6:7]
	s_cbranch_execz .LBB52_524
; %bb.519:
	s_and_b64 vcc, exec, s[10:11]
	s_cbranch_vccz .LBB52_521
; %bb.520:
	buffer_load_dword v107, v111, s[0:3], 0 offen
	buffer_load_dword v108, v111, s[0:3], 0 offen offset:4
	ds_read_b64 v[112:113], v110
	s_waitcnt vmcnt(0) lgkmcnt(0)
	v_mul_f64 v[107:108], v[107:108], v[112:113]
	s_cbranch_execz .LBB52_522
	s_branch .LBB52_523
.LBB52_521:
                                        ; implicit-def: $vgpr107_vgpr108
.LBB52_522:
	ds_read_b64 v[107:108], v110
.LBB52_523:
	v_mov_b32_e32 v112, 0
	ds_read_b64 v[112:113], v112 offset:8
	s_waitcnt lgkmcnt(0)
	v_mul_f64 v[107:108], v[107:108], v[112:113]
	buffer_store_dword v108, off, s[0:3], 0 offset:12
	buffer_store_dword v107, off, s[0:3], 0 offset:8
.LBB52_524:
	s_or_b64 exec, exec, s[4:5]
	buffer_load_dword v107, off, s[0:3], 0 offset:16
	buffer_load_dword v108, off, s[0:3], 0 offset:20
	v_cndmask_b32_e64 v112, 0, 1, s[10:11]
	v_cmp_gt_u32_e32 vcc, 2, v0
	v_cmp_ne_u32_e64 s[4:5], 1, v112
	s_waitcnt vmcnt(0)
	ds_write_b64 v110, v[107:108]
	s_waitcnt lgkmcnt(0)
	; wave barrier
	s_and_saveexec_b64 s[8:9], vcc
	s_cbranch_execz .LBB52_530
; %bb.525:
	s_and_b64 vcc, exec, s[4:5]
	s_cbranch_vccnz .LBB52_527
; %bb.526:
	buffer_load_dword v107, v111, s[0:3], 0 offen
	buffer_load_dword v108, v111, s[0:3], 0 offen offset:4
	ds_read_b64 v[112:113], v110
	s_waitcnt vmcnt(0) lgkmcnt(0)
	v_mul_f64 v[107:108], v[107:108], v[112:113]
	s_cbranch_execz .LBB52_528
	s_branch .LBB52_529
.LBB52_527:
                                        ; implicit-def: $vgpr107_vgpr108
.LBB52_528:
	ds_read_b64 v[107:108], v110
.LBB52_529:
	buffer_load_dword v116, off, s[0:3], 0 offset:8
	buffer_load_dword v117, off, s[0:3], 0 offset:12
	v_mov_b32_e32 v112, 0
	ds_read2_b64 v[112:115], v112 offset0:2 offset1:55
	s_waitcnt vmcnt(0) lgkmcnt(0)
	v_fma_f64 v[114:115], v[116:117], v[114:115], v[107:108]
	v_cndmask_b32_e64 v108, v108, v115, s[6:7]
	v_cndmask_b32_e64 v107, v107, v114, s[6:7]
	v_mul_f64 v[107:108], v[107:108], v[112:113]
	buffer_store_dword v108, off, s[0:3], 0 offset:20
	buffer_store_dword v107, off, s[0:3], 0 offset:16
.LBB52_530:
	s_or_b64 exec, exec, s[8:9]
	buffer_load_dword v107, off, s[0:3], 0 offset:24
	buffer_load_dword v108, off, s[0:3], 0 offset:28
	v_cmp_gt_u32_e32 vcc, 3, v0
	s_waitcnt vmcnt(0)
	ds_write_b64 v110, v[107:108]
	s_waitcnt lgkmcnt(0)
	; wave barrier
	s_and_saveexec_b64 s[8:9], vcc
	s_cbranch_execz .LBB52_538
; %bb.531:
	s_and_b64 vcc, exec, s[4:5]
	s_cbranch_vccnz .LBB52_533
; %bb.532:
	buffer_load_dword v107, v111, s[0:3], 0 offen
	buffer_load_dword v108, v111, s[0:3], 0 offen offset:4
	ds_read_b64 v[112:113], v110
	s_waitcnt vmcnt(0) lgkmcnt(0)
	v_mul_f64 v[107:108], v[107:108], v[112:113]
	s_cbranch_execz .LBB52_534
	s_branch .LBB52_535
.LBB52_533:
                                        ; implicit-def: $vgpr107_vgpr108
.LBB52_534:
	ds_read_b64 v[107:108], v110
.LBB52_535:
	v_cmp_ne_u32_e32 vcc, 2, v0
	s_and_saveexec_b64 s[10:11], vcc
	s_cbranch_execz .LBB52_537
; %bb.536:
	buffer_load_dword v112, v111, s[0:3], 0 offen offset:8
	buffer_load_dword v113, v111, s[0:3], 0 offen offset:12
	buffer_load_dword v114, off, s[0:3], 0 offset:16
	buffer_load_dword v115, off, s[0:3], 0 offset:20
	ds_read_b64 v[116:117], v110 offset:8
	v_mov_b32_e32 v118, 0
	ds_read_b64 v[118:119], v118 offset:448
	s_waitcnt vmcnt(2) lgkmcnt(1)
	v_fma_f64 v[107:108], v[112:113], v[116:117], v[107:108]
	s_waitcnt vmcnt(0) lgkmcnt(0)
	v_fma_f64 v[112:113], v[114:115], v[118:119], v[107:108]
	v_cndmask_b32_e64 v108, v108, v113, s[6:7]
	v_cndmask_b32_e64 v107, v107, v112, s[6:7]
.LBB52_537:
	s_or_b64 exec, exec, s[10:11]
	v_mov_b32_e32 v112, 0
	ds_read_b64 v[112:113], v112 offset:24
	s_waitcnt lgkmcnt(0)
	v_mul_f64 v[107:108], v[107:108], v[112:113]
	buffer_store_dword v108, off, s[0:3], 0 offset:28
	buffer_store_dword v107, off, s[0:3], 0 offset:24
.LBB52_538:
	s_or_b64 exec, exec, s[8:9]
	buffer_load_dword v107, off, s[0:3], 0 offset:32
	buffer_load_dword v108, off, s[0:3], 0 offset:36
	v_cmp_gt_u32_e32 vcc, 4, v0
	s_waitcnt vmcnt(0)
	ds_write_b64 v110, v[107:108]
	s_waitcnt lgkmcnt(0)
	; wave barrier
	s_and_saveexec_b64 s[6:7], vcc
	s_cbranch_execz .LBB52_548
; %bb.539:
	s_and_b64 vcc, exec, s[4:5]
	s_cbranch_vccnz .LBB52_541
; %bb.540:
	buffer_load_dword v107, v111, s[0:3], 0 offen
	buffer_load_dword v108, v111, s[0:3], 0 offen offset:4
	ds_read_b64 v[112:113], v110
	s_waitcnt vmcnt(0) lgkmcnt(0)
	v_mul_f64 v[107:108], v[107:108], v[112:113]
	s_cbranch_execz .LBB52_542
	s_branch .LBB52_543
.LBB52_541:
                                        ; implicit-def: $vgpr107_vgpr108
.LBB52_542:
	ds_read_b64 v[107:108], v110
.LBB52_543:
	v_cmp_ne_u32_e32 vcc, 3, v0
	s_and_saveexec_b64 s[8:9], vcc
	s_cbranch_execz .LBB52_547
; %bb.544:
	s_mov_b32 s10, 0
	v_add_u32_e32 v112, 0x1b8, v109
	v_add3_u32 v113, v109, s10, 8
	s_mov_b64 s[10:11], 0
	v_mov_b32_e32 v114, v0
.LBB52_545:                             ; =>This Inner Loop Header: Depth=1
	buffer_load_dword v115, v113, s[0:3], 0 offen
	buffer_load_dword v116, v113, s[0:3], 0 offen offset:4
	ds_read_b64 v[117:118], v112
	v_add_u32_e32 v114, 1, v114
	v_cmp_lt_u32_e32 vcc, 2, v114
	v_add_u32_e32 v112, 8, v112
	s_or_b64 s[10:11], vcc, s[10:11]
	v_add_u32_e32 v113, 8, v113
	s_waitcnt vmcnt(0) lgkmcnt(0)
	v_fma_f64 v[107:108], v[115:116], v[117:118], v[107:108]
	s_andn2_b64 exec, exec, s[10:11]
	s_cbranch_execnz .LBB52_545
; %bb.546:
	s_or_b64 exec, exec, s[10:11]
.LBB52_547:
	s_or_b64 exec, exec, s[8:9]
	v_mov_b32_e32 v112, 0
	ds_read_b64 v[112:113], v112 offset:32
	s_waitcnt lgkmcnt(0)
	v_mul_f64 v[107:108], v[107:108], v[112:113]
	buffer_store_dword v108, off, s[0:3], 0 offset:36
	buffer_store_dword v107, off, s[0:3], 0 offset:32
.LBB52_548:
	s_or_b64 exec, exec, s[6:7]
	buffer_load_dword v107, off, s[0:3], 0 offset:40
	buffer_load_dword v108, off, s[0:3], 0 offset:44
	v_cmp_gt_u32_e32 vcc, 5, v0
	s_waitcnt vmcnt(0)
	ds_write_b64 v110, v[107:108]
	s_waitcnt lgkmcnt(0)
	; wave barrier
	s_and_saveexec_b64 s[6:7], vcc
	s_cbranch_execz .LBB52_558
; %bb.549:
	s_and_b64 vcc, exec, s[4:5]
	s_cbranch_vccnz .LBB52_551
; %bb.550:
	buffer_load_dword v107, v111, s[0:3], 0 offen
	buffer_load_dword v108, v111, s[0:3], 0 offen offset:4
	ds_read_b64 v[112:113], v110
	s_waitcnt vmcnt(0) lgkmcnt(0)
	v_mul_f64 v[107:108], v[107:108], v[112:113]
	s_cbranch_execz .LBB52_552
	s_branch .LBB52_553
.LBB52_551:
                                        ; implicit-def: $vgpr107_vgpr108
.LBB52_552:
	ds_read_b64 v[107:108], v110
.LBB52_553:
	v_cmp_ne_u32_e32 vcc, 4, v0
	s_and_saveexec_b64 s[8:9], vcc
	s_cbranch_execz .LBB52_557
; %bb.554:
	s_mov_b32 s10, 0
	v_add_u32_e32 v112, 0x1b8, v109
	v_add3_u32 v113, v109, s10, 8
	s_mov_b64 s[10:11], 0
	v_mov_b32_e32 v114, v0
.LBB52_555:                             ; =>This Inner Loop Header: Depth=1
	buffer_load_dword v115, v113, s[0:3], 0 offen
	buffer_load_dword v116, v113, s[0:3], 0 offen offset:4
	ds_read_b64 v[117:118], v112
	v_add_u32_e32 v114, 1, v114
	v_cmp_lt_u32_e32 vcc, 3, v114
	v_add_u32_e32 v112, 8, v112
	s_or_b64 s[10:11], vcc, s[10:11]
	v_add_u32_e32 v113, 8, v113
	s_waitcnt vmcnt(0) lgkmcnt(0)
	v_fma_f64 v[107:108], v[115:116], v[117:118], v[107:108]
	s_andn2_b64 exec, exec, s[10:11]
	s_cbranch_execnz .LBB52_555
; %bb.556:
	s_or_b64 exec, exec, s[10:11]
.LBB52_557:
	s_or_b64 exec, exec, s[8:9]
	v_mov_b32_e32 v112, 0
	ds_read_b64 v[112:113], v112 offset:40
	s_waitcnt lgkmcnt(0)
	v_mul_f64 v[107:108], v[107:108], v[112:113]
	buffer_store_dword v108, off, s[0:3], 0 offset:44
	buffer_store_dword v107, off, s[0:3], 0 offset:40
.LBB52_558:
	;; [unrolled: 59-line block ×46, first 2 shown]
	s_or_b64 exec, exec, s[6:7]
	buffer_load_dword v107, off, s[0:3], 0 offset:400
	buffer_load_dword v108, off, s[0:3], 0 offset:404
	v_cmp_gt_u32_e32 vcc, 50, v0
	s_waitcnt vmcnt(0)
	ds_write_b64 v110, v[107:108]
	s_waitcnt lgkmcnt(0)
	; wave barrier
	s_and_saveexec_b64 s[6:7], vcc
	s_cbranch_execz .LBB52_1008
; %bb.999:
	s_and_b64 vcc, exec, s[4:5]
	s_cbranch_vccnz .LBB52_1001
; %bb.1000:
	buffer_load_dword v107, v111, s[0:3], 0 offen
	buffer_load_dword v108, v111, s[0:3], 0 offen offset:4
	ds_read_b64 v[112:113], v110
	s_waitcnt vmcnt(0) lgkmcnt(0)
	v_mul_f64 v[107:108], v[107:108], v[112:113]
	s_cbranch_execz .LBB52_1002
	s_branch .LBB52_1003
.LBB52_1001:
                                        ; implicit-def: $vgpr107_vgpr108
.LBB52_1002:
	ds_read_b64 v[107:108], v110
.LBB52_1003:
	v_cmp_ne_u32_e32 vcc, 49, v0
	s_and_saveexec_b64 s[8:9], vcc
	s_cbranch_execz .LBB52_1007
; %bb.1004:
	s_mov_b32 s10, 0
	v_add_u32_e32 v112, 0x1b8, v109
	v_add3_u32 v113, v109, s10, 8
	s_mov_b64 s[10:11], 0
	v_mov_b32_e32 v114, v0
.LBB52_1005:                            ; =>This Inner Loop Header: Depth=1
	buffer_load_dword v115, v113, s[0:3], 0 offen
	buffer_load_dword v116, v113, s[0:3], 0 offen offset:4
	ds_read_b64 v[117:118], v112
	v_add_u32_e32 v114, 1, v114
	v_cmp_lt_u32_e32 vcc, 48, v114
	v_add_u32_e32 v112, 8, v112
	s_or_b64 s[10:11], vcc, s[10:11]
	v_add_u32_e32 v113, 8, v113
	s_waitcnt vmcnt(0) lgkmcnt(0)
	v_fma_f64 v[107:108], v[115:116], v[117:118], v[107:108]
	s_andn2_b64 exec, exec, s[10:11]
	s_cbranch_execnz .LBB52_1005
; %bb.1006:
	s_or_b64 exec, exec, s[10:11]
.LBB52_1007:
	s_or_b64 exec, exec, s[8:9]
	v_mov_b32_e32 v112, 0
	ds_read_b64 v[112:113], v112 offset:400
	s_waitcnt lgkmcnt(0)
	v_mul_f64 v[107:108], v[107:108], v[112:113]
	buffer_store_dword v108, off, s[0:3], 0 offset:404
	buffer_store_dword v107, off, s[0:3], 0 offset:400
.LBB52_1008:
	s_or_b64 exec, exec, s[6:7]
	buffer_load_dword v107, off, s[0:3], 0 offset:408
	buffer_load_dword v108, off, s[0:3], 0 offset:412
	v_cmp_gt_u32_e64 s[6:7], 51, v0
	s_waitcnt vmcnt(0)
	ds_write_b64 v110, v[107:108]
	s_waitcnt lgkmcnt(0)
	; wave barrier
	s_and_saveexec_b64 s[8:9], s[6:7]
	s_cbranch_execz .LBB52_1018
; %bb.1009:
	s_and_b64 vcc, exec, s[4:5]
	s_cbranch_vccnz .LBB52_1011
; %bb.1010:
	buffer_load_dword v107, v111, s[0:3], 0 offen
	buffer_load_dword v108, v111, s[0:3], 0 offen offset:4
	ds_read_b64 v[112:113], v110
	s_waitcnt vmcnt(0) lgkmcnt(0)
	v_mul_f64 v[107:108], v[107:108], v[112:113]
	s_cbranch_execz .LBB52_1012
	s_branch .LBB52_1013
.LBB52_1011:
                                        ; implicit-def: $vgpr107_vgpr108
.LBB52_1012:
	ds_read_b64 v[107:108], v110
.LBB52_1013:
	v_cmp_ne_u32_e32 vcc, 50, v0
	s_and_saveexec_b64 s[10:11], vcc
	s_cbranch_execz .LBB52_1017
; %bb.1014:
	s_mov_b32 s12, 0
	v_add_u32_e32 v112, 0x1b8, v109
	v_add3_u32 v113, v109, s12, 8
	s_mov_b64 s[12:13], 0
	v_mov_b32_e32 v114, v0
.LBB52_1015:                            ; =>This Inner Loop Header: Depth=1
	buffer_load_dword v115, v113, s[0:3], 0 offen
	buffer_load_dword v116, v113, s[0:3], 0 offen offset:4
	ds_read_b64 v[117:118], v112
	v_add_u32_e32 v114, 1, v114
	v_cmp_lt_u32_e32 vcc, 49, v114
	v_add_u32_e32 v112, 8, v112
	s_or_b64 s[12:13], vcc, s[12:13]
	v_add_u32_e32 v113, 8, v113
	s_waitcnt vmcnt(0) lgkmcnt(0)
	v_fma_f64 v[107:108], v[115:116], v[117:118], v[107:108]
	s_andn2_b64 exec, exec, s[12:13]
	s_cbranch_execnz .LBB52_1015
; %bb.1016:
	s_or_b64 exec, exec, s[12:13]
.LBB52_1017:
	s_or_b64 exec, exec, s[10:11]
	v_mov_b32_e32 v112, 0
	ds_read_b64 v[112:113], v112 offset:408
	s_waitcnt lgkmcnt(0)
	v_mul_f64 v[107:108], v[107:108], v[112:113]
	buffer_store_dword v108, off, s[0:3], 0 offset:412
	buffer_store_dword v107, off, s[0:3], 0 offset:408
.LBB52_1018:
	s_or_b64 exec, exec, s[8:9]
	buffer_load_dword v107, off, s[0:3], 0 offset:416
	buffer_load_dword v108, off, s[0:3], 0 offset:420
	v_cmp_ne_u32_e32 vcc, 52, v0
	s_waitcnt vmcnt(0)
	ds_write_b64 v110, v[107:108]
	s_waitcnt lgkmcnt(0)
	; wave barrier
	s_and_saveexec_b64 s[8:9], vcc
	s_cbranch_execz .LBB52_1028
; %bb.1019:
	s_and_b64 vcc, exec, s[4:5]
	s_cbranch_vccnz .LBB52_1021
; %bb.1020:
	buffer_load_dword v107, v111, s[0:3], 0 offen
	buffer_load_dword v108, v111, s[0:3], 0 offen offset:4
	ds_read_b64 v[111:112], v110
	s_waitcnt vmcnt(0) lgkmcnt(0)
	v_mul_f64 v[107:108], v[107:108], v[111:112]
	s_cbranch_execz .LBB52_1022
	s_branch .LBB52_1023
.LBB52_1021:
                                        ; implicit-def: $vgpr107_vgpr108
.LBB52_1022:
	ds_read_b64 v[107:108], v110
.LBB52_1023:
	s_and_saveexec_b64 s[4:5], s[6:7]
	s_cbranch_execz .LBB52_1027
; %bb.1024:
	s_mov_b32 s6, 0
	v_add_u32_e32 v110, 0x1b8, v109
	v_add3_u32 v109, v109, s6, 8
	s_mov_b64 s[6:7], 0
.LBB52_1025:                            ; =>This Inner Loop Header: Depth=1
	buffer_load_dword v111, v109, s[0:3], 0 offen
	buffer_load_dword v112, v109, s[0:3], 0 offen offset:4
	ds_read_b64 v[113:114], v110
	v_add_u32_e32 v0, 1, v0
	v_cmp_lt_u32_e32 vcc, 50, v0
	v_add_u32_e32 v110, 8, v110
	s_or_b64 s[6:7], vcc, s[6:7]
	v_add_u32_e32 v109, 8, v109
	s_waitcnt vmcnt(0) lgkmcnt(0)
	v_fma_f64 v[107:108], v[111:112], v[113:114], v[107:108]
	s_andn2_b64 exec, exec, s[6:7]
	s_cbranch_execnz .LBB52_1025
; %bb.1026:
	s_or_b64 exec, exec, s[6:7]
.LBB52_1027:
	s_or_b64 exec, exec, s[4:5]
	v_mov_b32_e32 v0, 0
	ds_read_b64 v[109:110], v0 offset:416
	s_waitcnt lgkmcnt(0)
	v_mul_f64 v[107:108], v[107:108], v[109:110]
	buffer_store_dword v108, off, s[0:3], 0 offset:420
	buffer_store_dword v107, off, s[0:3], 0 offset:416
.LBB52_1028:
	s_or_b64 exec, exec, s[8:9]
.LBB52_1029:
	buffer_load_dword v107, off, s[0:3], 0
	buffer_load_dword v108, off, s[0:3], 0 offset:4
	buffer_load_dword v109, off, s[0:3], 0 offset:8
	;; [unrolled: 1-line block ×15, first 2 shown]
	s_waitcnt vmcnt(14)
	global_store_dwordx2 v[103:104], v[107:108], off
	s_waitcnt vmcnt(13)
	global_store_dwordx2 v[105:106], v[109:110], off
	buffer_load_dword v104, off, s[0:3], 0 offset:68
	s_nop 0
	buffer_load_dword v105, off, s[0:3], 0 offset:72
	buffer_load_dword v106, off, s[0:3], 0 offset:76
	;; [unrolled: 1-line block ×7, first 2 shown]
	s_waitcnt vmcnt(20)
	global_store_dwordx2 v[1:2], v[111:112], off
	s_waitcnt vmcnt(19)
	global_store_dwordx2 v[7:8], v[113:114], off
	buffer_load_dword v0, off, s[0:3], 0 offset:96
	buffer_load_dword v1, off, s[0:3], 0 offset:100
	s_nop 0
	buffer_load_dword v7, off, s[0:3], 0 offset:104
	buffer_load_dword v8, off, s[0:3], 0 offset:108
	;; [unrolled: 1-line block ×6, first 2 shown]
	s_waitcnt vmcnt(26)
	global_store_dwordx2 v[3:4], v[115:116], off
	s_waitcnt vmcnt(25)
	global_store_dwordx2 v[13:14], v[117:118], off
	buffer_load_dword v2, off, s[0:3], 0 offset:128
	buffer_load_dword v3, off, s[0:3], 0 offset:132
	s_nop 0
	buffer_load_dword v13, off, s[0:3], 0 offset:136
	buffer_load_dword v14, off, s[0:3], 0 offset:140
	;; [unrolled: 1-line block ×6, first 2 shown]
	s_waitcnt vmcnt(32)
	global_store_dwordx2 v[5:6], v[119:120], off
	buffer_load_dword v4, off, s[0:3], 0 offset:160
	s_nop 0
	buffer_load_dword v5, off, s[0:3], 0 offset:164
	buffer_load_dword v119, off, s[0:3], 0 offset:168
	;; [unrolled: 1-line block ×3, first 2 shown]
	s_waitcnt vmcnt(35)
	global_store_dwordx2 v[9:10], v[121:122], off
	buffer_load_dword v9, off, s[0:3], 0 offset:176
	s_nop 0
	buffer_load_dword v10, off, s[0:3], 0 offset:180
	buffer_load_dword v121, off, s[0:3], 0 offset:184
	buffer_load_dword v122, off, s[0:3], 0 offset:188
	s_waitcnt vmcnt(30)
	global_store_dwordx2 v[11:12], v[103:104], off
	global_store_dwordx2 v[17:18], v[105:106], off
	buffer_load_dword v11, off, s[0:3], 0 offset:192
	s_nop 0
	buffer_load_dword v12, off, s[0:3], 0 offset:196
	buffer_load_dword v17, off, s[0:3], 0 offset:200
	;; [unrolled: 1-line block ×7, first 2 shown]
	s_nop 0
	global_store_dwordx2 v[15:16], v[107:108], off
	global_store_dwordx2 v[19:20], v[109:110], off
	s_waitcnt vmcnt(38)
	global_store_dwordx2 v[21:22], v[0:1], off
	s_waitcnt vmcnt(37)
	;; [unrolled: 2-line block ×10, first 2 shown]
	global_store_dwordx2 v[55:56], v[119:120], off
	buffer_load_dword v0, off, s[0:3], 0 offset:224
	buffer_load_dword v1, off, s[0:3], 0 offset:228
	;; [unrolled: 1-line block ×50, first 2 shown]
	s_waitcnt vmcnt(62)
	global_store_dwordx2 v[25:26], v[9:10], off
	global_store_dwordx2 v[29:30], v[121:122], off
	;; [unrolled: 1-line block ×6, first 2 shown]
	s_waitcnt vmcnt(54)
	global_store_dwordx2 v[49:50], v[0:1], off
	s_waitcnt vmcnt(53)
	global_store_dwordx2 v[53:54], v[2:3], off
	;; [unrolled: 2-line block ×25, first 2 shown]
.LBB52_1030:
	s_endpgm
	.section	.rodata,"a",@progbits
	.p2align	6, 0x0
	.amdhsa_kernel _ZN9rocsolver6v33100L18trti2_kernel_smallILi53EdPdEEv13rocblas_fill_17rocblas_diagonal_T1_iil
		.amdhsa_group_segment_fixed_size 856
		.amdhsa_private_segment_fixed_size 432
		.amdhsa_kernarg_size 32
		.amdhsa_user_sgpr_count 6
		.amdhsa_user_sgpr_private_segment_buffer 1
		.amdhsa_user_sgpr_dispatch_ptr 0
		.amdhsa_user_sgpr_queue_ptr 0
		.amdhsa_user_sgpr_kernarg_segment_ptr 1
		.amdhsa_user_sgpr_dispatch_id 0
		.amdhsa_user_sgpr_flat_scratch_init 0
		.amdhsa_user_sgpr_private_segment_size 0
		.amdhsa_uses_dynamic_stack 0
		.amdhsa_system_sgpr_private_segment_wavefront_offset 1
		.amdhsa_system_sgpr_workgroup_id_x 1
		.amdhsa_system_sgpr_workgroup_id_y 0
		.amdhsa_system_sgpr_workgroup_id_z 0
		.amdhsa_system_sgpr_workgroup_info 0
		.amdhsa_system_vgpr_workitem_id 0
		.amdhsa_next_free_vgpr 125
		.amdhsa_next_free_sgpr 66
		.amdhsa_reserve_vcc 1
		.amdhsa_reserve_flat_scratch 0
		.amdhsa_float_round_mode_32 0
		.amdhsa_float_round_mode_16_64 0
		.amdhsa_float_denorm_mode_32 3
		.amdhsa_float_denorm_mode_16_64 3
		.amdhsa_dx10_clamp 1
		.amdhsa_ieee_mode 1
		.amdhsa_fp16_overflow 0
		.amdhsa_exception_fp_ieee_invalid_op 0
		.amdhsa_exception_fp_denorm_src 0
		.amdhsa_exception_fp_ieee_div_zero 0
		.amdhsa_exception_fp_ieee_overflow 0
		.amdhsa_exception_fp_ieee_underflow 0
		.amdhsa_exception_fp_ieee_inexact 0
		.amdhsa_exception_int_div_zero 0
	.end_amdhsa_kernel
	.section	.text._ZN9rocsolver6v33100L18trti2_kernel_smallILi53EdPdEEv13rocblas_fill_17rocblas_diagonal_T1_iil,"axG",@progbits,_ZN9rocsolver6v33100L18trti2_kernel_smallILi53EdPdEEv13rocblas_fill_17rocblas_diagonal_T1_iil,comdat
.Lfunc_end52:
	.size	_ZN9rocsolver6v33100L18trti2_kernel_smallILi53EdPdEEv13rocblas_fill_17rocblas_diagonal_T1_iil, .Lfunc_end52-_ZN9rocsolver6v33100L18trti2_kernel_smallILi53EdPdEEv13rocblas_fill_17rocblas_diagonal_T1_iil
                                        ; -- End function
	.set _ZN9rocsolver6v33100L18trti2_kernel_smallILi53EdPdEEv13rocblas_fill_17rocblas_diagonal_T1_iil.num_vgpr, 125
	.set _ZN9rocsolver6v33100L18trti2_kernel_smallILi53EdPdEEv13rocblas_fill_17rocblas_diagonal_T1_iil.num_agpr, 0
	.set _ZN9rocsolver6v33100L18trti2_kernel_smallILi53EdPdEEv13rocblas_fill_17rocblas_diagonal_T1_iil.numbered_sgpr, 66
	.set _ZN9rocsolver6v33100L18trti2_kernel_smallILi53EdPdEEv13rocblas_fill_17rocblas_diagonal_T1_iil.num_named_barrier, 0
	.set _ZN9rocsolver6v33100L18trti2_kernel_smallILi53EdPdEEv13rocblas_fill_17rocblas_diagonal_T1_iil.private_seg_size, 432
	.set _ZN9rocsolver6v33100L18trti2_kernel_smallILi53EdPdEEv13rocblas_fill_17rocblas_diagonal_T1_iil.uses_vcc, 1
	.set _ZN9rocsolver6v33100L18trti2_kernel_smallILi53EdPdEEv13rocblas_fill_17rocblas_diagonal_T1_iil.uses_flat_scratch, 0
	.set _ZN9rocsolver6v33100L18trti2_kernel_smallILi53EdPdEEv13rocblas_fill_17rocblas_diagonal_T1_iil.has_dyn_sized_stack, 0
	.set _ZN9rocsolver6v33100L18trti2_kernel_smallILi53EdPdEEv13rocblas_fill_17rocblas_diagonal_T1_iil.has_recursion, 0
	.set _ZN9rocsolver6v33100L18trti2_kernel_smallILi53EdPdEEv13rocblas_fill_17rocblas_diagonal_T1_iil.has_indirect_call, 0
	.section	.AMDGPU.csdata,"",@progbits
; Kernel info:
; codeLenInByte = 31264
; TotalNumSgprs: 70
; NumVgprs: 125
; ScratchSize: 432
; MemoryBound: 0
; FloatMode: 240
; IeeeMode: 1
; LDSByteSize: 856 bytes/workgroup (compile time only)
; SGPRBlocks: 8
; VGPRBlocks: 31
; NumSGPRsForWavesPerEU: 70
; NumVGPRsForWavesPerEU: 125
; Occupancy: 2
; WaveLimiterHint : 0
; COMPUTE_PGM_RSRC2:SCRATCH_EN: 1
; COMPUTE_PGM_RSRC2:USER_SGPR: 6
; COMPUTE_PGM_RSRC2:TRAP_HANDLER: 0
; COMPUTE_PGM_RSRC2:TGID_X_EN: 1
; COMPUTE_PGM_RSRC2:TGID_Y_EN: 0
; COMPUTE_PGM_RSRC2:TGID_Z_EN: 0
; COMPUTE_PGM_RSRC2:TIDIG_COMP_CNT: 0
	.section	.text._ZN9rocsolver6v33100L18trti2_kernel_smallILi54EdPdEEv13rocblas_fill_17rocblas_diagonal_T1_iil,"axG",@progbits,_ZN9rocsolver6v33100L18trti2_kernel_smallILi54EdPdEEv13rocblas_fill_17rocblas_diagonal_T1_iil,comdat
	.globl	_ZN9rocsolver6v33100L18trti2_kernel_smallILi54EdPdEEv13rocblas_fill_17rocblas_diagonal_T1_iil ; -- Begin function _ZN9rocsolver6v33100L18trti2_kernel_smallILi54EdPdEEv13rocblas_fill_17rocblas_diagonal_T1_iil
	.p2align	8
	.type	_ZN9rocsolver6v33100L18trti2_kernel_smallILi54EdPdEEv13rocblas_fill_17rocblas_diagonal_T1_iil,@function
_ZN9rocsolver6v33100L18trti2_kernel_smallILi54EdPdEEv13rocblas_fill_17rocblas_diagonal_T1_iil: ; @_ZN9rocsolver6v33100L18trti2_kernel_smallILi54EdPdEEv13rocblas_fill_17rocblas_diagonal_T1_iil
; %bb.0:
	s_add_u32 s0, s0, s7
	s_addc_u32 s1, s1, 0
	v_cmp_gt_u32_e32 vcc, 54, v0
	s_and_saveexec_b64 s[8:9], vcc
	s_cbranch_execz .LBB53_1050
; %bb.1:
	s_load_dwordx8 s[8:15], s[4:5], 0x0
	s_ashr_i32 s7, s6, 31
	v_lshlrev_b32_e32 v111, 3, v0
	s_waitcnt lgkmcnt(0)
	s_ashr_i32 s5, s12, 31
	s_mov_b32 s4, s12
	s_mul_hi_u32 s12, s14, s6
	s_mul_i32 s7, s14, s7
	s_add_i32 s7, s12, s7
	s_mul_i32 s12, s15, s6
	s_add_i32 s7, s7, s12
	s_mul_i32 s6, s14, s6
	s_lshl_b64 s[6:7], s[6:7], 3
	s_add_u32 s6, s10, s6
	s_addc_u32 s7, s11, s7
	s_lshl_b64 s[4:5], s[4:5], 3
	s_add_u32 s4, s6, s4
	s_addc_u32 s5, s7, s5
	s_add_i32 s6, s13, s13
	v_add_u32_e32 v3, s6, v0
	v_ashrrev_i32_e32 v4, 31, v3
	v_lshlrev_b64 v[1:2], 3, v[3:4]
	v_mov_b32_e32 v4, s5
	v_add_co_u32_e32 v1, vcc, s4, v1
	v_add_u32_e32 v3, s13, v3
	v_addc_co_u32_e32 v2, vcc, v4, v2, vcc
	v_ashrrev_i32_e32 v4, 31, v3
	v_lshlrev_b64 v[4:5], 3, v[3:4]
	v_mov_b32_e32 v6, s5
	v_add_co_u32_e32 v7, vcc, s4, v4
	v_addc_co_u32_e32 v8, vcc, v6, v5, vcc
	v_add_u32_e32 v5, s13, v3
	v_ashrrev_i32_e32 v6, 31, v5
	v_lshlrev_b64 v[3:4], 3, v[5:6]
	v_mov_b32_e32 v6, s5
	v_add_co_u32_e32 v3, vcc, s4, v3
	v_add_u32_e32 v5, s13, v5
	v_addc_co_u32_e32 v4, vcc, v6, v4, vcc
	v_ashrrev_i32_e32 v6, 31, v5
	v_lshlrev_b64 v[9:10], 3, v[5:6]
	v_mov_b32_e32 v6, s5
	v_add_co_u32_e32 v11, vcc, s4, v9
	v_add_u32_e32 v9, s13, v5
	v_addc_co_u32_e32 v12, vcc, v6, v10, vcc
	;; [unrolled: 6-line block ×3, first 2 shown]
	v_ashrrev_i32_e32 v10, 31, v9
	v_lshlrev_b64 v[13:14], 3, v[9:10]
	v_add_u32_e32 v15, s13, v9
	v_mov_b32_e32 v10, s5
	v_add_co_u32_e32 v13, vcc, s4, v13
	v_ashrrev_i32_e32 v16, 31, v15
	v_addc_co_u32_e32 v14, vcc, v10, v14, vcc
	v_lshlrev_b64 v[9:10], 3, v[15:16]
	v_mov_b32_e32 v16, s5
	v_add_co_u32_e32 v9, vcc, s4, v9
	v_add_u32_e32 v15, s13, v15
	v_addc_co_u32_e32 v10, vcc, v16, v10, vcc
	v_ashrrev_i32_e32 v16, 31, v15
	v_lshlrev_b64 v[17:18], 3, v[15:16]
	v_add_u32_e32 v19, s13, v15
	v_mov_b32_e32 v16, s5
	v_add_co_u32_e32 v17, vcc, s4, v17
	v_ashrrev_i32_e32 v20, 31, v19
	v_addc_co_u32_e32 v18, vcc, v16, v18, vcc
	v_lshlrev_b64 v[15:16], 3, v[19:20]
	v_mov_b32_e32 v21, s5
	v_add_co_u32_e32 v15, vcc, s4, v15
	v_addc_co_u32_e32 v16, vcc, v21, v16, vcc
	v_add_u32_e32 v21, s13, v19
	v_ashrrev_i32_e32 v22, 31, v21
	v_lshlrev_b64 v[19:20], 3, v[21:22]
	v_mov_b32_e32 v23, s5
	v_add_co_u32_e32 v19, vcc, s4, v19
	v_addc_co_u32_e32 v20, vcc, v23, v20, vcc
	v_add_u32_e32 v23, s13, v21
	v_ashrrev_i32_e32 v24, 31, v23
	;; [unrolled: 6-line block ×3, first 2 shown]
	v_lshlrev_b64 v[23:24], 3, v[25:26]
	v_add_u32_e32 v25, s13, v25
	v_mov_b32_e32 v27, s5
	v_add_co_u32_e32 v23, vcc, s4, v23
	v_ashrrev_i32_e32 v26, 31, v25
	v_addc_co_u32_e32 v24, vcc, v27, v24, vcc
	v_lshlrev_b64 v[27:28], 3, v[25:26]
	v_add_u32_e32 v25, s13, v25
	v_mov_b32_e32 v29, s5
	v_add_co_u32_e32 v27, vcc, s4, v27
	v_ashrrev_i32_e32 v26, 31, v25
	v_addc_co_u32_e32 v28, vcc, v29, v28, vcc
	;; [unrolled: 6-line block ×4, first 2 shown]
	v_lshlrev_b64 v[29:30], 3, v[25:26]
	v_add_u32_e32 v25, s13, v25
	v_add_co_u32_e32 v39, vcc, s4, v29
	v_ashrrev_i32_e32 v26, 31, v25
	v_addc_co_u32_e32 v40, vcc, v33, v30, vcc
	v_lshlrev_b64 v[29:30], 3, v[25:26]
	v_add_u32_e32 v25, s13, v25
	v_add_co_u32_e32 v43, vcc, s4, v29
	v_ashrrev_i32_e32 v26, 31, v25
	v_addc_co_u32_e32 v44, vcc, v33, v30, vcc
	;; [unrolled: 5-line block ×5, first 2 shown]
	v_lshlrev_b64 v[29:30], 3, v[25:26]
	v_mov_b32_e32 v37, s5
	v_add_co_u32_e32 v59, vcc, s4, v29
	v_add_u32_e32 v29, s13, v25
	v_addc_co_u32_e32 v60, vcc, v33, v30, vcc
	v_ashrrev_i32_e32 v30, 31, v29
	v_lshlrev_b64 v[25:26], 3, v[29:30]
	v_mov_b32_e32 v41, s5
	v_add_co_u32_e32 v25, vcc, s4, v25
	v_addc_co_u32_e32 v26, vcc, v33, v26, vcc
	v_add_u32_e32 v33, s13, v29
	v_ashrrev_i32_e32 v34, 31, v33
	v_lshlrev_b64 v[29:30], 3, v[33:34]
	v_mov_b32_e32 v45, s5
	v_add_co_u32_e32 v29, vcc, s4, v29
	v_addc_co_u32_e32 v30, vcc, v37, v30, vcc
	v_add_u32_e32 v37, s13, v33
	;; [unrolled: 6-line block ×20, first 2 shown]
	v_ashrrev_i32_e32 v86, 31, v85
	v_lshlrev_b64 v[83:84], 3, v[85:86]
	s_ashr_i32 s7, s13, 31
	v_add_co_u32_e32 v83, vcc, s4, v83
	v_addc_co_u32_e32 v84, vcc, v87, v84, vcc
	v_add_u32_e32 v87, s13, v85
	v_ashrrev_i32_e32 v88, 31, v87
	v_lshlrev_b64 v[85:86], 3, v[87:88]
	s_mov_b32 s6, s13
	v_add_co_u32_e32 v85, vcc, s4, v85
	v_addc_co_u32_e32 v86, vcc, v89, v86, vcc
	v_add_u32_e32 v89, s13, v87
	v_ashrrev_i32_e32 v90, 31, v89
	v_lshlrev_b64 v[87:88], 3, v[89:90]
	v_mov_b32_e32 v90, s5
	v_add_co_u32_e32 v105, vcc, s4, v111
	v_addc_co_u32_e32 v106, vcc, 0, v90, vcc
	s_lshl_b64 s[6:7], s[6:7], 3
	v_mov_b32_e32 v90, s7
	v_add_co_u32_e32 v107, vcc, s6, v105
	global_load_dwordx2 v[109:110], v111, s[4:5]
	global_load_dwordx2 v[114:115], v[1:2], off
	global_load_dwordx2 v[116:117], v[7:8], off
	;; [unrolled: 1-line block ×3, first 2 shown]
	v_addc_co_u32_e32 v108, vcc, v106, v90, vcc
	global_load_dwordx2 v[112:113], v[107:108], off
	global_load_dwordx2 v[122:123], v[11:12], off
	v_mov_b32_e32 v91, s5
	v_add_co_u32_e32 v87, vcc, s4, v87
	v_addc_co_u32_e32 v88, vcc, v91, v88, vcc
	v_add_u32_e32 v91, s13, v89
	v_ashrrev_i32_e32 v92, 31, v91
	v_lshlrev_b64 v[89:90], 3, v[91:92]
	v_mov_b32_e32 v93, s5
	v_add_co_u32_e32 v89, vcc, s4, v89
	v_addc_co_u32_e32 v90, vcc, v93, v90, vcc
	v_add_u32_e32 v93, s13, v91
	v_ashrrev_i32_e32 v94, 31, v93
	v_lshlrev_b64 v[91:92], 3, v[93:94]
	;; [unrolled: 6-line block ×7, first 2 shown]
	v_add_u32_e32 v103, s13, v103
	v_ashrrev_i32_e32 v104, 31, v103
	v_mov_b32_e32 v120, s5
	v_add_co_u32_e32 v101, vcc, s4, v101
	v_lshlrev_b64 v[103:104], 3, v[103:104]
	v_addc_co_u32_e32 v102, vcc, v120, v102, vcc
	v_add_co_u32_e32 v103, vcc, s4, v103
	v_addc_co_u32_e32 v104, vcc, v120, v104, vcc
	global_load_dwordx2 v[120:121], v[103:104], off
	s_cmpk_lg_i32 s9, 0x84
	s_cselect_b64 s[10:11], -1, 0
	s_cmpk_eq_i32 s9, 0x84
	s_waitcnt vmcnt(6)
	buffer_store_dword v110, off, s[0:3], 0 offset:4
	buffer_store_dword v109, off, s[0:3], 0
	global_load_dwordx2 v[109:110], v[5:6], off
	s_waitcnt vmcnt(5)
	buffer_store_dword v113, off, s[0:3], 0 offset:12
	buffer_store_dword v112, off, s[0:3], 0 offset:8
	global_load_dwordx2 v[112:113], v[13:14], off
	s_nop 0
	buffer_store_dword v115, off, s[0:3], 0 offset:20
	buffer_store_dword v114, off, s[0:3], 0 offset:16
	global_load_dwordx2 v[114:115], v[9:10], off
	s_nop 0
	;; [unrolled: 4-line block ×3, first 2 shown]
	buffer_store_dword v119, off, s[0:3], 0 offset:36
	buffer_store_dword v118, off, s[0:3], 0 offset:32
	global_load_dwordx2 v[118:119], v[15:16], off
	s_waitcnt vmcnt(16)
	buffer_store_dword v123, off, s[0:3], 0 offset:44
	buffer_store_dword v122, off, s[0:3], 0 offset:40
	s_waitcnt vmcnt(14)
	buffer_store_dword v110, off, s[0:3], 0 offset:52
	global_load_dwordx2 v[122:123], v[19:20], off
	s_nop 0
	buffer_store_dword v109, off, s[0:3], 0 offset:48
	global_load_dwordx2 v[109:110], v[21:22], off
	s_waitcnt vmcnt(15)
	buffer_store_dword v113, off, s[0:3], 0 offset:60
	buffer_store_dword v112, off, s[0:3], 0 offset:56
	global_load_dwordx2 v[112:113], v[23:24], off
	s_waitcnt vmcnt(15)
	buffer_store_dword v115, off, s[0:3], 0 offset:68
	buffer_store_dword v114, off, s[0:3], 0 offset:64
	global_load_dwordx2 v[114:115], v[27:28], off
	s_waitcnt vmcnt(15)
	buffer_store_dword v116, off, s[0:3], 0 offset:72
	buffer_store_dword v117, off, s[0:3], 0 offset:76
	global_load_dwordx2 v[116:117], v[31:32], off
	s_waitcnt vmcnt(15)
	buffer_store_dword v118, off, s[0:3], 0 offset:80
	buffer_store_dword v119, off, s[0:3], 0 offset:84
	global_load_dwordx2 v[118:119], v[35:36], off
	s_waitcnt vmcnt(14)
	buffer_store_dword v122, off, s[0:3], 0 offset:88
	buffer_store_dword v123, off, s[0:3], 0 offset:92
	s_waitcnt vmcnt(14)
	buffer_store_dword v109, off, s[0:3], 0 offset:96
	global_load_dwordx2 v[122:123], v[39:40], off
	s_nop 0
	buffer_store_dword v110, off, s[0:3], 0 offset:100
	global_load_dwordx2 v[109:110], v[43:44], off
	s_waitcnt vmcnt(15)
	buffer_store_dword v112, off, s[0:3], 0 offset:104
	buffer_store_dword v113, off, s[0:3], 0 offset:108
	global_load_dwordx2 v[112:113], v[47:48], off
	s_waitcnt vmcnt(15)
	buffer_store_dword v115, off, s[0:3], 0 offset:116
	buffer_store_dword v114, off, s[0:3], 0 offset:112
	global_load_dwordx2 v[114:115], v[51:52], off
	s_waitcnt vmcnt(15)
	buffer_store_dword v116, off, s[0:3], 0 offset:120
	buffer_store_dword v117, off, s[0:3], 0 offset:124
	global_load_dwordx2 v[116:117], v[55:56], off
	s_waitcnt vmcnt(15)
	;; [unrolled: 25-line block ×4, first 2 shown]
	buffer_store_dword v118, off, s[0:3], 0 offset:224
	buffer_store_dword v119, off, s[0:3], 0 offset:228
	global_load_dwordx2 v[118:119], v[65:66], off
	s_waitcnt vmcnt(14)
	buffer_store_dword v122, off, s[0:3], 0 offset:232
	buffer_store_dword v123, off, s[0:3], 0 offset:236
	s_waitcnt vmcnt(14)
	buffer_store_dword v109, off, s[0:3], 0 offset:240
	buffer_store_dword v110, off, s[0:3], 0 offset:244
	global_load_dwordx2 v[109:110], v[67:68], off
	s_nop 0
	global_load_dwordx2 v[122:123], v[69:70], off
	s_waitcnt vmcnt(15)
	buffer_store_dword v113, off, s[0:3], 0 offset:252
	buffer_store_dword v112, off, s[0:3], 0 offset:248
	global_load_dwordx2 v[112:113], v[71:72], off
	s_waitcnt vmcnt(15)
	buffer_store_dword v115, off, s[0:3], 0 offset:260
	buffer_store_dword v114, off, s[0:3], 0 offset:256
	global_load_dwordx2 v[114:115], v[73:74], off
	s_waitcnt vmcnt(15)
	buffer_store_dword v116, off, s[0:3], 0 offset:264
	buffer_store_dword v117, off, s[0:3], 0 offset:268
	global_load_dwordx2 v[116:117], v[75:76], off
	s_waitcnt vmcnt(15)
	buffer_store_dword v118, off, s[0:3], 0 offset:272
	buffer_store_dword v119, off, s[0:3], 0 offset:276
	global_load_dwordx2 v[118:119], v[77:78], off
	s_waitcnt vmcnt(13)
	buffer_store_dword v109, off, s[0:3], 0 offset:280
	buffer_store_dword v110, off, s[0:3], 0 offset:284
	s_waitcnt vmcnt(14)
	buffer_store_dword v122, off, s[0:3], 0 offset:288
	buffer_store_dword v123, off, s[0:3], 0 offset:292
	s_waitcnt vmcnt(13)
	buffer_store_dword v113, off, s[0:3], 0 offset:300
	global_load_dwordx2 v[109:110], v[79:80], off
	global_load_dwordx2 v[122:123], v[83:84], off
	s_nop 0
	buffer_store_dword v112, off, s[0:3], 0 offset:296
	global_load_dwordx2 v[112:113], v[81:82], off
	s_waitcnt vmcnt(15)
	buffer_store_dword v115, off, s[0:3], 0 offset:308
	buffer_store_dword v114, off, s[0:3], 0 offset:304
	global_load_dwordx2 v[114:115], v[85:86], off
	s_waitcnt vmcnt(15)
	buffer_store_dword v116, off, s[0:3], 0 offset:312
	buffer_store_dword v117, off, s[0:3], 0 offset:316
	global_load_dwordx2 v[116:117], v[87:88], off
	s_waitcnt vmcnt(15)
	buffer_store_dword v118, off, s[0:3], 0 offset:320
	buffer_store_dword v119, off, s[0:3], 0 offset:324
	global_load_dwordx2 v[118:119], v[89:90], off
	s_waitcnt vmcnt(12)
	buffer_store_dword v109, off, s[0:3], 0 offset:328
	buffer_store_dword v110, off, s[0:3], 0 offset:332
	s_waitcnt vmcnt(11)
	buffer_store_dword v112, off, s[0:3], 0 offset:336
	buffer_store_dword v113, off, s[0:3], 0 offset:340
	;; [unrolled: 1-line block ×4, first 2 shown]
	s_waitcnt vmcnt(12)
	buffer_store_dword v115, off, s[0:3], 0 offset:356
	global_load_dwordx2 v[109:110], v[91:92], off
	global_load_dwordx2 v[112:113], v[93:94], off
	;; [unrolled: 1-line block ×3, first 2 shown]
	s_nop 0
	buffer_store_dword v114, off, s[0:3], 0 offset:352
	global_load_dwordx2 v[114:115], v[95:96], off
	s_waitcnt vmcnt(15)
	buffer_store_dword v116, off, s[0:3], 0 offset:360
	buffer_store_dword v117, off, s[0:3], 0 offset:364
	global_load_dwordx2 v[116:117], v[97:98], off
	s_waitcnt vmcnt(15)
	buffer_store_dword v118, off, s[0:3], 0 offset:368
	;; [unrolled: 4-line block ×3, first 2 shown]
	buffer_store_dword v110, off, s[0:3], 0 offset:380
	s_waitcnt vmcnt(11)
	buffer_store_dword v112, off, s[0:3], 0 offset:384
	buffer_store_dword v113, off, s[0:3], 0 offset:388
	s_waitcnt vmcnt(10)
	buffer_store_dword v115, off, s[0:3], 0 offset:396
	;; [unrolled: 3-line block ×3, first 2 shown]
	buffer_store_dword v116, off, s[0:3], 0 offset:400
	buffer_store_dword v122, off, s[0:3], 0 offset:408
	;; [unrolled: 1-line block ×3, first 2 shown]
	s_waitcnt vmcnt(10)
	buffer_store_dword v118, off, s[0:3], 0 offset:416
	buffer_store_dword v119, off, s[0:3], 0 offset:420
	;; [unrolled: 1-line block ×3, first 2 shown]
	v_mov_b32_e32 v109, 0
	v_mov_b32_e32 v110, 0xbff00000
	buffer_store_dword v121, off, s[0:3], 0 offset:428
	s_cbranch_scc1 .LBB53_3
; %bb.2:
	v_mov_b32_e32 v109, 0
	v_lshl_add_u32 v120, v0, 3, v109
	buffer_load_dword v109, v120, s[0:3], 0 offen
	buffer_load_dword v110, v120, s[0:3], 0 offen offset:4
	s_waitcnt vmcnt(0)
	v_div_scale_f64 v[112:113], s[4:5], v[109:110], v[109:110], 1.0
	v_rcp_f64_e32 v[114:115], v[112:113]
	v_fma_f64 v[116:117], -v[112:113], v[114:115], 1.0
	v_fma_f64 v[114:115], v[114:115], v[116:117], v[114:115]
	v_div_scale_f64 v[116:117], vcc, 1.0, v[109:110], 1.0
	v_fma_f64 v[118:119], -v[112:113], v[114:115], 1.0
	v_fma_f64 v[114:115], v[114:115], v[118:119], v[114:115]
	v_mul_f64 v[118:119], v[116:117], v[114:115]
	v_fma_f64 v[112:113], -v[112:113], v[118:119], v[116:117]
	v_div_fmas_f64 v[112:113], v[112:113], v[114:115], v[118:119]
	v_div_fixup_f64 v[109:110], v[112:113], v[109:110], 1.0
	buffer_store_dword v109, v120, s[0:3], 0 offen
	buffer_store_dword v110, v120, s[0:3], 0 offen offset:4
	v_xor_b32_e32 v110, 0x80000000, v110
.LBB53_3:
	s_cmpk_eq_i32 s8, 0x79
	v_add_u32_e32 v112, 0x1b0, v111
	v_mov_b32_e32 v113, v111
	s_mov_b64 s[4:5], -1
	ds_write_b64 v111, v[109:110]
	s_cbranch_scc1 .LBB53_527
; %bb.4:
	buffer_load_dword v109, off, s[0:3], 0 offset:416
	buffer_load_dword v110, off, s[0:3], 0 offset:420
	s_movk_i32 s12, 0x48
	s_movk_i32 s13, 0x50
	;; [unrolled: 1-line block ×43, first 2 shown]
	v_cmp_eq_u32_e64 s[4:5], 53, v0
	s_waitcnt vmcnt(0)
	ds_write_b64 v112, v[109:110]
	s_waitcnt lgkmcnt(0)
	; wave barrier
	s_and_saveexec_b64 s[6:7], s[4:5]
	s_cbranch_execz .LBB53_10
; %bb.5:
	s_and_b64 vcc, exec, s[10:11]
	s_cbranch_vccz .LBB53_7
; %bb.6:
	buffer_load_dword v109, v113, s[0:3], 0 offen
	buffer_load_dword v110, v113, s[0:3], 0 offen offset:4
	ds_read_b64 v[114:115], v112
	s_waitcnt vmcnt(0) lgkmcnt(0)
	v_mul_f64 v[109:110], v[109:110], v[114:115]
	s_cbranch_execz .LBB53_8
	s_branch .LBB53_9
.LBB53_7:
                                        ; implicit-def: $vgpr109_vgpr110
.LBB53_8:
	ds_read_b64 v[109:110], v112
.LBB53_9:
	v_mov_b32_e32 v114, 0
	ds_read_b64 v[114:115], v114 offset:416
	s_waitcnt lgkmcnt(0)
	v_mul_f64 v[109:110], v[109:110], v[114:115]
	buffer_store_dword v110, off, s[0:3], 0 offset:420
	buffer_store_dword v109, off, s[0:3], 0 offset:416
.LBB53_10:
	s_or_b64 exec, exec, s[6:7]
	buffer_load_dword v109, off, s[0:3], 0 offset:408
	buffer_load_dword v110, off, s[0:3], 0 offset:412
	s_or_b32 s14, 0, 8
	s_mov_b32 s15, 16
	s_mov_b32 s16, 24
	;; [unrolled: 1-line block ×9, first 2 shown]
	v_cmp_lt_u32_e64 s[6:7], 51, v0
	s_waitcnt vmcnt(0)
	ds_write_b64 v112, v[109:110]
	s_waitcnt lgkmcnt(0)
	; wave barrier
	s_and_saveexec_b64 s[8:9], s[6:7]
	s_cbranch_execz .LBB53_16
; %bb.11:
	s_andn2_b64 vcc, exec, s[10:11]
	s_cbranch_vccnz .LBB53_13
; %bb.12:
	buffer_load_dword v109, v113, s[0:3], 0 offen
	buffer_load_dword v110, v113, s[0:3], 0 offen offset:4
	ds_read_b64 v[114:115], v112
	s_waitcnt vmcnt(0) lgkmcnt(0)
	v_mul_f64 v[109:110], v[109:110], v[114:115]
	s_cbranch_execz .LBB53_14
	s_branch .LBB53_15
.LBB53_13:
                                        ; implicit-def: $vgpr109_vgpr110
.LBB53_14:
	ds_read_b64 v[109:110], v112
.LBB53_15:
	buffer_load_dword v118, off, s[0:3], 0 offset:416
	buffer_load_dword v119, off, s[0:3], 0 offset:420
	v_mov_b32_e32 v114, 0
	ds_read2_b64 v[114:117], v114 offset0:51 offset1:106
	s_waitcnt vmcnt(0) lgkmcnt(0)
	v_fma_f64 v[116:117], v[118:119], v[116:117], v[109:110]
	v_cndmask_b32_e64 v110, v110, v117, s[4:5]
	v_cndmask_b32_e64 v109, v109, v116, s[4:5]
	v_mul_f64 v[109:110], v[109:110], v[114:115]
	buffer_store_dword v110, off, s[0:3], 0 offset:412
	buffer_store_dword v109, off, s[0:3], 0 offset:408
.LBB53_16:
	s_or_b64 exec, exec, s[8:9]
	buffer_load_dword v109, off, s[0:3], 0 offset:400
	buffer_load_dword v110, off, s[0:3], 0 offset:404
	v_cmp_lt_u32_e64 s[4:5], 50, v0
	s_waitcnt vmcnt(0)
	ds_write_b64 v112, v[109:110]
	s_waitcnt lgkmcnt(0)
	; wave barrier
	s_and_saveexec_b64 s[8:9], s[4:5]
	s_cbranch_execz .LBB53_26
; %bb.17:
	s_andn2_b64 vcc, exec, s[10:11]
	s_cbranch_vccnz .LBB53_19
; %bb.18:
	buffer_load_dword v109, v113, s[0:3], 0 offen
	buffer_load_dword v110, v113, s[0:3], 0 offen offset:4
	ds_read_b64 v[114:115], v112
	s_waitcnt vmcnt(0) lgkmcnt(0)
	v_mul_f64 v[109:110], v[109:110], v[114:115]
	s_cbranch_execz .LBB53_20
	s_branch .LBB53_21
.LBB53_19:
                                        ; implicit-def: $vgpr109_vgpr110
.LBB53_20:
	ds_read_b64 v[109:110], v112
.LBB53_21:
	s_and_saveexec_b64 s[12:13], s[6:7]
	s_cbranch_execz .LBB53_25
; %bb.22:
	v_subrev_u32_e32 v114, 51, v0
	s_movk_i32 s66, 0x348
	s_mov_b64 s[6:7], 0
.LBB53_23:                              ; =>This Inner Loop Header: Depth=1
	v_mov_b32_e32 v116, s65
	buffer_load_dword v115, v116, s[0:3], 0 offen
	s_nop 0
	buffer_load_dword v116, v116, s[0:3], 0 offen offset:4
	v_mov_b32_e32 v117, s66
	ds_read_b64 v[117:118], v117
	v_add_u32_e32 v114, -1, v114
	s_add_i32 s66, s66, 8
	s_add_i32 s65, s65, 8
	v_cmp_eq_u32_e32 vcc, 0, v114
	s_or_b64 s[6:7], vcc, s[6:7]
	s_waitcnt vmcnt(0) lgkmcnt(0)
	v_fma_f64 v[109:110], v[115:116], v[117:118], v[109:110]
	s_andn2_b64 exec, exec, s[6:7]
	s_cbranch_execnz .LBB53_23
; %bb.24:
	s_or_b64 exec, exec, s[6:7]
.LBB53_25:
	s_or_b64 exec, exec, s[12:13]
	v_mov_b32_e32 v114, 0
	ds_read_b64 v[114:115], v114 offset:400
	s_waitcnt lgkmcnt(0)
	v_mul_f64 v[109:110], v[109:110], v[114:115]
	buffer_store_dword v110, off, s[0:3], 0 offset:404
	buffer_store_dword v109, off, s[0:3], 0 offset:400
.LBB53_26:
	s_or_b64 exec, exec, s[8:9]
	buffer_load_dword v109, off, s[0:3], 0 offset:392
	buffer_load_dword v110, off, s[0:3], 0 offset:396
	v_cmp_lt_u32_e64 s[6:7], 49, v0
	s_waitcnt vmcnt(0)
	ds_write_b64 v112, v[109:110]
	s_waitcnt lgkmcnt(0)
	; wave barrier
	s_and_saveexec_b64 s[8:9], s[6:7]
	s_cbranch_execz .LBB53_36
; %bb.27:
	s_andn2_b64 vcc, exec, s[10:11]
	s_cbranch_vccnz .LBB53_29
; %bb.28:
	buffer_load_dword v109, v113, s[0:3], 0 offen
	buffer_load_dword v110, v113, s[0:3], 0 offen offset:4
	ds_read_b64 v[114:115], v112
	s_waitcnt vmcnt(0) lgkmcnt(0)
	v_mul_f64 v[109:110], v[109:110], v[114:115]
	s_cbranch_execz .LBB53_30
	s_branch .LBB53_31
.LBB53_29:
                                        ; implicit-def: $vgpr109_vgpr110
.LBB53_30:
	ds_read_b64 v[109:110], v112
.LBB53_31:
	s_and_saveexec_b64 s[12:13], s[4:5]
	s_cbranch_execz .LBB53_35
; %bb.32:
	v_subrev_u32_e32 v114, 50, v0
	s_movk_i32 s65, 0x340
	s_mov_b64 s[4:5], 0
.LBB53_33:                              ; =>This Inner Loop Header: Depth=1
	v_mov_b32_e32 v116, s64
	buffer_load_dword v115, v116, s[0:3], 0 offen
	s_nop 0
	buffer_load_dword v116, v116, s[0:3], 0 offen offset:4
	v_mov_b32_e32 v117, s65
	ds_read_b64 v[117:118], v117
	v_add_u32_e32 v114, -1, v114
	s_add_i32 s65, s65, 8
	s_add_i32 s64, s64, 8
	v_cmp_eq_u32_e32 vcc, 0, v114
	s_or_b64 s[4:5], vcc, s[4:5]
	s_waitcnt vmcnt(0) lgkmcnt(0)
	v_fma_f64 v[109:110], v[115:116], v[117:118], v[109:110]
	s_andn2_b64 exec, exec, s[4:5]
	s_cbranch_execnz .LBB53_33
; %bb.34:
	s_or_b64 exec, exec, s[4:5]
.LBB53_35:
	s_or_b64 exec, exec, s[12:13]
	v_mov_b32_e32 v114, 0
	ds_read_b64 v[114:115], v114 offset:392
	s_waitcnt lgkmcnt(0)
	v_mul_f64 v[109:110], v[109:110], v[114:115]
	buffer_store_dword v110, off, s[0:3], 0 offset:396
	buffer_store_dword v109, off, s[0:3], 0 offset:392
.LBB53_36:
	;; [unrolled: 59-line block ×8, first 2 shown]
	s_or_b64 exec, exec, s[8:9]
	buffer_load_dword v109, off, s[0:3], 0 offset:336
	buffer_load_dword v110, off, s[0:3], 0 offset:340
	v_cmp_lt_u32_e64 s[4:5], 42, v0
	s_waitcnt vmcnt(0)
	ds_write_b64 v112, v[109:110]
	s_waitcnt lgkmcnt(0)
	; wave barrier
	s_and_saveexec_b64 s[8:9], s[4:5]
	s_cbranch_execz .LBB53_106
; %bb.97:
	s_andn2_b64 vcc, exec, s[10:11]
	s_cbranch_vccnz .LBB53_99
; %bb.98:
	buffer_load_dword v109, v113, s[0:3], 0 offen
	buffer_load_dword v110, v113, s[0:3], 0 offen offset:4
	ds_read_b64 v[114:115], v112
	s_waitcnt vmcnt(0) lgkmcnt(0)
	v_mul_f64 v[109:110], v[109:110], v[114:115]
	s_cbranch_execz .LBB53_100
	s_branch .LBB53_101
.LBB53_99:
                                        ; implicit-def: $vgpr109_vgpr110
.LBB53_100:
	ds_read_b64 v[109:110], v112
.LBB53_101:
	s_and_saveexec_b64 s[12:13], s[6:7]
	s_cbranch_execz .LBB53_105
; %bb.102:
	v_subrev_u32_e32 v114, 43, v0
	s_movk_i32 s58, 0x308
	s_mov_b64 s[6:7], 0
.LBB53_103:                             ; =>This Inner Loop Header: Depth=1
	v_mov_b32_e32 v116, s57
	buffer_load_dword v115, v116, s[0:3], 0 offen
	s_nop 0
	buffer_load_dword v116, v116, s[0:3], 0 offen offset:4
	v_mov_b32_e32 v117, s58
	ds_read_b64 v[117:118], v117
	v_add_u32_e32 v114, -1, v114
	s_add_i32 s58, s58, 8
	s_add_i32 s57, s57, 8
	v_cmp_eq_u32_e32 vcc, 0, v114
	s_or_b64 s[6:7], vcc, s[6:7]
	s_waitcnt vmcnt(0) lgkmcnt(0)
	v_fma_f64 v[109:110], v[115:116], v[117:118], v[109:110]
	s_andn2_b64 exec, exec, s[6:7]
	s_cbranch_execnz .LBB53_103
; %bb.104:
	s_or_b64 exec, exec, s[6:7]
.LBB53_105:
	s_or_b64 exec, exec, s[12:13]
	v_mov_b32_e32 v114, 0
	ds_read_b64 v[114:115], v114 offset:336
	s_waitcnt lgkmcnt(0)
	v_mul_f64 v[109:110], v[109:110], v[114:115]
	buffer_store_dword v110, off, s[0:3], 0 offset:340
	buffer_store_dword v109, off, s[0:3], 0 offset:336
.LBB53_106:
	s_or_b64 exec, exec, s[8:9]
	buffer_load_dword v109, off, s[0:3], 0 offset:328
	buffer_load_dword v110, off, s[0:3], 0 offset:332
	v_cmp_lt_u32_e64 s[6:7], 41, v0
	s_waitcnt vmcnt(0)
	ds_write_b64 v112, v[109:110]
	s_waitcnt lgkmcnt(0)
	; wave barrier
	s_and_saveexec_b64 s[8:9], s[6:7]
	s_cbranch_execz .LBB53_116
; %bb.107:
	s_andn2_b64 vcc, exec, s[10:11]
	s_cbranch_vccnz .LBB53_109
; %bb.108:
	buffer_load_dword v109, v113, s[0:3], 0 offen
	buffer_load_dword v110, v113, s[0:3], 0 offen offset:4
	ds_read_b64 v[114:115], v112
	s_waitcnt vmcnt(0) lgkmcnt(0)
	v_mul_f64 v[109:110], v[109:110], v[114:115]
	s_cbranch_execz .LBB53_110
	s_branch .LBB53_111
.LBB53_109:
                                        ; implicit-def: $vgpr109_vgpr110
.LBB53_110:
	ds_read_b64 v[109:110], v112
.LBB53_111:
	s_and_saveexec_b64 s[12:13], s[4:5]
	s_cbranch_execz .LBB53_115
; %bb.112:
	v_subrev_u32_e32 v114, 42, v0
	s_movk_i32 s57, 0x300
	s_mov_b64 s[4:5], 0
.LBB53_113:                             ; =>This Inner Loop Header: Depth=1
	v_mov_b32_e32 v116, s56
	buffer_load_dword v115, v116, s[0:3], 0 offen
	s_nop 0
	buffer_load_dword v116, v116, s[0:3], 0 offen offset:4
	v_mov_b32_e32 v117, s57
	ds_read_b64 v[117:118], v117
	v_add_u32_e32 v114, -1, v114
	s_add_i32 s57, s57, 8
	s_add_i32 s56, s56, 8
	v_cmp_eq_u32_e32 vcc, 0, v114
	s_or_b64 s[4:5], vcc, s[4:5]
	s_waitcnt vmcnt(0) lgkmcnt(0)
	v_fma_f64 v[109:110], v[115:116], v[117:118], v[109:110]
	s_andn2_b64 exec, exec, s[4:5]
	s_cbranch_execnz .LBB53_113
; %bb.114:
	s_or_b64 exec, exec, s[4:5]
.LBB53_115:
	s_or_b64 exec, exec, s[12:13]
	v_mov_b32_e32 v114, 0
	ds_read_b64 v[114:115], v114 offset:328
	s_waitcnt lgkmcnt(0)
	v_mul_f64 v[109:110], v[109:110], v[114:115]
	buffer_store_dword v110, off, s[0:3], 0 offset:332
	buffer_store_dword v109, off, s[0:3], 0 offset:328
.LBB53_116:
	;; [unrolled: 59-line block ×7, first 2 shown]
	s_or_b64 exec, exec, s[4:5]
	buffer_load_dword v109, off, s[0:3], 0 offset:280
	buffer_load_dword v110, off, s[0:3], 0 offset:284
	v_cmp_lt_u32_e64 s[4:5], 35, v0
	s_waitcnt vmcnt(0)
	ds_write_b64 v112, v[109:110]
	s_waitcnt lgkmcnt(0)
	; wave barrier
	s_and_saveexec_b64 s[6:7], s[4:5]
	s_cbranch_execz .LBB53_176
; %bb.167:
	s_andn2_b64 vcc, exec, s[10:11]
	s_cbranch_vccnz .LBB53_169
; %bb.168:
	buffer_load_dword v109, v113, s[0:3], 0 offen
	buffer_load_dword v110, v113, s[0:3], 0 offen offset:4
	ds_read_b64 v[114:115], v112
	s_waitcnt vmcnt(0) lgkmcnt(0)
	v_mul_f64 v[109:110], v[109:110], v[114:115]
	s_cbranch_execz .LBB53_170
	s_branch .LBB53_171
.LBB53_169:
                                        ; implicit-def: $vgpr109_vgpr110
.LBB53_170:
	ds_read_b64 v[109:110], v112
.LBB53_171:
	s_and_saveexec_b64 s[12:13], s[8:9]
	s_cbranch_execz .LBB53_175
; %bb.172:
	v_subrev_u32_e32 v114, 36, v0
	s_movk_i32 s51, 0x2d0
	s_mov_b64 s[8:9], 0
.LBB53_173:                             ; =>This Inner Loop Header: Depth=1
	v_mov_b32_e32 v117, s50
	buffer_load_dword v115, v117, s[0:3], 0 offen
	buffer_load_dword v116, v117, s[0:3], 0 offen offset:4
	v_mov_b32_e32 v117, s51
	ds_read_b64 v[117:118], v117
	v_add_u32_e32 v114, -1, v114
	s_add_i32 s51, s51, 8
	s_add_i32 s50, s50, 8
	v_cmp_eq_u32_e32 vcc, 0, v114
	s_or_b64 s[8:9], vcc, s[8:9]
	s_waitcnt vmcnt(0) lgkmcnt(0)
	v_fma_f64 v[109:110], v[115:116], v[117:118], v[109:110]
	s_andn2_b64 exec, exec, s[8:9]
	s_cbranch_execnz .LBB53_173
; %bb.174:
	s_or_b64 exec, exec, s[8:9]
.LBB53_175:
	s_or_b64 exec, exec, s[12:13]
	v_mov_b32_e32 v114, 0
	ds_read_b64 v[114:115], v114 offset:280
	s_waitcnt lgkmcnt(0)
	v_mul_f64 v[109:110], v[109:110], v[114:115]
	buffer_store_dword v110, off, s[0:3], 0 offset:284
	buffer_store_dword v109, off, s[0:3], 0 offset:280
.LBB53_176:
	s_or_b64 exec, exec, s[6:7]
	buffer_load_dword v109, off, s[0:3], 0 offset:272
	buffer_load_dword v110, off, s[0:3], 0 offset:276
	v_cmp_lt_u32_e64 s[6:7], 34, v0
	s_waitcnt vmcnt(0)
	ds_write_b64 v112, v[109:110]
	s_waitcnt lgkmcnt(0)
	; wave barrier
	s_and_saveexec_b64 s[8:9], s[6:7]
	s_cbranch_execz .LBB53_186
; %bb.177:
	s_andn2_b64 vcc, exec, s[10:11]
	s_cbranch_vccnz .LBB53_179
; %bb.178:
	buffer_load_dword v109, v113, s[0:3], 0 offen
	buffer_load_dword v110, v113, s[0:3], 0 offen offset:4
	ds_read_b64 v[114:115], v112
	s_waitcnt vmcnt(0) lgkmcnt(0)
	v_mul_f64 v[109:110], v[109:110], v[114:115]
	s_cbranch_execz .LBB53_180
	s_branch .LBB53_181
.LBB53_179:
                                        ; implicit-def: $vgpr109_vgpr110
.LBB53_180:
	ds_read_b64 v[109:110], v112
.LBB53_181:
	s_and_saveexec_b64 s[12:13], s[4:5]
	s_cbranch_execz .LBB53_185
; %bb.182:
	v_subrev_u32_e32 v114, 35, v0
	s_movk_i32 s50, 0x2c8
	s_mov_b64 s[4:5], 0
.LBB53_183:                             ; =>This Inner Loop Header: Depth=1
	v_mov_b32_e32 v117, s49
	buffer_load_dword v115, v117, s[0:3], 0 offen
	buffer_load_dword v116, v117, s[0:3], 0 offen offset:4
	v_mov_b32_e32 v117, s50
	ds_read_b64 v[117:118], v117
	v_add_u32_e32 v114, -1, v114
	s_add_i32 s50, s50, 8
	s_add_i32 s49, s49, 8
	v_cmp_eq_u32_e32 vcc, 0, v114
	s_or_b64 s[4:5], vcc, s[4:5]
	s_waitcnt vmcnt(0) lgkmcnt(0)
	v_fma_f64 v[109:110], v[115:116], v[117:118], v[109:110]
	s_andn2_b64 exec, exec, s[4:5]
	s_cbranch_execnz .LBB53_183
; %bb.184:
	s_or_b64 exec, exec, s[4:5]
.LBB53_185:
	s_or_b64 exec, exec, s[12:13]
	v_mov_b32_e32 v114, 0
	ds_read_b64 v[114:115], v114 offset:272
	s_waitcnt lgkmcnt(0)
	v_mul_f64 v[109:110], v[109:110], v[114:115]
	buffer_store_dword v110, off, s[0:3], 0 offset:276
	buffer_store_dword v109, off, s[0:3], 0 offset:272
.LBB53_186:
	s_or_b64 exec, exec, s[8:9]
	buffer_load_dword v109, off, s[0:3], 0 offset:264
	buffer_load_dword v110, off, s[0:3], 0 offset:268
	v_cmp_lt_u32_e64 s[4:5], 33, v0
	s_waitcnt vmcnt(0)
	ds_write_b64 v112, v[109:110]
	s_waitcnt lgkmcnt(0)
	; wave barrier
	s_and_saveexec_b64 s[8:9], s[4:5]
	s_cbranch_execz .LBB53_196
; %bb.187:
	s_andn2_b64 vcc, exec, s[10:11]
	s_cbranch_vccnz .LBB53_189
; %bb.188:
	buffer_load_dword v109, v113, s[0:3], 0 offen
	buffer_load_dword v110, v113, s[0:3], 0 offen offset:4
	ds_read_b64 v[114:115], v112
	s_waitcnt vmcnt(0) lgkmcnt(0)
	v_mul_f64 v[109:110], v[109:110], v[114:115]
	s_cbranch_execz .LBB53_190
	s_branch .LBB53_191
.LBB53_189:
                                        ; implicit-def: $vgpr109_vgpr110
.LBB53_190:
	ds_read_b64 v[109:110], v112
.LBB53_191:
	s_and_saveexec_b64 s[12:13], s[6:7]
	s_cbranch_execz .LBB53_195
; %bb.192:
	v_subrev_u32_e32 v114, 34, v0
	s_movk_i32 s49, 0x2c0
	s_mov_b64 s[6:7], 0
.LBB53_193:                             ; =>This Inner Loop Header: Depth=1
	v_mov_b32_e32 v117, s48
	buffer_load_dword v115, v117, s[0:3], 0 offen
	buffer_load_dword v116, v117, s[0:3], 0 offen offset:4
	v_mov_b32_e32 v117, s49
	ds_read_b64 v[117:118], v117
	v_add_u32_e32 v114, -1, v114
	s_add_i32 s49, s49, 8
	s_add_i32 s48, s48, 8
	v_cmp_eq_u32_e32 vcc, 0, v114
	s_or_b64 s[6:7], vcc, s[6:7]
	s_waitcnt vmcnt(0) lgkmcnt(0)
	v_fma_f64 v[109:110], v[115:116], v[117:118], v[109:110]
	s_andn2_b64 exec, exec, s[6:7]
	s_cbranch_execnz .LBB53_193
; %bb.194:
	s_or_b64 exec, exec, s[6:7]
.LBB53_195:
	s_or_b64 exec, exec, s[12:13]
	v_mov_b32_e32 v114, 0
	ds_read_b64 v[114:115], v114 offset:264
	s_waitcnt lgkmcnt(0)
	v_mul_f64 v[109:110], v[109:110], v[114:115]
	buffer_store_dword v110, off, s[0:3], 0 offset:268
	buffer_store_dword v109, off, s[0:3], 0 offset:264
.LBB53_196:
	s_or_b64 exec, exec, s[8:9]
	buffer_load_dword v109, off, s[0:3], 0 offset:256
	buffer_load_dword v110, off, s[0:3], 0 offset:260
	v_cmp_lt_u32_e64 s[6:7], 32, v0
	s_waitcnt vmcnt(0)
	ds_write_b64 v112, v[109:110]
	s_waitcnt lgkmcnt(0)
	; wave barrier
	s_and_saveexec_b64 s[8:9], s[6:7]
	s_cbranch_execz .LBB53_206
; %bb.197:
	s_andn2_b64 vcc, exec, s[10:11]
	s_cbranch_vccnz .LBB53_199
; %bb.198:
	buffer_load_dword v109, v113, s[0:3], 0 offen
	buffer_load_dword v110, v113, s[0:3], 0 offen offset:4
	ds_read_b64 v[114:115], v112
	s_waitcnt vmcnt(0) lgkmcnt(0)
	v_mul_f64 v[109:110], v[109:110], v[114:115]
	s_cbranch_execz .LBB53_200
	s_branch .LBB53_201
.LBB53_199:
                                        ; implicit-def: $vgpr109_vgpr110
.LBB53_200:
	ds_read_b64 v[109:110], v112
.LBB53_201:
	s_and_saveexec_b64 s[12:13], s[4:5]
	s_cbranch_execz .LBB53_205
; %bb.202:
	v_subrev_u32_e32 v114, 33, v0
	s_movk_i32 s48, 0x2b8
	s_mov_b64 s[4:5], 0
.LBB53_203:                             ; =>This Inner Loop Header: Depth=1
	v_mov_b32_e32 v117, s47
	buffer_load_dword v115, v117, s[0:3], 0 offen
	buffer_load_dword v116, v117, s[0:3], 0 offen offset:4
	v_mov_b32_e32 v117, s48
	ds_read_b64 v[117:118], v117
	v_add_u32_e32 v114, -1, v114
	s_add_i32 s48, s48, 8
	s_add_i32 s47, s47, 8
	v_cmp_eq_u32_e32 vcc, 0, v114
	s_or_b64 s[4:5], vcc, s[4:5]
	s_waitcnt vmcnt(0) lgkmcnt(0)
	v_fma_f64 v[109:110], v[115:116], v[117:118], v[109:110]
	s_andn2_b64 exec, exec, s[4:5]
	s_cbranch_execnz .LBB53_203
; %bb.204:
	s_or_b64 exec, exec, s[4:5]
.LBB53_205:
	s_or_b64 exec, exec, s[12:13]
	v_mov_b32_e32 v114, 0
	ds_read_b64 v[114:115], v114 offset:256
	s_waitcnt lgkmcnt(0)
	v_mul_f64 v[109:110], v[109:110], v[114:115]
	buffer_store_dword v110, off, s[0:3], 0 offset:260
	buffer_store_dword v109, off, s[0:3], 0 offset:256
.LBB53_206:
	s_or_b64 exec, exec, s[8:9]
	buffer_load_dword v109, off, s[0:3], 0 offset:248
	buffer_load_dword v110, off, s[0:3], 0 offset:252
	v_cmp_lt_u32_e64 s[4:5], 31, v0
	s_waitcnt vmcnt(0)
	ds_write_b64 v112, v[109:110]
	s_waitcnt lgkmcnt(0)
	; wave barrier
	s_and_saveexec_b64 s[8:9], s[4:5]
	s_cbranch_execz .LBB53_216
; %bb.207:
	s_andn2_b64 vcc, exec, s[10:11]
	s_cbranch_vccnz .LBB53_209
; %bb.208:
	buffer_load_dword v109, v113, s[0:3], 0 offen
	buffer_load_dword v110, v113, s[0:3], 0 offen offset:4
	ds_read_b64 v[114:115], v112
	s_waitcnt vmcnt(0) lgkmcnt(0)
	v_mul_f64 v[109:110], v[109:110], v[114:115]
	s_cbranch_execz .LBB53_210
	s_branch .LBB53_211
.LBB53_209:
                                        ; implicit-def: $vgpr109_vgpr110
.LBB53_210:
	ds_read_b64 v[109:110], v112
.LBB53_211:
	s_and_saveexec_b64 s[12:13], s[6:7]
	s_cbranch_execz .LBB53_215
; %bb.212:
	v_subrev_u32_e32 v114, 32, v0
	s_movk_i32 s47, 0x2b0
	s_mov_b64 s[6:7], 0
.LBB53_213:                             ; =>This Inner Loop Header: Depth=1
	v_mov_b32_e32 v117, s46
	buffer_load_dword v115, v117, s[0:3], 0 offen
	buffer_load_dword v116, v117, s[0:3], 0 offen offset:4
	v_mov_b32_e32 v117, s47
	ds_read_b64 v[117:118], v117
	v_add_u32_e32 v114, -1, v114
	s_add_i32 s47, s47, 8
	s_add_i32 s46, s46, 8
	v_cmp_eq_u32_e32 vcc, 0, v114
	s_or_b64 s[6:7], vcc, s[6:7]
	s_waitcnt vmcnt(0) lgkmcnt(0)
	v_fma_f64 v[109:110], v[115:116], v[117:118], v[109:110]
	s_andn2_b64 exec, exec, s[6:7]
	s_cbranch_execnz .LBB53_213
; %bb.214:
	s_or_b64 exec, exec, s[6:7]
.LBB53_215:
	s_or_b64 exec, exec, s[12:13]
	v_mov_b32_e32 v114, 0
	ds_read_b64 v[114:115], v114 offset:248
	s_waitcnt lgkmcnt(0)
	v_mul_f64 v[109:110], v[109:110], v[114:115]
	buffer_store_dword v110, off, s[0:3], 0 offset:252
	buffer_store_dword v109, off, s[0:3], 0 offset:248
.LBB53_216:
	s_or_b64 exec, exec, s[8:9]
	buffer_load_dword v109, off, s[0:3], 0 offset:240
	buffer_load_dword v110, off, s[0:3], 0 offset:244
	v_cmp_lt_u32_e64 s[6:7], 30, v0
	s_waitcnt vmcnt(0)
	ds_write_b64 v112, v[109:110]
	s_waitcnt lgkmcnt(0)
	; wave barrier
	s_and_saveexec_b64 s[8:9], s[6:7]
	s_cbranch_execz .LBB53_226
; %bb.217:
	s_andn2_b64 vcc, exec, s[10:11]
	s_cbranch_vccnz .LBB53_219
; %bb.218:
	buffer_load_dword v109, v113, s[0:3], 0 offen
	buffer_load_dword v110, v113, s[0:3], 0 offen offset:4
	ds_read_b64 v[114:115], v112
	s_waitcnt vmcnt(0) lgkmcnt(0)
	v_mul_f64 v[109:110], v[109:110], v[114:115]
	s_cbranch_execz .LBB53_220
	s_branch .LBB53_221
.LBB53_219:
                                        ; implicit-def: $vgpr109_vgpr110
.LBB53_220:
	ds_read_b64 v[109:110], v112
.LBB53_221:
	s_and_saveexec_b64 s[12:13], s[4:5]
	s_cbranch_execz .LBB53_225
; %bb.222:
	v_subrev_u32_e32 v114, 31, v0
	s_movk_i32 s46, 0x2a8
	s_mov_b64 s[4:5], 0
.LBB53_223:                             ; =>This Inner Loop Header: Depth=1
	v_mov_b32_e32 v117, s45
	buffer_load_dword v115, v117, s[0:3], 0 offen
	buffer_load_dword v116, v117, s[0:3], 0 offen offset:4
	v_mov_b32_e32 v117, s46
	ds_read_b64 v[117:118], v117
	v_add_u32_e32 v114, -1, v114
	s_add_i32 s46, s46, 8
	s_add_i32 s45, s45, 8
	v_cmp_eq_u32_e32 vcc, 0, v114
	s_or_b64 s[4:5], vcc, s[4:5]
	s_waitcnt vmcnt(0) lgkmcnt(0)
	v_fma_f64 v[109:110], v[115:116], v[117:118], v[109:110]
	s_andn2_b64 exec, exec, s[4:5]
	s_cbranch_execnz .LBB53_223
; %bb.224:
	s_or_b64 exec, exec, s[4:5]
.LBB53_225:
	s_or_b64 exec, exec, s[12:13]
	v_mov_b32_e32 v114, 0
	ds_read_b64 v[114:115], v114 offset:240
	s_waitcnt lgkmcnt(0)
	v_mul_f64 v[109:110], v[109:110], v[114:115]
	buffer_store_dword v110, off, s[0:3], 0 offset:244
	buffer_store_dword v109, off, s[0:3], 0 offset:240
.LBB53_226:
	s_or_b64 exec, exec, s[8:9]
	buffer_load_dword v109, off, s[0:3], 0 offset:232
	buffer_load_dword v110, off, s[0:3], 0 offset:236
	v_cmp_lt_u32_e64 s[4:5], 29, v0
	s_waitcnt vmcnt(0)
	ds_write_b64 v112, v[109:110]
	s_waitcnt lgkmcnt(0)
	; wave barrier
	s_and_saveexec_b64 s[8:9], s[4:5]
	s_cbranch_execz .LBB53_236
; %bb.227:
	s_andn2_b64 vcc, exec, s[10:11]
	s_cbranch_vccnz .LBB53_229
; %bb.228:
	buffer_load_dword v109, v113, s[0:3], 0 offen
	buffer_load_dword v110, v113, s[0:3], 0 offen offset:4
	ds_read_b64 v[114:115], v112
	s_waitcnt vmcnt(0) lgkmcnt(0)
	v_mul_f64 v[109:110], v[109:110], v[114:115]
	s_cbranch_execz .LBB53_230
	s_branch .LBB53_231
.LBB53_229:
                                        ; implicit-def: $vgpr109_vgpr110
.LBB53_230:
	ds_read_b64 v[109:110], v112
.LBB53_231:
	s_and_saveexec_b64 s[12:13], s[6:7]
	s_cbranch_execz .LBB53_235
; %bb.232:
	v_subrev_u32_e32 v114, 30, v0
	s_movk_i32 s45, 0x2a0
	s_mov_b64 s[6:7], 0
.LBB53_233:                             ; =>This Inner Loop Header: Depth=1
	v_mov_b32_e32 v117, s44
	buffer_load_dword v115, v117, s[0:3], 0 offen
	buffer_load_dword v116, v117, s[0:3], 0 offen offset:4
	v_mov_b32_e32 v117, s45
	ds_read_b64 v[117:118], v117
	v_add_u32_e32 v114, -1, v114
	s_add_i32 s45, s45, 8
	s_add_i32 s44, s44, 8
	v_cmp_eq_u32_e32 vcc, 0, v114
	s_or_b64 s[6:7], vcc, s[6:7]
	s_waitcnt vmcnt(0) lgkmcnt(0)
	v_fma_f64 v[109:110], v[115:116], v[117:118], v[109:110]
	s_andn2_b64 exec, exec, s[6:7]
	s_cbranch_execnz .LBB53_233
; %bb.234:
	s_or_b64 exec, exec, s[6:7]
.LBB53_235:
	s_or_b64 exec, exec, s[12:13]
	v_mov_b32_e32 v114, 0
	ds_read_b64 v[114:115], v114 offset:232
	s_waitcnt lgkmcnt(0)
	v_mul_f64 v[109:110], v[109:110], v[114:115]
	buffer_store_dword v110, off, s[0:3], 0 offset:236
	buffer_store_dword v109, off, s[0:3], 0 offset:232
.LBB53_236:
	s_or_b64 exec, exec, s[8:9]
	buffer_load_dword v109, off, s[0:3], 0 offset:224
	buffer_load_dword v110, off, s[0:3], 0 offset:228
	v_cmp_lt_u32_e64 s[6:7], 28, v0
	s_waitcnt vmcnt(0)
	ds_write_b64 v112, v[109:110]
	s_waitcnt lgkmcnt(0)
	; wave barrier
	s_and_saveexec_b64 s[8:9], s[6:7]
	s_cbranch_execz .LBB53_246
; %bb.237:
	s_andn2_b64 vcc, exec, s[10:11]
	s_cbranch_vccnz .LBB53_239
; %bb.238:
	buffer_load_dword v109, v113, s[0:3], 0 offen
	buffer_load_dword v110, v113, s[0:3], 0 offen offset:4
	ds_read_b64 v[114:115], v112
	s_waitcnt vmcnt(0) lgkmcnt(0)
	v_mul_f64 v[109:110], v[109:110], v[114:115]
	s_cbranch_execz .LBB53_240
	s_branch .LBB53_241
.LBB53_239:
                                        ; implicit-def: $vgpr109_vgpr110
.LBB53_240:
	ds_read_b64 v[109:110], v112
.LBB53_241:
	s_and_saveexec_b64 s[12:13], s[4:5]
	s_cbranch_execz .LBB53_245
; %bb.242:
	v_subrev_u32_e32 v114, 29, v0
	s_movk_i32 s44, 0x298
	s_mov_b64 s[4:5], 0
.LBB53_243:                             ; =>This Inner Loop Header: Depth=1
	v_mov_b32_e32 v117, s43
	buffer_load_dword v115, v117, s[0:3], 0 offen
	buffer_load_dword v116, v117, s[0:3], 0 offen offset:4
	v_mov_b32_e32 v117, s44
	ds_read_b64 v[117:118], v117
	v_add_u32_e32 v114, -1, v114
	s_add_i32 s44, s44, 8
	s_add_i32 s43, s43, 8
	v_cmp_eq_u32_e32 vcc, 0, v114
	s_or_b64 s[4:5], vcc, s[4:5]
	s_waitcnt vmcnt(0) lgkmcnt(0)
	v_fma_f64 v[109:110], v[115:116], v[117:118], v[109:110]
	s_andn2_b64 exec, exec, s[4:5]
	s_cbranch_execnz .LBB53_243
; %bb.244:
	s_or_b64 exec, exec, s[4:5]
.LBB53_245:
	s_or_b64 exec, exec, s[12:13]
	v_mov_b32_e32 v114, 0
	ds_read_b64 v[114:115], v114 offset:224
	s_waitcnt lgkmcnt(0)
	v_mul_f64 v[109:110], v[109:110], v[114:115]
	buffer_store_dword v110, off, s[0:3], 0 offset:228
	buffer_store_dword v109, off, s[0:3], 0 offset:224
.LBB53_246:
	s_or_b64 exec, exec, s[8:9]
	buffer_load_dword v109, off, s[0:3], 0 offset:216
	buffer_load_dword v110, off, s[0:3], 0 offset:220
	v_cmp_lt_u32_e64 s[4:5], 27, v0
	s_waitcnt vmcnt(0)
	ds_write_b64 v112, v[109:110]
	s_waitcnt lgkmcnt(0)
	; wave barrier
	s_and_saveexec_b64 s[8:9], s[4:5]
	s_cbranch_execz .LBB53_256
; %bb.247:
	s_andn2_b64 vcc, exec, s[10:11]
	s_cbranch_vccnz .LBB53_249
; %bb.248:
	buffer_load_dword v109, v113, s[0:3], 0 offen
	buffer_load_dword v110, v113, s[0:3], 0 offen offset:4
	ds_read_b64 v[114:115], v112
	s_waitcnt vmcnt(0) lgkmcnt(0)
	v_mul_f64 v[109:110], v[109:110], v[114:115]
	s_cbranch_execz .LBB53_250
	s_branch .LBB53_251
.LBB53_249:
                                        ; implicit-def: $vgpr109_vgpr110
.LBB53_250:
	ds_read_b64 v[109:110], v112
.LBB53_251:
	s_and_saveexec_b64 s[12:13], s[6:7]
	s_cbranch_execz .LBB53_255
; %bb.252:
	v_subrev_u32_e32 v114, 28, v0
	s_movk_i32 s43, 0x290
	s_mov_b64 s[6:7], 0
.LBB53_253:                             ; =>This Inner Loop Header: Depth=1
	v_mov_b32_e32 v117, s42
	buffer_load_dword v115, v117, s[0:3], 0 offen
	buffer_load_dword v116, v117, s[0:3], 0 offen offset:4
	v_mov_b32_e32 v117, s43
	ds_read_b64 v[117:118], v117
	v_add_u32_e32 v114, -1, v114
	s_add_i32 s43, s43, 8
	s_add_i32 s42, s42, 8
	v_cmp_eq_u32_e32 vcc, 0, v114
	s_or_b64 s[6:7], vcc, s[6:7]
	s_waitcnt vmcnt(0) lgkmcnt(0)
	v_fma_f64 v[109:110], v[115:116], v[117:118], v[109:110]
	s_andn2_b64 exec, exec, s[6:7]
	s_cbranch_execnz .LBB53_253
; %bb.254:
	s_or_b64 exec, exec, s[6:7]
.LBB53_255:
	s_or_b64 exec, exec, s[12:13]
	v_mov_b32_e32 v114, 0
	ds_read_b64 v[114:115], v114 offset:216
	s_waitcnt lgkmcnt(0)
	v_mul_f64 v[109:110], v[109:110], v[114:115]
	buffer_store_dword v110, off, s[0:3], 0 offset:220
	buffer_store_dword v109, off, s[0:3], 0 offset:216
.LBB53_256:
	s_or_b64 exec, exec, s[8:9]
	buffer_load_dword v109, off, s[0:3], 0 offset:208
	buffer_load_dword v110, off, s[0:3], 0 offset:212
	v_cmp_lt_u32_e64 s[6:7], 26, v0
	s_waitcnt vmcnt(0)
	ds_write_b64 v112, v[109:110]
	s_waitcnt lgkmcnt(0)
	; wave barrier
	s_and_saveexec_b64 s[8:9], s[6:7]
	s_cbranch_execz .LBB53_266
; %bb.257:
	s_andn2_b64 vcc, exec, s[10:11]
	s_cbranch_vccnz .LBB53_259
; %bb.258:
	buffer_load_dword v109, v113, s[0:3], 0 offen
	buffer_load_dword v110, v113, s[0:3], 0 offen offset:4
	ds_read_b64 v[114:115], v112
	s_waitcnt vmcnt(0) lgkmcnt(0)
	v_mul_f64 v[109:110], v[109:110], v[114:115]
	s_cbranch_execz .LBB53_260
	s_branch .LBB53_261
.LBB53_259:
                                        ; implicit-def: $vgpr109_vgpr110
.LBB53_260:
	ds_read_b64 v[109:110], v112
.LBB53_261:
	s_and_saveexec_b64 s[12:13], s[4:5]
	s_cbranch_execz .LBB53_265
; %bb.262:
	v_subrev_u32_e32 v114, 27, v0
	s_movk_i32 s42, 0x288
	s_mov_b64 s[4:5], 0
.LBB53_263:                             ; =>This Inner Loop Header: Depth=1
	v_mov_b32_e32 v117, s41
	buffer_load_dword v115, v117, s[0:3], 0 offen
	buffer_load_dword v116, v117, s[0:3], 0 offen offset:4
	v_mov_b32_e32 v117, s42
	ds_read_b64 v[117:118], v117
	v_add_u32_e32 v114, -1, v114
	s_add_i32 s42, s42, 8
	s_add_i32 s41, s41, 8
	v_cmp_eq_u32_e32 vcc, 0, v114
	s_or_b64 s[4:5], vcc, s[4:5]
	s_waitcnt vmcnt(0) lgkmcnt(0)
	v_fma_f64 v[109:110], v[115:116], v[117:118], v[109:110]
	s_andn2_b64 exec, exec, s[4:5]
	s_cbranch_execnz .LBB53_263
; %bb.264:
	s_or_b64 exec, exec, s[4:5]
.LBB53_265:
	s_or_b64 exec, exec, s[12:13]
	v_mov_b32_e32 v114, 0
	ds_read_b64 v[114:115], v114 offset:208
	s_waitcnt lgkmcnt(0)
	v_mul_f64 v[109:110], v[109:110], v[114:115]
	buffer_store_dword v110, off, s[0:3], 0 offset:212
	buffer_store_dword v109, off, s[0:3], 0 offset:208
.LBB53_266:
	s_or_b64 exec, exec, s[8:9]
	buffer_load_dword v109, off, s[0:3], 0 offset:200
	buffer_load_dword v110, off, s[0:3], 0 offset:204
	v_cmp_lt_u32_e64 s[4:5], 25, v0
	s_waitcnt vmcnt(0)
	ds_write_b64 v112, v[109:110]
	s_waitcnt lgkmcnt(0)
	; wave barrier
	s_and_saveexec_b64 s[8:9], s[4:5]
	s_cbranch_execz .LBB53_276
; %bb.267:
	s_andn2_b64 vcc, exec, s[10:11]
	s_cbranch_vccnz .LBB53_269
; %bb.268:
	buffer_load_dword v109, v113, s[0:3], 0 offen
	buffer_load_dword v110, v113, s[0:3], 0 offen offset:4
	ds_read_b64 v[114:115], v112
	s_waitcnt vmcnt(0) lgkmcnt(0)
	v_mul_f64 v[109:110], v[109:110], v[114:115]
	s_cbranch_execz .LBB53_270
	s_branch .LBB53_271
.LBB53_269:
                                        ; implicit-def: $vgpr109_vgpr110
.LBB53_270:
	ds_read_b64 v[109:110], v112
.LBB53_271:
	s_and_saveexec_b64 s[12:13], s[6:7]
	s_cbranch_execz .LBB53_275
; %bb.272:
	v_subrev_u32_e32 v114, 26, v0
	s_movk_i32 s41, 0x280
	s_mov_b64 s[6:7], 0
.LBB53_273:                             ; =>This Inner Loop Header: Depth=1
	v_mov_b32_e32 v117, s40
	buffer_load_dword v115, v117, s[0:3], 0 offen
	buffer_load_dword v116, v117, s[0:3], 0 offen offset:4
	v_mov_b32_e32 v117, s41
	ds_read_b64 v[117:118], v117
	v_add_u32_e32 v114, -1, v114
	s_add_i32 s41, s41, 8
	s_add_i32 s40, s40, 8
	v_cmp_eq_u32_e32 vcc, 0, v114
	s_or_b64 s[6:7], vcc, s[6:7]
	s_waitcnt vmcnt(0) lgkmcnt(0)
	v_fma_f64 v[109:110], v[115:116], v[117:118], v[109:110]
	s_andn2_b64 exec, exec, s[6:7]
	s_cbranch_execnz .LBB53_273
; %bb.274:
	s_or_b64 exec, exec, s[6:7]
.LBB53_275:
	s_or_b64 exec, exec, s[12:13]
	v_mov_b32_e32 v114, 0
	ds_read_b64 v[114:115], v114 offset:200
	s_waitcnt lgkmcnt(0)
	v_mul_f64 v[109:110], v[109:110], v[114:115]
	buffer_store_dword v110, off, s[0:3], 0 offset:204
	buffer_store_dword v109, off, s[0:3], 0 offset:200
.LBB53_276:
	s_or_b64 exec, exec, s[8:9]
	buffer_load_dword v109, off, s[0:3], 0 offset:192
	buffer_load_dword v110, off, s[0:3], 0 offset:196
	v_cmp_lt_u32_e64 s[6:7], 24, v0
	s_waitcnt vmcnt(0)
	ds_write_b64 v112, v[109:110]
	s_waitcnt lgkmcnt(0)
	; wave barrier
	s_and_saveexec_b64 s[8:9], s[6:7]
	s_cbranch_execz .LBB53_286
; %bb.277:
	s_andn2_b64 vcc, exec, s[10:11]
	s_cbranch_vccnz .LBB53_279
; %bb.278:
	buffer_load_dword v109, v113, s[0:3], 0 offen
	buffer_load_dword v110, v113, s[0:3], 0 offen offset:4
	ds_read_b64 v[114:115], v112
	s_waitcnt vmcnt(0) lgkmcnt(0)
	v_mul_f64 v[109:110], v[109:110], v[114:115]
	s_cbranch_execz .LBB53_280
	s_branch .LBB53_281
.LBB53_279:
                                        ; implicit-def: $vgpr109_vgpr110
.LBB53_280:
	ds_read_b64 v[109:110], v112
.LBB53_281:
	s_and_saveexec_b64 s[12:13], s[4:5]
	s_cbranch_execz .LBB53_285
; %bb.282:
	v_subrev_u32_e32 v114, 25, v0
	s_movk_i32 s40, 0x278
	s_mov_b64 s[4:5], 0
.LBB53_283:                             ; =>This Inner Loop Header: Depth=1
	v_mov_b32_e32 v117, s39
	buffer_load_dword v115, v117, s[0:3], 0 offen
	buffer_load_dword v116, v117, s[0:3], 0 offen offset:4
	v_mov_b32_e32 v117, s40
	ds_read_b64 v[117:118], v117
	v_add_u32_e32 v114, -1, v114
	s_add_i32 s40, s40, 8
	s_add_i32 s39, s39, 8
	v_cmp_eq_u32_e32 vcc, 0, v114
	s_or_b64 s[4:5], vcc, s[4:5]
	s_waitcnt vmcnt(0) lgkmcnt(0)
	v_fma_f64 v[109:110], v[115:116], v[117:118], v[109:110]
	s_andn2_b64 exec, exec, s[4:5]
	s_cbranch_execnz .LBB53_283
; %bb.284:
	s_or_b64 exec, exec, s[4:5]
.LBB53_285:
	s_or_b64 exec, exec, s[12:13]
	v_mov_b32_e32 v114, 0
	ds_read_b64 v[114:115], v114 offset:192
	s_waitcnt lgkmcnt(0)
	v_mul_f64 v[109:110], v[109:110], v[114:115]
	buffer_store_dword v110, off, s[0:3], 0 offset:196
	buffer_store_dword v109, off, s[0:3], 0 offset:192
.LBB53_286:
	s_or_b64 exec, exec, s[8:9]
	buffer_load_dword v109, off, s[0:3], 0 offset:184
	buffer_load_dword v110, off, s[0:3], 0 offset:188
	v_cmp_lt_u32_e64 s[4:5], 23, v0
	s_waitcnt vmcnt(0)
	ds_write_b64 v112, v[109:110]
	s_waitcnt lgkmcnt(0)
	; wave barrier
	s_and_saveexec_b64 s[8:9], s[4:5]
	s_cbranch_execz .LBB53_296
; %bb.287:
	s_andn2_b64 vcc, exec, s[10:11]
	s_cbranch_vccnz .LBB53_289
; %bb.288:
	buffer_load_dword v109, v113, s[0:3], 0 offen
	buffer_load_dword v110, v113, s[0:3], 0 offen offset:4
	ds_read_b64 v[114:115], v112
	s_waitcnt vmcnt(0) lgkmcnt(0)
	v_mul_f64 v[109:110], v[109:110], v[114:115]
	s_cbranch_execz .LBB53_290
	s_branch .LBB53_291
.LBB53_289:
                                        ; implicit-def: $vgpr109_vgpr110
.LBB53_290:
	ds_read_b64 v[109:110], v112
.LBB53_291:
	s_and_saveexec_b64 s[12:13], s[6:7]
	s_cbranch_execz .LBB53_295
; %bb.292:
	v_subrev_u32_e32 v114, 24, v0
	s_movk_i32 s39, 0x270
	s_mov_b64 s[6:7], 0
.LBB53_293:                             ; =>This Inner Loop Header: Depth=1
	v_mov_b32_e32 v117, s38
	buffer_load_dword v115, v117, s[0:3], 0 offen
	buffer_load_dword v116, v117, s[0:3], 0 offen offset:4
	v_mov_b32_e32 v117, s39
	ds_read_b64 v[117:118], v117
	v_add_u32_e32 v114, -1, v114
	s_add_i32 s39, s39, 8
	s_add_i32 s38, s38, 8
	v_cmp_eq_u32_e32 vcc, 0, v114
	s_or_b64 s[6:7], vcc, s[6:7]
	s_waitcnt vmcnt(0) lgkmcnt(0)
	v_fma_f64 v[109:110], v[115:116], v[117:118], v[109:110]
	s_andn2_b64 exec, exec, s[6:7]
	s_cbranch_execnz .LBB53_293
; %bb.294:
	s_or_b64 exec, exec, s[6:7]
.LBB53_295:
	s_or_b64 exec, exec, s[12:13]
	v_mov_b32_e32 v114, 0
	ds_read_b64 v[114:115], v114 offset:184
	s_waitcnt lgkmcnt(0)
	v_mul_f64 v[109:110], v[109:110], v[114:115]
	buffer_store_dword v110, off, s[0:3], 0 offset:188
	buffer_store_dword v109, off, s[0:3], 0 offset:184
.LBB53_296:
	s_or_b64 exec, exec, s[8:9]
	buffer_load_dword v109, off, s[0:3], 0 offset:176
	buffer_load_dword v110, off, s[0:3], 0 offset:180
	v_cmp_lt_u32_e64 s[6:7], 22, v0
	s_waitcnt vmcnt(0)
	ds_write_b64 v112, v[109:110]
	s_waitcnt lgkmcnt(0)
	; wave barrier
	s_and_saveexec_b64 s[8:9], s[6:7]
	s_cbranch_execz .LBB53_306
; %bb.297:
	s_andn2_b64 vcc, exec, s[10:11]
	s_cbranch_vccnz .LBB53_299
; %bb.298:
	buffer_load_dword v109, v113, s[0:3], 0 offen
	buffer_load_dword v110, v113, s[0:3], 0 offen offset:4
	ds_read_b64 v[114:115], v112
	s_waitcnt vmcnt(0) lgkmcnt(0)
	v_mul_f64 v[109:110], v[109:110], v[114:115]
	s_cbranch_execz .LBB53_300
	s_branch .LBB53_301
.LBB53_299:
                                        ; implicit-def: $vgpr109_vgpr110
.LBB53_300:
	ds_read_b64 v[109:110], v112
.LBB53_301:
	s_and_saveexec_b64 s[12:13], s[4:5]
	s_cbranch_execz .LBB53_305
; %bb.302:
	v_subrev_u32_e32 v114, 23, v0
	s_movk_i32 s38, 0x268
	s_mov_b64 s[4:5], 0
.LBB53_303:                             ; =>This Inner Loop Header: Depth=1
	v_mov_b32_e32 v117, s37
	buffer_load_dword v115, v117, s[0:3], 0 offen
	buffer_load_dword v116, v117, s[0:3], 0 offen offset:4
	v_mov_b32_e32 v117, s38
	ds_read_b64 v[117:118], v117
	v_add_u32_e32 v114, -1, v114
	s_add_i32 s38, s38, 8
	s_add_i32 s37, s37, 8
	v_cmp_eq_u32_e32 vcc, 0, v114
	s_or_b64 s[4:5], vcc, s[4:5]
	s_waitcnt vmcnt(0) lgkmcnt(0)
	v_fma_f64 v[109:110], v[115:116], v[117:118], v[109:110]
	s_andn2_b64 exec, exec, s[4:5]
	s_cbranch_execnz .LBB53_303
; %bb.304:
	s_or_b64 exec, exec, s[4:5]
.LBB53_305:
	s_or_b64 exec, exec, s[12:13]
	v_mov_b32_e32 v114, 0
	ds_read_b64 v[114:115], v114 offset:176
	s_waitcnt lgkmcnt(0)
	v_mul_f64 v[109:110], v[109:110], v[114:115]
	buffer_store_dword v110, off, s[0:3], 0 offset:180
	buffer_store_dword v109, off, s[0:3], 0 offset:176
.LBB53_306:
	s_or_b64 exec, exec, s[8:9]
	buffer_load_dword v109, off, s[0:3], 0 offset:168
	buffer_load_dword v110, off, s[0:3], 0 offset:172
	v_cmp_lt_u32_e64 s[4:5], 21, v0
	s_waitcnt vmcnt(0)
	ds_write_b64 v112, v[109:110]
	s_waitcnt lgkmcnt(0)
	; wave barrier
	s_and_saveexec_b64 s[8:9], s[4:5]
	s_cbranch_execz .LBB53_316
; %bb.307:
	s_andn2_b64 vcc, exec, s[10:11]
	s_cbranch_vccnz .LBB53_309
; %bb.308:
	buffer_load_dword v109, v113, s[0:3], 0 offen
	buffer_load_dword v110, v113, s[0:3], 0 offen offset:4
	ds_read_b64 v[114:115], v112
	s_waitcnt vmcnt(0) lgkmcnt(0)
	v_mul_f64 v[109:110], v[109:110], v[114:115]
	s_cbranch_execz .LBB53_310
	s_branch .LBB53_311
.LBB53_309:
                                        ; implicit-def: $vgpr109_vgpr110
.LBB53_310:
	ds_read_b64 v[109:110], v112
.LBB53_311:
	s_and_saveexec_b64 s[12:13], s[6:7]
	s_cbranch_execz .LBB53_315
; %bb.312:
	v_subrev_u32_e32 v114, 22, v0
	s_movk_i32 s37, 0x260
	s_mov_b64 s[6:7], 0
.LBB53_313:                             ; =>This Inner Loop Header: Depth=1
	v_mov_b32_e32 v117, s36
	buffer_load_dword v115, v117, s[0:3], 0 offen
	buffer_load_dword v116, v117, s[0:3], 0 offen offset:4
	v_mov_b32_e32 v117, s37
	ds_read_b64 v[117:118], v117
	v_add_u32_e32 v114, -1, v114
	s_add_i32 s37, s37, 8
	s_add_i32 s36, s36, 8
	v_cmp_eq_u32_e32 vcc, 0, v114
	s_or_b64 s[6:7], vcc, s[6:7]
	s_waitcnt vmcnt(0) lgkmcnt(0)
	v_fma_f64 v[109:110], v[115:116], v[117:118], v[109:110]
	s_andn2_b64 exec, exec, s[6:7]
	s_cbranch_execnz .LBB53_313
; %bb.314:
	s_or_b64 exec, exec, s[6:7]
.LBB53_315:
	s_or_b64 exec, exec, s[12:13]
	v_mov_b32_e32 v114, 0
	ds_read_b64 v[114:115], v114 offset:168
	s_waitcnt lgkmcnt(0)
	v_mul_f64 v[109:110], v[109:110], v[114:115]
	buffer_store_dword v110, off, s[0:3], 0 offset:172
	buffer_store_dword v109, off, s[0:3], 0 offset:168
.LBB53_316:
	s_or_b64 exec, exec, s[8:9]
	buffer_load_dword v109, off, s[0:3], 0 offset:160
	buffer_load_dword v110, off, s[0:3], 0 offset:164
	v_cmp_lt_u32_e64 s[6:7], 20, v0
	s_waitcnt vmcnt(0)
	ds_write_b64 v112, v[109:110]
	s_waitcnt lgkmcnt(0)
	; wave barrier
	s_and_saveexec_b64 s[8:9], s[6:7]
	s_cbranch_execz .LBB53_326
; %bb.317:
	s_andn2_b64 vcc, exec, s[10:11]
	s_cbranch_vccnz .LBB53_319
; %bb.318:
	buffer_load_dword v109, v113, s[0:3], 0 offen
	buffer_load_dword v110, v113, s[0:3], 0 offen offset:4
	ds_read_b64 v[114:115], v112
	s_waitcnt vmcnt(0) lgkmcnt(0)
	v_mul_f64 v[109:110], v[109:110], v[114:115]
	s_cbranch_execz .LBB53_320
	s_branch .LBB53_321
.LBB53_319:
                                        ; implicit-def: $vgpr109_vgpr110
.LBB53_320:
	ds_read_b64 v[109:110], v112
.LBB53_321:
	s_and_saveexec_b64 s[12:13], s[4:5]
	s_cbranch_execz .LBB53_325
; %bb.322:
	v_subrev_u32_e32 v114, 21, v0
	s_movk_i32 s36, 0x258
	s_mov_b64 s[4:5], 0
.LBB53_323:                             ; =>This Inner Loop Header: Depth=1
	v_mov_b32_e32 v117, s35
	buffer_load_dword v115, v117, s[0:3], 0 offen
	buffer_load_dword v116, v117, s[0:3], 0 offen offset:4
	v_mov_b32_e32 v117, s36
	ds_read_b64 v[117:118], v117
	v_add_u32_e32 v114, -1, v114
	s_add_i32 s36, s36, 8
	s_add_i32 s35, s35, 8
	v_cmp_eq_u32_e32 vcc, 0, v114
	s_or_b64 s[4:5], vcc, s[4:5]
	s_waitcnt vmcnt(0) lgkmcnt(0)
	v_fma_f64 v[109:110], v[115:116], v[117:118], v[109:110]
	s_andn2_b64 exec, exec, s[4:5]
	s_cbranch_execnz .LBB53_323
; %bb.324:
	s_or_b64 exec, exec, s[4:5]
.LBB53_325:
	s_or_b64 exec, exec, s[12:13]
	v_mov_b32_e32 v114, 0
	ds_read_b64 v[114:115], v114 offset:160
	s_waitcnt lgkmcnt(0)
	v_mul_f64 v[109:110], v[109:110], v[114:115]
	buffer_store_dword v110, off, s[0:3], 0 offset:164
	buffer_store_dword v109, off, s[0:3], 0 offset:160
.LBB53_326:
	s_or_b64 exec, exec, s[8:9]
	buffer_load_dword v109, off, s[0:3], 0 offset:152
	buffer_load_dword v110, off, s[0:3], 0 offset:156
	v_cmp_lt_u32_e64 s[4:5], 19, v0
	s_waitcnt vmcnt(0)
	ds_write_b64 v112, v[109:110]
	s_waitcnt lgkmcnt(0)
	; wave barrier
	s_and_saveexec_b64 s[8:9], s[4:5]
	s_cbranch_execz .LBB53_336
; %bb.327:
	s_andn2_b64 vcc, exec, s[10:11]
	s_cbranch_vccnz .LBB53_329
; %bb.328:
	buffer_load_dword v109, v113, s[0:3], 0 offen
	buffer_load_dword v110, v113, s[0:3], 0 offen offset:4
	ds_read_b64 v[114:115], v112
	s_waitcnt vmcnt(0) lgkmcnt(0)
	v_mul_f64 v[109:110], v[109:110], v[114:115]
	s_cbranch_execz .LBB53_330
	s_branch .LBB53_331
.LBB53_329:
                                        ; implicit-def: $vgpr109_vgpr110
.LBB53_330:
	ds_read_b64 v[109:110], v112
.LBB53_331:
	s_and_saveexec_b64 s[12:13], s[6:7]
	s_cbranch_execz .LBB53_335
; %bb.332:
	v_subrev_u32_e32 v114, 20, v0
	s_movk_i32 s35, 0x250
	s_mov_b64 s[6:7], 0
.LBB53_333:                             ; =>This Inner Loop Header: Depth=1
	v_mov_b32_e32 v117, s34
	buffer_load_dword v115, v117, s[0:3], 0 offen
	buffer_load_dword v116, v117, s[0:3], 0 offen offset:4
	v_mov_b32_e32 v117, s35
	ds_read_b64 v[117:118], v117
	v_add_u32_e32 v114, -1, v114
	s_add_i32 s35, s35, 8
	s_add_i32 s34, s34, 8
	v_cmp_eq_u32_e32 vcc, 0, v114
	s_or_b64 s[6:7], vcc, s[6:7]
	s_waitcnt vmcnt(0) lgkmcnt(0)
	v_fma_f64 v[109:110], v[115:116], v[117:118], v[109:110]
	s_andn2_b64 exec, exec, s[6:7]
	s_cbranch_execnz .LBB53_333
; %bb.334:
	s_or_b64 exec, exec, s[6:7]
.LBB53_335:
	s_or_b64 exec, exec, s[12:13]
	v_mov_b32_e32 v114, 0
	ds_read_b64 v[114:115], v114 offset:152
	s_waitcnt lgkmcnt(0)
	v_mul_f64 v[109:110], v[109:110], v[114:115]
	buffer_store_dword v110, off, s[0:3], 0 offset:156
	buffer_store_dword v109, off, s[0:3], 0 offset:152
.LBB53_336:
	s_or_b64 exec, exec, s[8:9]
	buffer_load_dword v109, off, s[0:3], 0 offset:144
	buffer_load_dword v110, off, s[0:3], 0 offset:148
	v_cmp_lt_u32_e64 s[6:7], 18, v0
	s_waitcnt vmcnt(0)
	ds_write_b64 v112, v[109:110]
	s_waitcnt lgkmcnt(0)
	; wave barrier
	s_and_saveexec_b64 s[8:9], s[6:7]
	s_cbranch_execz .LBB53_346
; %bb.337:
	s_andn2_b64 vcc, exec, s[10:11]
	s_cbranch_vccnz .LBB53_339
; %bb.338:
	buffer_load_dword v109, v113, s[0:3], 0 offen
	buffer_load_dword v110, v113, s[0:3], 0 offen offset:4
	ds_read_b64 v[114:115], v112
	s_waitcnt vmcnt(0) lgkmcnt(0)
	v_mul_f64 v[109:110], v[109:110], v[114:115]
	s_cbranch_execz .LBB53_340
	s_branch .LBB53_341
.LBB53_339:
                                        ; implicit-def: $vgpr109_vgpr110
.LBB53_340:
	ds_read_b64 v[109:110], v112
.LBB53_341:
	s_and_saveexec_b64 s[12:13], s[4:5]
	s_cbranch_execz .LBB53_345
; %bb.342:
	v_subrev_u32_e32 v114, 19, v0
	s_movk_i32 s34, 0x248
	s_mov_b64 s[4:5], 0
.LBB53_343:                             ; =>This Inner Loop Header: Depth=1
	v_mov_b32_e32 v117, s33
	buffer_load_dword v115, v117, s[0:3], 0 offen
	buffer_load_dword v116, v117, s[0:3], 0 offen offset:4
	v_mov_b32_e32 v117, s34
	ds_read_b64 v[117:118], v117
	v_add_u32_e32 v114, -1, v114
	s_add_i32 s34, s34, 8
	s_add_i32 s33, s33, 8
	v_cmp_eq_u32_e32 vcc, 0, v114
	s_or_b64 s[4:5], vcc, s[4:5]
	s_waitcnt vmcnt(0) lgkmcnt(0)
	v_fma_f64 v[109:110], v[115:116], v[117:118], v[109:110]
	s_andn2_b64 exec, exec, s[4:5]
	s_cbranch_execnz .LBB53_343
; %bb.344:
	s_or_b64 exec, exec, s[4:5]
.LBB53_345:
	s_or_b64 exec, exec, s[12:13]
	v_mov_b32_e32 v114, 0
	ds_read_b64 v[114:115], v114 offset:144
	s_waitcnt lgkmcnt(0)
	v_mul_f64 v[109:110], v[109:110], v[114:115]
	buffer_store_dword v110, off, s[0:3], 0 offset:148
	buffer_store_dword v109, off, s[0:3], 0 offset:144
.LBB53_346:
	s_or_b64 exec, exec, s[8:9]
	buffer_load_dword v109, off, s[0:3], 0 offset:136
	buffer_load_dword v110, off, s[0:3], 0 offset:140
	v_cmp_lt_u32_e64 s[4:5], 17, v0
	s_waitcnt vmcnt(0)
	ds_write_b64 v112, v[109:110]
	s_waitcnt lgkmcnt(0)
	; wave barrier
	s_and_saveexec_b64 s[8:9], s[4:5]
	s_cbranch_execz .LBB53_356
; %bb.347:
	s_andn2_b64 vcc, exec, s[10:11]
	s_cbranch_vccnz .LBB53_349
; %bb.348:
	buffer_load_dword v109, v113, s[0:3], 0 offen
	buffer_load_dword v110, v113, s[0:3], 0 offen offset:4
	ds_read_b64 v[114:115], v112
	s_waitcnt vmcnt(0) lgkmcnt(0)
	v_mul_f64 v[109:110], v[109:110], v[114:115]
	s_cbranch_execz .LBB53_350
	s_branch .LBB53_351
.LBB53_349:
                                        ; implicit-def: $vgpr109_vgpr110
.LBB53_350:
	ds_read_b64 v[109:110], v112
.LBB53_351:
	s_and_saveexec_b64 s[12:13], s[6:7]
	s_cbranch_execz .LBB53_355
; %bb.352:
	v_subrev_u32_e32 v114, 18, v0
	s_movk_i32 s33, 0x240
	s_mov_b64 s[6:7], 0
.LBB53_353:                             ; =>This Inner Loop Header: Depth=1
	v_mov_b32_e32 v117, s31
	buffer_load_dword v115, v117, s[0:3], 0 offen
	buffer_load_dword v116, v117, s[0:3], 0 offen offset:4
	v_mov_b32_e32 v117, s33
	ds_read_b64 v[117:118], v117
	v_add_u32_e32 v114, -1, v114
	s_add_i32 s33, s33, 8
	s_add_i32 s31, s31, 8
	v_cmp_eq_u32_e32 vcc, 0, v114
	s_or_b64 s[6:7], vcc, s[6:7]
	s_waitcnt vmcnt(0) lgkmcnt(0)
	v_fma_f64 v[109:110], v[115:116], v[117:118], v[109:110]
	s_andn2_b64 exec, exec, s[6:7]
	s_cbranch_execnz .LBB53_353
; %bb.354:
	s_or_b64 exec, exec, s[6:7]
.LBB53_355:
	s_or_b64 exec, exec, s[12:13]
	v_mov_b32_e32 v114, 0
	ds_read_b64 v[114:115], v114 offset:136
	s_waitcnt lgkmcnt(0)
	v_mul_f64 v[109:110], v[109:110], v[114:115]
	buffer_store_dword v110, off, s[0:3], 0 offset:140
	buffer_store_dword v109, off, s[0:3], 0 offset:136
.LBB53_356:
	s_or_b64 exec, exec, s[8:9]
	buffer_load_dword v109, off, s[0:3], 0 offset:128
	buffer_load_dword v110, off, s[0:3], 0 offset:132
	v_cmp_lt_u32_e64 s[6:7], 16, v0
	s_waitcnt vmcnt(0)
	ds_write_b64 v112, v[109:110]
	s_waitcnt lgkmcnt(0)
	; wave barrier
	s_and_saveexec_b64 s[8:9], s[6:7]
	s_cbranch_execz .LBB53_366
; %bb.357:
	s_andn2_b64 vcc, exec, s[10:11]
	s_cbranch_vccnz .LBB53_359
; %bb.358:
	buffer_load_dword v109, v113, s[0:3], 0 offen
	buffer_load_dword v110, v113, s[0:3], 0 offen offset:4
	ds_read_b64 v[114:115], v112
	s_waitcnt vmcnt(0) lgkmcnt(0)
	v_mul_f64 v[109:110], v[109:110], v[114:115]
	s_cbranch_execz .LBB53_360
	s_branch .LBB53_361
.LBB53_359:
                                        ; implicit-def: $vgpr109_vgpr110
.LBB53_360:
	ds_read_b64 v[109:110], v112
.LBB53_361:
	s_and_saveexec_b64 s[12:13], s[4:5]
	s_cbranch_execz .LBB53_365
; %bb.362:
	v_subrev_u32_e32 v114, 17, v0
	s_movk_i32 s31, 0x238
	s_mov_b64 s[4:5], 0
.LBB53_363:                             ; =>This Inner Loop Header: Depth=1
	v_mov_b32_e32 v117, s30
	buffer_load_dword v115, v117, s[0:3], 0 offen
	buffer_load_dword v116, v117, s[0:3], 0 offen offset:4
	v_mov_b32_e32 v117, s31
	ds_read_b64 v[117:118], v117
	v_add_u32_e32 v114, -1, v114
	s_add_i32 s31, s31, 8
	s_add_i32 s30, s30, 8
	v_cmp_eq_u32_e32 vcc, 0, v114
	s_or_b64 s[4:5], vcc, s[4:5]
	s_waitcnt vmcnt(0) lgkmcnt(0)
	v_fma_f64 v[109:110], v[115:116], v[117:118], v[109:110]
	s_andn2_b64 exec, exec, s[4:5]
	s_cbranch_execnz .LBB53_363
; %bb.364:
	s_or_b64 exec, exec, s[4:5]
.LBB53_365:
	s_or_b64 exec, exec, s[12:13]
	v_mov_b32_e32 v114, 0
	ds_read_b64 v[114:115], v114 offset:128
	s_waitcnt lgkmcnt(0)
	v_mul_f64 v[109:110], v[109:110], v[114:115]
	buffer_store_dword v110, off, s[0:3], 0 offset:132
	buffer_store_dword v109, off, s[0:3], 0 offset:128
.LBB53_366:
	s_or_b64 exec, exec, s[8:9]
	buffer_load_dword v109, off, s[0:3], 0 offset:120
	buffer_load_dword v110, off, s[0:3], 0 offset:124
	v_cmp_lt_u32_e64 s[4:5], 15, v0
	s_waitcnt vmcnt(0)
	ds_write_b64 v112, v[109:110]
	s_waitcnt lgkmcnt(0)
	; wave barrier
	s_and_saveexec_b64 s[8:9], s[4:5]
	s_cbranch_execz .LBB53_376
; %bb.367:
	s_andn2_b64 vcc, exec, s[10:11]
	s_cbranch_vccnz .LBB53_369
; %bb.368:
	buffer_load_dword v109, v113, s[0:3], 0 offen
	buffer_load_dword v110, v113, s[0:3], 0 offen offset:4
	ds_read_b64 v[114:115], v112
	s_waitcnt vmcnt(0) lgkmcnt(0)
	v_mul_f64 v[109:110], v[109:110], v[114:115]
	s_cbranch_execz .LBB53_370
	s_branch .LBB53_371
.LBB53_369:
                                        ; implicit-def: $vgpr109_vgpr110
.LBB53_370:
	ds_read_b64 v[109:110], v112
.LBB53_371:
	s_and_saveexec_b64 s[12:13], s[6:7]
	s_cbranch_execz .LBB53_375
; %bb.372:
	v_add_u32_e32 v114, -16, v0
	s_movk_i32 s30, 0x230
	s_mov_b64 s[6:7], 0
.LBB53_373:                             ; =>This Inner Loop Header: Depth=1
	v_mov_b32_e32 v117, s29
	buffer_load_dword v115, v117, s[0:3], 0 offen
	buffer_load_dword v116, v117, s[0:3], 0 offen offset:4
	v_mov_b32_e32 v117, s30
	ds_read_b64 v[117:118], v117
	v_add_u32_e32 v114, -1, v114
	s_add_i32 s30, s30, 8
	s_add_i32 s29, s29, 8
	v_cmp_eq_u32_e32 vcc, 0, v114
	s_or_b64 s[6:7], vcc, s[6:7]
	s_waitcnt vmcnt(0) lgkmcnt(0)
	v_fma_f64 v[109:110], v[115:116], v[117:118], v[109:110]
	s_andn2_b64 exec, exec, s[6:7]
	s_cbranch_execnz .LBB53_373
; %bb.374:
	s_or_b64 exec, exec, s[6:7]
.LBB53_375:
	s_or_b64 exec, exec, s[12:13]
	v_mov_b32_e32 v114, 0
	ds_read_b64 v[114:115], v114 offset:120
	s_waitcnt lgkmcnt(0)
	v_mul_f64 v[109:110], v[109:110], v[114:115]
	buffer_store_dword v110, off, s[0:3], 0 offset:124
	buffer_store_dword v109, off, s[0:3], 0 offset:120
.LBB53_376:
	s_or_b64 exec, exec, s[8:9]
	buffer_load_dword v109, off, s[0:3], 0 offset:112
	buffer_load_dword v110, off, s[0:3], 0 offset:116
	v_cmp_lt_u32_e64 s[6:7], 14, v0
	s_waitcnt vmcnt(0)
	ds_write_b64 v112, v[109:110]
	s_waitcnt lgkmcnt(0)
	; wave barrier
	s_and_saveexec_b64 s[8:9], s[6:7]
	s_cbranch_execz .LBB53_386
; %bb.377:
	s_andn2_b64 vcc, exec, s[10:11]
	s_cbranch_vccnz .LBB53_379
; %bb.378:
	buffer_load_dword v109, v113, s[0:3], 0 offen
	buffer_load_dword v110, v113, s[0:3], 0 offen offset:4
	ds_read_b64 v[114:115], v112
	s_waitcnt vmcnt(0) lgkmcnt(0)
	v_mul_f64 v[109:110], v[109:110], v[114:115]
	s_cbranch_execz .LBB53_380
	s_branch .LBB53_381
.LBB53_379:
                                        ; implicit-def: $vgpr109_vgpr110
.LBB53_380:
	ds_read_b64 v[109:110], v112
.LBB53_381:
	s_and_saveexec_b64 s[12:13], s[4:5]
	s_cbranch_execz .LBB53_385
; %bb.382:
	v_add_u32_e32 v114, -15, v0
	s_movk_i32 s29, 0x228
	s_mov_b64 s[4:5], 0
.LBB53_383:                             ; =>This Inner Loop Header: Depth=1
	v_mov_b32_e32 v117, s28
	buffer_load_dword v115, v117, s[0:3], 0 offen
	buffer_load_dword v116, v117, s[0:3], 0 offen offset:4
	v_mov_b32_e32 v117, s29
	ds_read_b64 v[117:118], v117
	v_add_u32_e32 v114, -1, v114
	s_add_i32 s29, s29, 8
	s_add_i32 s28, s28, 8
	v_cmp_eq_u32_e32 vcc, 0, v114
	s_or_b64 s[4:5], vcc, s[4:5]
	s_waitcnt vmcnt(0) lgkmcnt(0)
	v_fma_f64 v[109:110], v[115:116], v[117:118], v[109:110]
	s_andn2_b64 exec, exec, s[4:5]
	s_cbranch_execnz .LBB53_383
; %bb.384:
	s_or_b64 exec, exec, s[4:5]
.LBB53_385:
	s_or_b64 exec, exec, s[12:13]
	v_mov_b32_e32 v114, 0
	ds_read_b64 v[114:115], v114 offset:112
	s_waitcnt lgkmcnt(0)
	v_mul_f64 v[109:110], v[109:110], v[114:115]
	buffer_store_dword v110, off, s[0:3], 0 offset:116
	buffer_store_dword v109, off, s[0:3], 0 offset:112
.LBB53_386:
	;; [unrolled: 58-line block ×15, first 2 shown]
	s_or_b64 exec, exec, s[8:9]
	buffer_load_dword v109, off, s[0:3], 0
	buffer_load_dword v110, off, s[0:3], 0 offset:4
	v_cmp_ne_u32_e32 vcc, 0, v0
	s_waitcnt vmcnt(0)
	ds_write_b64 v112, v[109:110]
	s_waitcnt lgkmcnt(0)
	; wave barrier
	s_and_saveexec_b64 s[6:7], vcc
	s_cbranch_execz .LBB53_526
; %bb.517:
	s_andn2_b64 vcc, exec, s[10:11]
	s_cbranch_vccnz .LBB53_519
; %bb.518:
	buffer_load_dword v109, v113, s[0:3], 0 offen
	buffer_load_dword v110, v113, s[0:3], 0 offen offset:4
	ds_read_b64 v[114:115], v112
	s_waitcnt vmcnt(0) lgkmcnt(0)
	v_mul_f64 v[109:110], v[109:110], v[114:115]
	s_cbranch_execz .LBB53_520
	s_branch .LBB53_521
.LBB53_519:
                                        ; implicit-def: $vgpr109_vgpr110
.LBB53_520:
	ds_read_b64 v[109:110], v112
.LBB53_521:
	s_and_saveexec_b64 s[8:9], s[4:5]
	s_cbranch_execz .LBB53_525
; %bb.522:
	v_add_u32_e32 v114, -1, v0
	s_movk_i32 s12, 0x1b8
	s_mov_b64 s[4:5], 0
.LBB53_523:                             ; =>This Inner Loop Header: Depth=1
	v_mov_b32_e32 v117, s14
	buffer_load_dword v115, v117, s[0:3], 0 offen
	buffer_load_dword v116, v117, s[0:3], 0 offen offset:4
	v_mov_b32_e32 v117, s12
	ds_read_b64 v[117:118], v117
	v_add_u32_e32 v114, -1, v114
	s_add_i32 s12, s12, 8
	s_add_i32 s14, s14, 8
	v_cmp_eq_u32_e32 vcc, 0, v114
	s_or_b64 s[4:5], vcc, s[4:5]
	s_waitcnt vmcnt(0) lgkmcnt(0)
	v_fma_f64 v[109:110], v[115:116], v[117:118], v[109:110]
	s_andn2_b64 exec, exec, s[4:5]
	s_cbranch_execnz .LBB53_523
; %bb.524:
	s_or_b64 exec, exec, s[4:5]
.LBB53_525:
	s_or_b64 exec, exec, s[8:9]
	v_mov_b32_e32 v114, 0
	ds_read_b64 v[114:115], v114
	s_waitcnt lgkmcnt(0)
	v_mul_f64 v[109:110], v[109:110], v[114:115]
	buffer_store_dword v110, off, s[0:3], 0 offset:4
	buffer_store_dword v109, off, s[0:3], 0
.LBB53_526:
	s_or_b64 exec, exec, s[6:7]
	s_mov_b64 s[4:5], 0
.LBB53_527:
	s_and_b64 vcc, exec, s[4:5]
	s_cbranch_vccz .LBB53_1049
; %bb.528:
	buffer_load_dword v109, off, s[0:3], 0 offset:8
	buffer_load_dword v110, off, s[0:3], 0 offset:12
	v_cmp_eq_u32_e64 s[6:7], 0, v0
	s_waitcnt vmcnt(0)
	ds_write_b64 v112, v[109:110]
	s_waitcnt lgkmcnt(0)
	; wave barrier
	s_and_saveexec_b64 s[4:5], s[6:7]
	s_cbranch_execz .LBB53_534
; %bb.529:
	s_and_b64 vcc, exec, s[10:11]
	s_cbranch_vccz .LBB53_531
; %bb.530:
	buffer_load_dword v109, v113, s[0:3], 0 offen
	buffer_load_dword v110, v113, s[0:3], 0 offen offset:4
	ds_read_b64 v[114:115], v112
	s_waitcnt vmcnt(0) lgkmcnt(0)
	v_mul_f64 v[109:110], v[109:110], v[114:115]
	s_cbranch_execz .LBB53_532
	s_branch .LBB53_533
.LBB53_531:
                                        ; implicit-def: $vgpr109_vgpr110
.LBB53_532:
	ds_read_b64 v[109:110], v112
.LBB53_533:
	v_mov_b32_e32 v114, 0
	ds_read_b64 v[114:115], v114 offset:8
	s_waitcnt lgkmcnt(0)
	v_mul_f64 v[109:110], v[109:110], v[114:115]
	buffer_store_dword v110, off, s[0:3], 0 offset:12
	buffer_store_dword v109, off, s[0:3], 0 offset:8
.LBB53_534:
	s_or_b64 exec, exec, s[4:5]
	buffer_load_dword v109, off, s[0:3], 0 offset:16
	buffer_load_dword v110, off, s[0:3], 0 offset:20
	v_cndmask_b32_e64 v114, 0, 1, s[10:11]
	v_cmp_gt_u32_e32 vcc, 2, v0
	v_cmp_ne_u32_e64 s[4:5], 1, v114
	s_waitcnt vmcnt(0)
	ds_write_b64 v112, v[109:110]
	s_waitcnt lgkmcnt(0)
	; wave barrier
	s_and_saveexec_b64 s[8:9], vcc
	s_cbranch_execz .LBB53_540
; %bb.535:
	s_and_b64 vcc, exec, s[4:5]
	s_cbranch_vccnz .LBB53_537
; %bb.536:
	buffer_load_dword v109, v113, s[0:3], 0 offen
	buffer_load_dword v110, v113, s[0:3], 0 offen offset:4
	ds_read_b64 v[114:115], v112
	s_waitcnt vmcnt(0) lgkmcnt(0)
	v_mul_f64 v[109:110], v[109:110], v[114:115]
	s_cbranch_execz .LBB53_538
	s_branch .LBB53_539
.LBB53_537:
                                        ; implicit-def: $vgpr109_vgpr110
.LBB53_538:
	ds_read_b64 v[109:110], v112
.LBB53_539:
	buffer_load_dword v118, off, s[0:3], 0 offset:8
	buffer_load_dword v119, off, s[0:3], 0 offset:12
	v_mov_b32_e32 v114, 0
	ds_read2_b64 v[114:117], v114 offset0:2 offset1:55
	s_waitcnt vmcnt(0) lgkmcnt(0)
	v_fma_f64 v[116:117], v[118:119], v[116:117], v[109:110]
	v_cndmask_b32_e64 v110, v110, v117, s[6:7]
	v_cndmask_b32_e64 v109, v109, v116, s[6:7]
	v_mul_f64 v[109:110], v[109:110], v[114:115]
	buffer_store_dword v110, off, s[0:3], 0 offset:20
	buffer_store_dword v109, off, s[0:3], 0 offset:16
.LBB53_540:
	s_or_b64 exec, exec, s[8:9]
	buffer_load_dword v109, off, s[0:3], 0 offset:24
	buffer_load_dword v110, off, s[0:3], 0 offset:28
	v_cmp_gt_u32_e32 vcc, 3, v0
	s_waitcnt vmcnt(0)
	ds_write_b64 v112, v[109:110]
	s_waitcnt lgkmcnt(0)
	; wave barrier
	s_and_saveexec_b64 s[8:9], vcc
	s_cbranch_execz .LBB53_548
; %bb.541:
	s_and_b64 vcc, exec, s[4:5]
	s_cbranch_vccnz .LBB53_543
; %bb.542:
	buffer_load_dword v109, v113, s[0:3], 0 offen
	buffer_load_dword v110, v113, s[0:3], 0 offen offset:4
	ds_read_b64 v[114:115], v112
	s_waitcnt vmcnt(0) lgkmcnt(0)
	v_mul_f64 v[109:110], v[109:110], v[114:115]
	s_cbranch_execz .LBB53_544
	s_branch .LBB53_545
.LBB53_543:
                                        ; implicit-def: $vgpr109_vgpr110
.LBB53_544:
	ds_read_b64 v[109:110], v112
.LBB53_545:
	v_cmp_ne_u32_e32 vcc, 2, v0
	s_and_saveexec_b64 s[10:11], vcc
	s_cbranch_execz .LBB53_547
; %bb.546:
	buffer_load_dword v114, v113, s[0:3], 0 offen offset:8
	buffer_load_dword v115, v113, s[0:3], 0 offen offset:12
	buffer_load_dword v116, off, s[0:3], 0 offset:16
	buffer_load_dword v117, off, s[0:3], 0 offset:20
	ds_read_b64 v[118:119], v112 offset:8
	v_mov_b32_e32 v120, 0
	ds_read_b64 v[120:121], v120 offset:448
	s_waitcnt vmcnt(2) lgkmcnt(1)
	v_fma_f64 v[109:110], v[114:115], v[118:119], v[109:110]
	s_waitcnt vmcnt(0) lgkmcnt(0)
	v_fma_f64 v[114:115], v[116:117], v[120:121], v[109:110]
	v_cndmask_b32_e64 v110, v110, v115, s[6:7]
	v_cndmask_b32_e64 v109, v109, v114, s[6:7]
.LBB53_547:
	s_or_b64 exec, exec, s[10:11]
	v_mov_b32_e32 v114, 0
	ds_read_b64 v[114:115], v114 offset:24
	s_waitcnt lgkmcnt(0)
	v_mul_f64 v[109:110], v[109:110], v[114:115]
	buffer_store_dword v110, off, s[0:3], 0 offset:28
	buffer_store_dword v109, off, s[0:3], 0 offset:24
.LBB53_548:
	s_or_b64 exec, exec, s[8:9]
	buffer_load_dword v109, off, s[0:3], 0 offset:32
	buffer_load_dword v110, off, s[0:3], 0 offset:36
	v_cmp_gt_u32_e32 vcc, 4, v0
	s_waitcnt vmcnt(0)
	ds_write_b64 v112, v[109:110]
	s_waitcnt lgkmcnt(0)
	; wave barrier
	s_and_saveexec_b64 s[6:7], vcc
	s_cbranch_execz .LBB53_558
; %bb.549:
	s_and_b64 vcc, exec, s[4:5]
	s_cbranch_vccnz .LBB53_551
; %bb.550:
	buffer_load_dword v109, v113, s[0:3], 0 offen
	buffer_load_dword v110, v113, s[0:3], 0 offen offset:4
	ds_read_b64 v[114:115], v112
	s_waitcnt vmcnt(0) lgkmcnt(0)
	v_mul_f64 v[109:110], v[109:110], v[114:115]
	s_cbranch_execz .LBB53_552
	s_branch .LBB53_553
.LBB53_551:
                                        ; implicit-def: $vgpr109_vgpr110
.LBB53_552:
	ds_read_b64 v[109:110], v112
.LBB53_553:
	v_cmp_ne_u32_e32 vcc, 3, v0
	s_and_saveexec_b64 s[8:9], vcc
	s_cbranch_execz .LBB53_557
; %bb.554:
	s_mov_b32 s10, 0
	v_add_u32_e32 v114, 0x1b8, v111
	v_add3_u32 v115, v111, s10, 8
	s_mov_b64 s[10:11], 0
	v_mov_b32_e32 v116, v0
.LBB53_555:                             ; =>This Inner Loop Header: Depth=1
	buffer_load_dword v117, v115, s[0:3], 0 offen
	buffer_load_dword v118, v115, s[0:3], 0 offen offset:4
	ds_read_b64 v[119:120], v114
	v_add_u32_e32 v116, 1, v116
	v_cmp_lt_u32_e32 vcc, 2, v116
	v_add_u32_e32 v114, 8, v114
	s_or_b64 s[10:11], vcc, s[10:11]
	v_add_u32_e32 v115, 8, v115
	s_waitcnt vmcnt(0) lgkmcnt(0)
	v_fma_f64 v[109:110], v[117:118], v[119:120], v[109:110]
	s_andn2_b64 exec, exec, s[10:11]
	s_cbranch_execnz .LBB53_555
; %bb.556:
	s_or_b64 exec, exec, s[10:11]
.LBB53_557:
	s_or_b64 exec, exec, s[8:9]
	v_mov_b32_e32 v114, 0
	ds_read_b64 v[114:115], v114 offset:32
	s_waitcnt lgkmcnt(0)
	v_mul_f64 v[109:110], v[109:110], v[114:115]
	buffer_store_dword v110, off, s[0:3], 0 offset:36
	buffer_store_dword v109, off, s[0:3], 0 offset:32
.LBB53_558:
	s_or_b64 exec, exec, s[6:7]
	buffer_load_dword v109, off, s[0:3], 0 offset:40
	buffer_load_dword v110, off, s[0:3], 0 offset:44
	v_cmp_gt_u32_e32 vcc, 5, v0
	s_waitcnt vmcnt(0)
	ds_write_b64 v112, v[109:110]
	s_waitcnt lgkmcnt(0)
	; wave barrier
	s_and_saveexec_b64 s[6:7], vcc
	s_cbranch_execz .LBB53_568
; %bb.559:
	s_and_b64 vcc, exec, s[4:5]
	s_cbranch_vccnz .LBB53_561
; %bb.560:
	buffer_load_dword v109, v113, s[0:3], 0 offen
	buffer_load_dword v110, v113, s[0:3], 0 offen offset:4
	ds_read_b64 v[114:115], v112
	s_waitcnt vmcnt(0) lgkmcnt(0)
	v_mul_f64 v[109:110], v[109:110], v[114:115]
	s_cbranch_execz .LBB53_562
	s_branch .LBB53_563
.LBB53_561:
                                        ; implicit-def: $vgpr109_vgpr110
.LBB53_562:
	ds_read_b64 v[109:110], v112
.LBB53_563:
	v_cmp_ne_u32_e32 vcc, 4, v0
	s_and_saveexec_b64 s[8:9], vcc
	s_cbranch_execz .LBB53_567
; %bb.564:
	s_mov_b32 s10, 0
	v_add_u32_e32 v114, 0x1b8, v111
	v_add3_u32 v115, v111, s10, 8
	s_mov_b64 s[10:11], 0
	v_mov_b32_e32 v116, v0
.LBB53_565:                             ; =>This Inner Loop Header: Depth=1
	buffer_load_dword v117, v115, s[0:3], 0 offen
	buffer_load_dword v118, v115, s[0:3], 0 offen offset:4
	ds_read_b64 v[119:120], v114
	v_add_u32_e32 v116, 1, v116
	v_cmp_lt_u32_e32 vcc, 3, v116
	v_add_u32_e32 v114, 8, v114
	s_or_b64 s[10:11], vcc, s[10:11]
	v_add_u32_e32 v115, 8, v115
	s_waitcnt vmcnt(0) lgkmcnt(0)
	v_fma_f64 v[109:110], v[117:118], v[119:120], v[109:110]
	s_andn2_b64 exec, exec, s[10:11]
	s_cbranch_execnz .LBB53_565
; %bb.566:
	s_or_b64 exec, exec, s[10:11]
.LBB53_567:
	s_or_b64 exec, exec, s[8:9]
	v_mov_b32_e32 v114, 0
	ds_read_b64 v[114:115], v114 offset:40
	s_waitcnt lgkmcnt(0)
	v_mul_f64 v[109:110], v[109:110], v[114:115]
	buffer_store_dword v110, off, s[0:3], 0 offset:44
	buffer_store_dword v109, off, s[0:3], 0 offset:40
.LBB53_568:
	;; [unrolled: 59-line block ×45, first 2 shown]
	s_or_b64 exec, exec, s[6:7]
	buffer_load_dword v109, off, s[0:3], 0 offset:392
	buffer_load_dword v110, off, s[0:3], 0 offset:396
	v_cmp_gt_u32_e32 vcc, 49, v0
	s_waitcnt vmcnt(0)
	ds_write_b64 v112, v[109:110]
	s_waitcnt lgkmcnt(0)
	; wave barrier
	s_and_saveexec_b64 s[6:7], vcc
	s_cbranch_execz .LBB53_1008
; %bb.999:
	s_and_b64 vcc, exec, s[4:5]
	s_cbranch_vccnz .LBB53_1001
; %bb.1000:
	buffer_load_dword v109, v113, s[0:3], 0 offen
	buffer_load_dword v110, v113, s[0:3], 0 offen offset:4
	ds_read_b64 v[114:115], v112
	s_waitcnt vmcnt(0) lgkmcnt(0)
	v_mul_f64 v[109:110], v[109:110], v[114:115]
	s_cbranch_execz .LBB53_1002
	s_branch .LBB53_1003
.LBB53_1001:
                                        ; implicit-def: $vgpr109_vgpr110
.LBB53_1002:
	ds_read_b64 v[109:110], v112
.LBB53_1003:
	v_cmp_ne_u32_e32 vcc, 48, v0
	s_and_saveexec_b64 s[8:9], vcc
	s_cbranch_execz .LBB53_1007
; %bb.1004:
	s_mov_b32 s10, 0
	v_add_u32_e32 v114, 0x1b8, v111
	v_add3_u32 v115, v111, s10, 8
	s_mov_b64 s[10:11], 0
	v_mov_b32_e32 v116, v0
.LBB53_1005:                            ; =>This Inner Loop Header: Depth=1
	buffer_load_dword v117, v115, s[0:3], 0 offen
	buffer_load_dword v118, v115, s[0:3], 0 offen offset:4
	ds_read_b64 v[119:120], v114
	v_add_u32_e32 v116, 1, v116
	v_cmp_lt_u32_e32 vcc, 47, v116
	v_add_u32_e32 v114, 8, v114
	s_or_b64 s[10:11], vcc, s[10:11]
	v_add_u32_e32 v115, 8, v115
	s_waitcnt vmcnt(0) lgkmcnt(0)
	v_fma_f64 v[109:110], v[117:118], v[119:120], v[109:110]
	s_andn2_b64 exec, exec, s[10:11]
	s_cbranch_execnz .LBB53_1005
; %bb.1006:
	s_or_b64 exec, exec, s[10:11]
.LBB53_1007:
	s_or_b64 exec, exec, s[8:9]
	v_mov_b32_e32 v114, 0
	ds_read_b64 v[114:115], v114 offset:392
	s_waitcnt lgkmcnt(0)
	v_mul_f64 v[109:110], v[109:110], v[114:115]
	buffer_store_dword v110, off, s[0:3], 0 offset:396
	buffer_store_dword v109, off, s[0:3], 0 offset:392
.LBB53_1008:
	s_or_b64 exec, exec, s[6:7]
	buffer_load_dword v109, off, s[0:3], 0 offset:400
	buffer_load_dword v110, off, s[0:3], 0 offset:404
	v_cmp_gt_u32_e32 vcc, 50, v0
	s_waitcnt vmcnt(0)
	ds_write_b64 v112, v[109:110]
	s_waitcnt lgkmcnt(0)
	; wave barrier
	s_and_saveexec_b64 s[6:7], vcc
	s_cbranch_execz .LBB53_1018
; %bb.1009:
	s_and_b64 vcc, exec, s[4:5]
	s_cbranch_vccnz .LBB53_1011
; %bb.1010:
	buffer_load_dword v109, v113, s[0:3], 0 offen
	buffer_load_dword v110, v113, s[0:3], 0 offen offset:4
	ds_read_b64 v[114:115], v112
	s_waitcnt vmcnt(0) lgkmcnt(0)
	v_mul_f64 v[109:110], v[109:110], v[114:115]
	s_cbranch_execz .LBB53_1012
	s_branch .LBB53_1013
.LBB53_1011:
                                        ; implicit-def: $vgpr109_vgpr110
.LBB53_1012:
	ds_read_b64 v[109:110], v112
.LBB53_1013:
	v_cmp_ne_u32_e32 vcc, 49, v0
	s_and_saveexec_b64 s[8:9], vcc
	s_cbranch_execz .LBB53_1017
; %bb.1014:
	s_mov_b32 s10, 0
	v_add_u32_e32 v114, 0x1b8, v111
	v_add3_u32 v115, v111, s10, 8
	s_mov_b64 s[10:11], 0
	v_mov_b32_e32 v116, v0
.LBB53_1015:                            ; =>This Inner Loop Header: Depth=1
	buffer_load_dword v117, v115, s[0:3], 0 offen
	buffer_load_dword v118, v115, s[0:3], 0 offen offset:4
	ds_read_b64 v[119:120], v114
	v_add_u32_e32 v116, 1, v116
	v_cmp_lt_u32_e32 vcc, 48, v116
	v_add_u32_e32 v114, 8, v114
	s_or_b64 s[10:11], vcc, s[10:11]
	v_add_u32_e32 v115, 8, v115
	s_waitcnt vmcnt(0) lgkmcnt(0)
	v_fma_f64 v[109:110], v[117:118], v[119:120], v[109:110]
	s_andn2_b64 exec, exec, s[10:11]
	s_cbranch_execnz .LBB53_1015
; %bb.1016:
	s_or_b64 exec, exec, s[10:11]
.LBB53_1017:
	s_or_b64 exec, exec, s[8:9]
	v_mov_b32_e32 v114, 0
	ds_read_b64 v[114:115], v114 offset:400
	s_waitcnt lgkmcnt(0)
	v_mul_f64 v[109:110], v[109:110], v[114:115]
	buffer_store_dword v110, off, s[0:3], 0 offset:404
	buffer_store_dword v109, off, s[0:3], 0 offset:400
.LBB53_1018:
	;; [unrolled: 59-line block ×3, first 2 shown]
	s_or_b64 exec, exec, s[6:7]
	buffer_load_dword v109, off, s[0:3], 0 offset:416
	buffer_load_dword v110, off, s[0:3], 0 offset:420
	v_cmp_gt_u32_e64 s[6:7], 52, v0
	s_waitcnt vmcnt(0)
	ds_write_b64 v112, v[109:110]
	s_waitcnt lgkmcnt(0)
	; wave barrier
	s_and_saveexec_b64 s[8:9], s[6:7]
	s_cbranch_execz .LBB53_1038
; %bb.1029:
	s_and_b64 vcc, exec, s[4:5]
	s_cbranch_vccnz .LBB53_1031
; %bb.1030:
	buffer_load_dword v109, v113, s[0:3], 0 offen
	buffer_load_dword v110, v113, s[0:3], 0 offen offset:4
	ds_read_b64 v[114:115], v112
	s_waitcnt vmcnt(0) lgkmcnt(0)
	v_mul_f64 v[109:110], v[109:110], v[114:115]
	s_cbranch_execz .LBB53_1032
	s_branch .LBB53_1033
.LBB53_1031:
                                        ; implicit-def: $vgpr109_vgpr110
.LBB53_1032:
	ds_read_b64 v[109:110], v112
.LBB53_1033:
	v_cmp_ne_u32_e32 vcc, 51, v0
	s_and_saveexec_b64 s[10:11], vcc
	s_cbranch_execz .LBB53_1037
; %bb.1034:
	s_mov_b32 s12, 0
	v_add_u32_e32 v114, 0x1b8, v111
	v_add3_u32 v115, v111, s12, 8
	s_mov_b64 s[12:13], 0
	v_mov_b32_e32 v116, v0
.LBB53_1035:                            ; =>This Inner Loop Header: Depth=1
	buffer_load_dword v117, v115, s[0:3], 0 offen
	buffer_load_dword v118, v115, s[0:3], 0 offen offset:4
	ds_read_b64 v[119:120], v114
	v_add_u32_e32 v116, 1, v116
	v_cmp_lt_u32_e32 vcc, 50, v116
	v_add_u32_e32 v114, 8, v114
	s_or_b64 s[12:13], vcc, s[12:13]
	v_add_u32_e32 v115, 8, v115
	s_waitcnt vmcnt(0) lgkmcnt(0)
	v_fma_f64 v[109:110], v[117:118], v[119:120], v[109:110]
	s_andn2_b64 exec, exec, s[12:13]
	s_cbranch_execnz .LBB53_1035
; %bb.1036:
	s_or_b64 exec, exec, s[12:13]
.LBB53_1037:
	s_or_b64 exec, exec, s[10:11]
	v_mov_b32_e32 v114, 0
	ds_read_b64 v[114:115], v114 offset:416
	s_waitcnt lgkmcnt(0)
	v_mul_f64 v[109:110], v[109:110], v[114:115]
	buffer_store_dword v110, off, s[0:3], 0 offset:420
	buffer_store_dword v109, off, s[0:3], 0 offset:416
.LBB53_1038:
	s_or_b64 exec, exec, s[8:9]
	buffer_load_dword v109, off, s[0:3], 0 offset:424
	buffer_load_dword v110, off, s[0:3], 0 offset:428
	v_cmp_ne_u32_e32 vcc, 53, v0
	s_waitcnt vmcnt(0)
	ds_write_b64 v112, v[109:110]
	s_waitcnt lgkmcnt(0)
	; wave barrier
	s_and_saveexec_b64 s[8:9], vcc
	s_cbranch_execz .LBB53_1048
; %bb.1039:
	s_and_b64 vcc, exec, s[4:5]
	s_cbranch_vccnz .LBB53_1041
; %bb.1040:
	buffer_load_dword v109, v113, s[0:3], 0 offen
	buffer_load_dword v110, v113, s[0:3], 0 offen offset:4
	ds_read_b64 v[113:114], v112
	s_waitcnt vmcnt(0) lgkmcnt(0)
	v_mul_f64 v[109:110], v[109:110], v[113:114]
	s_cbranch_execz .LBB53_1042
	s_branch .LBB53_1043
.LBB53_1041:
                                        ; implicit-def: $vgpr109_vgpr110
.LBB53_1042:
	ds_read_b64 v[109:110], v112
.LBB53_1043:
	s_and_saveexec_b64 s[4:5], s[6:7]
	s_cbranch_execz .LBB53_1047
; %bb.1044:
	s_mov_b32 s6, 0
	v_add_u32_e32 v112, 0x1b8, v111
	v_add3_u32 v111, v111, s6, 8
	s_mov_b64 s[6:7], 0
.LBB53_1045:                            ; =>This Inner Loop Header: Depth=1
	buffer_load_dword v113, v111, s[0:3], 0 offen
	buffer_load_dword v114, v111, s[0:3], 0 offen offset:4
	ds_read_b64 v[115:116], v112
	v_add_u32_e32 v0, 1, v0
	v_cmp_lt_u32_e32 vcc, 51, v0
	v_add_u32_e32 v112, 8, v112
	s_or_b64 s[6:7], vcc, s[6:7]
	v_add_u32_e32 v111, 8, v111
	s_waitcnt vmcnt(0) lgkmcnt(0)
	v_fma_f64 v[109:110], v[113:114], v[115:116], v[109:110]
	s_andn2_b64 exec, exec, s[6:7]
	s_cbranch_execnz .LBB53_1045
; %bb.1046:
	s_or_b64 exec, exec, s[6:7]
.LBB53_1047:
	s_or_b64 exec, exec, s[4:5]
	v_mov_b32_e32 v0, 0
	ds_read_b64 v[111:112], v0 offset:424
	s_waitcnt lgkmcnt(0)
	v_mul_f64 v[109:110], v[109:110], v[111:112]
	buffer_store_dword v110, off, s[0:3], 0 offset:428
	buffer_store_dword v109, off, s[0:3], 0 offset:424
.LBB53_1048:
	s_or_b64 exec, exec, s[8:9]
.LBB53_1049:
	buffer_load_dword v109, off, s[0:3], 0
	buffer_load_dword v110, off, s[0:3], 0 offset:4
	buffer_load_dword v111, off, s[0:3], 0 offset:8
	;; [unrolled: 1-line block ×15, first 2 shown]
	s_waitcnt vmcnt(14)
	global_store_dwordx2 v[105:106], v[109:110], off
	s_waitcnt vmcnt(13)
	global_store_dwordx2 v[107:108], v[111:112], off
	buffer_load_dword v106, off, s[0:3], 0 offset:68
	s_nop 0
	buffer_load_dword v107, off, s[0:3], 0 offset:72
	buffer_load_dword v108, off, s[0:3], 0 offset:76
	;; [unrolled: 1-line block ×7, first 2 shown]
	s_waitcnt vmcnt(20)
	global_store_dwordx2 v[1:2], v[113:114], off
	s_waitcnt vmcnt(19)
	global_store_dwordx2 v[7:8], v[115:116], off
	buffer_load_dword v0, off, s[0:3], 0 offset:96
	buffer_load_dword v1, off, s[0:3], 0 offset:100
	s_nop 0
	buffer_load_dword v7, off, s[0:3], 0 offset:104
	buffer_load_dword v8, off, s[0:3], 0 offset:108
	buffer_load_dword v113, off, s[0:3], 0 offset:112
	buffer_load_dword v114, off, s[0:3], 0 offset:116
	buffer_load_dword v115, off, s[0:3], 0 offset:120
	buffer_load_dword v116, off, s[0:3], 0 offset:124
	s_waitcnt vmcnt(26)
	global_store_dwordx2 v[3:4], v[117:118], off
	s_waitcnt vmcnt(25)
	global_store_dwordx2 v[11:12], v[119:120], off
	buffer_load_dword v2, off, s[0:3], 0 offset:128
	buffer_load_dword v3, off, s[0:3], 0 offset:132
	s_nop 0
	buffer_load_dword v11, off, s[0:3], 0 offset:136
	buffer_load_dword v12, off, s[0:3], 0 offset:140
	buffer_load_dword v117, off, s[0:3], 0 offset:144
	buffer_load_dword v118, off, s[0:3], 0 offset:148
	buffer_load_dword v119, off, s[0:3], 0 offset:152
	buffer_load_dword v120, off, s[0:3], 0 offset:156
	;; [unrolled: 13-line block ×3, first 2 shown]
	s_waitcnt vmcnt(30)
	global_store_dwordx2 v[9:10], v[105:106], off
	global_store_dwordx2 v[17:18], v[107:108], off
	buffer_load_dword v9, off, s[0:3], 0 offset:192
	s_nop 0
	buffer_load_dword v10, off, s[0:3], 0 offset:196
	buffer_load_dword v17, off, s[0:3], 0 offset:200
	;; [unrolled: 1-line block ×7, first 2 shown]
	s_nop 0
	global_store_dwordx2 v[15:16], v[109:110], off
	global_store_dwordx2 v[19:20], v[111:112], off
	s_waitcnt vmcnt(38)
	global_store_dwordx2 v[21:22], v[0:1], off
	s_waitcnt vmcnt(37)
	;; [unrolled: 2-line block ×11, first 2 shown]
	global_store_dwordx2 v[59:60], v[121:122], off
	buffer_load_dword v0, off, s[0:3], 0 offset:224
	buffer_load_dword v1, off, s[0:3], 0 offset:228
	;; [unrolled: 1-line block ×52, first 2 shown]
	s_waitcnt vmcnt(62)
	global_store_dwordx2 v[25:26], v[123:124], off
	global_store_dwordx2 v[29:30], v[9:10], off
	;; [unrolled: 1-line block ×5, first 2 shown]
	s_waitcnt vmcnt(55)
	global_store_dwordx2 v[45:46], v[0:1], off
	s_waitcnt vmcnt(54)
	global_store_dwordx2 v[49:50], v[2:3], off
	;; [unrolled: 2-line block ×26, first 2 shown]
.LBB53_1050:
	s_endpgm
	.section	.rodata,"a",@progbits
	.p2align	6, 0x0
	.amdhsa_kernel _ZN9rocsolver6v33100L18trti2_kernel_smallILi54EdPdEEv13rocblas_fill_17rocblas_diagonal_T1_iil
		.amdhsa_group_segment_fixed_size 864
		.amdhsa_private_segment_fixed_size 448
		.amdhsa_kernarg_size 32
		.amdhsa_user_sgpr_count 6
		.amdhsa_user_sgpr_private_segment_buffer 1
		.amdhsa_user_sgpr_dispatch_ptr 0
		.amdhsa_user_sgpr_queue_ptr 0
		.amdhsa_user_sgpr_kernarg_segment_ptr 1
		.amdhsa_user_sgpr_dispatch_id 0
		.amdhsa_user_sgpr_flat_scratch_init 0
		.amdhsa_user_sgpr_private_segment_size 0
		.amdhsa_uses_dynamic_stack 0
		.amdhsa_system_sgpr_private_segment_wavefront_offset 1
		.amdhsa_system_sgpr_workgroup_id_x 1
		.amdhsa_system_sgpr_workgroup_id_y 0
		.amdhsa_system_sgpr_workgroup_id_z 0
		.amdhsa_system_sgpr_workgroup_info 0
		.amdhsa_system_vgpr_workitem_id 0
		.amdhsa_next_free_vgpr 125
		.amdhsa_next_free_sgpr 67
		.amdhsa_reserve_vcc 1
		.amdhsa_reserve_flat_scratch 0
		.amdhsa_float_round_mode_32 0
		.amdhsa_float_round_mode_16_64 0
		.amdhsa_float_denorm_mode_32 3
		.amdhsa_float_denorm_mode_16_64 3
		.amdhsa_dx10_clamp 1
		.amdhsa_ieee_mode 1
		.amdhsa_fp16_overflow 0
		.amdhsa_exception_fp_ieee_invalid_op 0
		.amdhsa_exception_fp_denorm_src 0
		.amdhsa_exception_fp_ieee_div_zero 0
		.amdhsa_exception_fp_ieee_overflow 0
		.amdhsa_exception_fp_ieee_underflow 0
		.amdhsa_exception_fp_ieee_inexact 0
		.amdhsa_exception_int_div_zero 0
	.end_amdhsa_kernel
	.section	.text._ZN9rocsolver6v33100L18trti2_kernel_smallILi54EdPdEEv13rocblas_fill_17rocblas_diagonal_T1_iil,"axG",@progbits,_ZN9rocsolver6v33100L18trti2_kernel_smallILi54EdPdEEv13rocblas_fill_17rocblas_diagonal_T1_iil,comdat
.Lfunc_end53:
	.size	_ZN9rocsolver6v33100L18trti2_kernel_smallILi54EdPdEEv13rocblas_fill_17rocblas_diagonal_T1_iil, .Lfunc_end53-_ZN9rocsolver6v33100L18trti2_kernel_smallILi54EdPdEEv13rocblas_fill_17rocblas_diagonal_T1_iil
                                        ; -- End function
	.set _ZN9rocsolver6v33100L18trti2_kernel_smallILi54EdPdEEv13rocblas_fill_17rocblas_diagonal_T1_iil.num_vgpr, 125
	.set _ZN9rocsolver6v33100L18trti2_kernel_smallILi54EdPdEEv13rocblas_fill_17rocblas_diagonal_T1_iil.num_agpr, 0
	.set _ZN9rocsolver6v33100L18trti2_kernel_smallILi54EdPdEEv13rocblas_fill_17rocblas_diagonal_T1_iil.numbered_sgpr, 67
	.set _ZN9rocsolver6v33100L18trti2_kernel_smallILi54EdPdEEv13rocblas_fill_17rocblas_diagonal_T1_iil.num_named_barrier, 0
	.set _ZN9rocsolver6v33100L18trti2_kernel_smallILi54EdPdEEv13rocblas_fill_17rocblas_diagonal_T1_iil.private_seg_size, 448
	.set _ZN9rocsolver6v33100L18trti2_kernel_smallILi54EdPdEEv13rocblas_fill_17rocblas_diagonal_T1_iil.uses_vcc, 1
	.set _ZN9rocsolver6v33100L18trti2_kernel_smallILi54EdPdEEv13rocblas_fill_17rocblas_diagonal_T1_iil.uses_flat_scratch, 0
	.set _ZN9rocsolver6v33100L18trti2_kernel_smallILi54EdPdEEv13rocblas_fill_17rocblas_diagonal_T1_iil.has_dyn_sized_stack, 0
	.set _ZN9rocsolver6v33100L18trti2_kernel_smallILi54EdPdEEv13rocblas_fill_17rocblas_diagonal_T1_iil.has_recursion, 0
	.set _ZN9rocsolver6v33100L18trti2_kernel_smallILi54EdPdEEv13rocblas_fill_17rocblas_diagonal_T1_iil.has_indirect_call, 0
	.section	.AMDGPU.csdata,"",@progbits
; Kernel info:
; codeLenInByte = 31884
; TotalNumSgprs: 71
; NumVgprs: 125
; ScratchSize: 448
; MemoryBound: 0
; FloatMode: 240
; IeeeMode: 1
; LDSByteSize: 864 bytes/workgroup (compile time only)
; SGPRBlocks: 8
; VGPRBlocks: 31
; NumSGPRsForWavesPerEU: 71
; NumVGPRsForWavesPerEU: 125
; Occupancy: 2
; WaveLimiterHint : 0
; COMPUTE_PGM_RSRC2:SCRATCH_EN: 1
; COMPUTE_PGM_RSRC2:USER_SGPR: 6
; COMPUTE_PGM_RSRC2:TRAP_HANDLER: 0
; COMPUTE_PGM_RSRC2:TGID_X_EN: 1
; COMPUTE_PGM_RSRC2:TGID_Y_EN: 0
; COMPUTE_PGM_RSRC2:TGID_Z_EN: 0
; COMPUTE_PGM_RSRC2:TIDIG_COMP_CNT: 0
	.section	.text._ZN9rocsolver6v33100L18trti2_kernel_smallILi55EdPdEEv13rocblas_fill_17rocblas_diagonal_T1_iil,"axG",@progbits,_ZN9rocsolver6v33100L18trti2_kernel_smallILi55EdPdEEv13rocblas_fill_17rocblas_diagonal_T1_iil,comdat
	.globl	_ZN9rocsolver6v33100L18trti2_kernel_smallILi55EdPdEEv13rocblas_fill_17rocblas_diagonal_T1_iil ; -- Begin function _ZN9rocsolver6v33100L18trti2_kernel_smallILi55EdPdEEv13rocblas_fill_17rocblas_diagonal_T1_iil
	.p2align	8
	.type	_ZN9rocsolver6v33100L18trti2_kernel_smallILi55EdPdEEv13rocblas_fill_17rocblas_diagonal_T1_iil,@function
_ZN9rocsolver6v33100L18trti2_kernel_smallILi55EdPdEEv13rocblas_fill_17rocblas_diagonal_T1_iil: ; @_ZN9rocsolver6v33100L18trti2_kernel_smallILi55EdPdEEv13rocblas_fill_17rocblas_diagonal_T1_iil
; %bb.0:
	s_add_u32 s0, s0, s7
	s_addc_u32 s1, s1, 0
	v_cmp_gt_u32_e32 vcc, 55, v0
	s_and_saveexec_b64 s[8:9], vcc
	s_cbranch_execz .LBB54_1070
; %bb.1:
	s_load_dwordx8 s[8:15], s[4:5], 0x0
	s_ashr_i32 s7, s6, 31
	v_lshlrev_b32_e32 v113, 3, v0
	s_waitcnt lgkmcnt(0)
	s_ashr_i32 s5, s12, 31
	s_mov_b32 s4, s12
	s_mul_hi_u32 s12, s14, s6
	s_mul_i32 s7, s14, s7
	s_add_i32 s7, s12, s7
	s_mul_i32 s12, s15, s6
	s_add_i32 s7, s7, s12
	s_mul_i32 s6, s14, s6
	s_lshl_b64 s[6:7], s[6:7], 3
	s_add_u32 s6, s10, s6
	s_addc_u32 s7, s11, s7
	s_lshl_b64 s[4:5], s[4:5], 3
	s_add_u32 s4, s6, s4
	s_addc_u32 s5, s7, s5
	s_add_i32 s6, s13, s13
	v_add_u32_e32 v1, s6, v0
	v_ashrrev_i32_e32 v2, 31, v1
	v_lshlrev_b64 v[2:3], 3, v[1:2]
	v_mov_b32_e32 v4, s5
	v_add_co_u32_e32 v13, vcc, s4, v2
	v_addc_co_u32_e32 v14, vcc, v4, v3, vcc
	v_add_u32_e32 v3, s13, v1
	v_ashrrev_i32_e32 v4, 31, v3
	v_lshlrev_b64 v[1:2], 3, v[3:4]
	v_mov_b32_e32 v4, s5
	v_add_co_u32_e32 v1, vcc, s4, v1
	v_add_u32_e32 v3, s13, v3
	v_addc_co_u32_e32 v2, vcc, v4, v2, vcc
	v_ashrrev_i32_e32 v4, 31, v3
	v_lshlrev_b64 v[4:5], 3, v[3:4]
	v_mov_b32_e32 v6, s5
	v_add_co_u32_e32 v7, vcc, s4, v4
	v_addc_co_u32_e32 v8, vcc, v6, v5, vcc
	v_add_u32_e32 v5, s13, v3
	v_ashrrev_i32_e32 v6, 31, v5
	v_lshlrev_b64 v[3:4], 3, v[5:6]
	v_mov_b32_e32 v6, s5
	v_add_co_u32_e32 v3, vcc, s4, v3
	v_add_u32_e32 v5, s13, v5
	v_addc_co_u32_e32 v4, vcc, v6, v4, vcc
	v_ashrrev_i32_e32 v6, 31, v5
	v_lshlrev_b64 v[9:10], 3, v[5:6]
	v_mov_b32_e32 v6, s5
	v_add_co_u32_e32 v11, vcc, s4, v9
	v_add_u32_e32 v9, s13, v5
	v_addc_co_u32_e32 v12, vcc, v6, v10, vcc
	;; [unrolled: 6-line block ×3, first 2 shown]
	v_ashrrev_i32_e32 v10, 31, v9
	v_lshlrev_b64 v[15:16], 3, v[9:10]
	v_add_u32_e32 v17, s13, v9
	v_mov_b32_e32 v10, s5
	v_add_co_u32_e32 v15, vcc, s4, v15
	v_ashrrev_i32_e32 v18, 31, v17
	v_addc_co_u32_e32 v16, vcc, v10, v16, vcc
	v_lshlrev_b64 v[9:10], 3, v[17:18]
	v_mov_b32_e32 v18, s5
	v_add_co_u32_e32 v9, vcc, s4, v9
	v_add_u32_e32 v17, s13, v17
	v_addc_co_u32_e32 v10, vcc, v18, v10, vcc
	v_ashrrev_i32_e32 v18, 31, v17
	v_lshlrev_b64 v[19:20], 3, v[17:18]
	v_mov_b32_e32 v21, s5
	v_add_co_u32_e32 v19, vcc, s4, v19
	v_addc_co_u32_e32 v20, vcc, v21, v20, vcc
	v_add_u32_e32 v21, s13, v17
	v_ashrrev_i32_e32 v22, 31, v21
	v_lshlrev_b64 v[17:18], 3, v[21:22]
	v_mov_b32_e32 v23, s5
	v_add_co_u32_e32 v17, vcc, s4, v17
	v_addc_co_u32_e32 v18, vcc, v23, v18, vcc
	v_add_u32_e32 v23, s13, v21
	;; [unrolled: 6-line block ×4, first 2 shown]
	v_ashrrev_i32_e32 v28, 31, v27
	v_lshlrev_b64 v[25:26], 3, v[27:28]
	v_add_u32_e32 v27, s13, v27
	v_mov_b32_e32 v29, s5
	v_add_co_u32_e32 v25, vcc, s4, v25
	v_ashrrev_i32_e32 v28, 31, v27
	v_addc_co_u32_e32 v26, vcc, v29, v26, vcc
	v_lshlrev_b64 v[29:30], 3, v[27:28]
	v_add_u32_e32 v27, s13, v27
	v_mov_b32_e32 v31, s5
	v_add_co_u32_e32 v29, vcc, s4, v29
	v_ashrrev_i32_e32 v28, 31, v27
	v_addc_co_u32_e32 v30, vcc, v31, v30, vcc
	;; [unrolled: 6-line block ×4, first 2 shown]
	v_lshlrev_b64 v[31:32], 3, v[27:28]
	v_add_u32_e32 v27, s13, v27
	v_add_co_u32_e32 v41, vcc, s4, v31
	v_ashrrev_i32_e32 v28, 31, v27
	v_addc_co_u32_e32 v42, vcc, v35, v32, vcc
	v_lshlrev_b64 v[31:32], 3, v[27:28]
	v_add_u32_e32 v27, s13, v27
	v_add_co_u32_e32 v45, vcc, s4, v31
	v_ashrrev_i32_e32 v28, 31, v27
	v_addc_co_u32_e32 v46, vcc, v35, v32, vcc
	;; [unrolled: 5-line block ×5, first 2 shown]
	v_lshlrev_b64 v[31:32], 3, v[27:28]
	v_mov_b32_e32 v39, s5
	v_add_co_u32_e32 v61, vcc, s4, v31
	v_add_u32_e32 v31, s13, v27
	v_addc_co_u32_e32 v62, vcc, v35, v32, vcc
	v_ashrrev_i32_e32 v32, 31, v31
	v_lshlrev_b64 v[27:28], 3, v[31:32]
	v_mov_b32_e32 v43, s5
	v_add_co_u32_e32 v27, vcc, s4, v27
	v_addc_co_u32_e32 v28, vcc, v35, v28, vcc
	v_add_u32_e32 v35, s13, v31
	v_ashrrev_i32_e32 v36, 31, v35
	v_lshlrev_b64 v[31:32], 3, v[35:36]
	v_mov_b32_e32 v47, s5
	v_add_co_u32_e32 v31, vcc, s4, v31
	v_addc_co_u32_e32 v32, vcc, v39, v32, vcc
	v_add_u32_e32 v39, s13, v35
	v_ashrrev_i32_e32 v40, 31, v39
	v_lshlrev_b64 v[35:36], 3, v[39:40]
	v_mov_b32_e32 v51, s5
	v_add_co_u32_e32 v35, vcc, s4, v35
	v_addc_co_u32_e32 v36, vcc, v43, v36, vcc
	v_add_u32_e32 v43, s13, v39
	v_ashrrev_i32_e32 v44, 31, v43
	v_lshlrev_b64 v[39:40], 3, v[43:44]
	v_mov_b32_e32 v55, s5
	v_add_co_u32_e32 v39, vcc, s4, v39
	v_addc_co_u32_e32 v40, vcc, v47, v40, vcc
	v_add_u32_e32 v47, s13, v43
	v_ashrrev_i32_e32 v48, 31, v47
	v_lshlrev_b64 v[43:44], 3, v[47:48]
	v_mov_b32_e32 v59, s5
	v_add_co_u32_e32 v43, vcc, s4, v43
	v_addc_co_u32_e32 v44, vcc, v51, v44, vcc
	v_add_u32_e32 v51, s13, v47
	v_ashrrev_i32_e32 v52, 31, v51
	v_lshlrev_b64 v[47:48], 3, v[51:52]
	v_mov_b32_e32 v63, s5
	v_add_co_u32_e32 v47, vcc, s4, v47
	v_addc_co_u32_e32 v48, vcc, v55, v48, vcc
	v_add_u32_e32 v55, s13, v51
	v_ashrrev_i32_e32 v56, 31, v55
	v_lshlrev_b64 v[51:52], 3, v[55:56]
	v_mov_b32_e32 v65, s5
	v_add_co_u32_e32 v51, vcc, s4, v51
	v_addc_co_u32_e32 v52, vcc, v59, v52, vcc
	v_add_u32_e32 v59, s13, v55
	v_ashrrev_i32_e32 v60, 31, v59
	v_lshlrev_b64 v[55:56], 3, v[59:60]
	v_mov_b32_e32 v67, s5
	v_add_co_u32_e32 v55, vcc, s4, v55
	v_addc_co_u32_e32 v56, vcc, v63, v56, vcc
	v_add_u32_e32 v63, s13, v59
	v_ashrrev_i32_e32 v64, 31, v63
	v_lshlrev_b64 v[59:60], 3, v[63:64]
	v_mov_b32_e32 v69, s5
	v_add_co_u32_e32 v59, vcc, s4, v59
	v_addc_co_u32_e32 v60, vcc, v65, v60, vcc
	v_add_u32_e32 v65, s13, v63
	v_ashrrev_i32_e32 v66, 31, v65
	v_lshlrev_b64 v[63:64], 3, v[65:66]
	v_mov_b32_e32 v71, s5
	v_add_co_u32_e32 v63, vcc, s4, v63
	v_addc_co_u32_e32 v64, vcc, v67, v64, vcc
	v_add_u32_e32 v67, s13, v65
	v_ashrrev_i32_e32 v68, 31, v67
	v_lshlrev_b64 v[65:66], 3, v[67:68]
	v_mov_b32_e32 v73, s5
	v_add_co_u32_e32 v65, vcc, s4, v65
	v_addc_co_u32_e32 v66, vcc, v69, v66, vcc
	v_add_u32_e32 v69, s13, v67
	v_ashrrev_i32_e32 v70, 31, v69
	v_lshlrev_b64 v[67:68], 3, v[69:70]
	v_mov_b32_e32 v75, s5
	v_add_co_u32_e32 v67, vcc, s4, v67
	v_addc_co_u32_e32 v68, vcc, v71, v68, vcc
	v_add_u32_e32 v71, s13, v69
	v_ashrrev_i32_e32 v72, 31, v71
	v_lshlrev_b64 v[69:70], 3, v[71:72]
	v_mov_b32_e32 v77, s5
	v_add_co_u32_e32 v69, vcc, s4, v69
	v_addc_co_u32_e32 v70, vcc, v73, v70, vcc
	v_add_u32_e32 v73, s13, v71
	v_ashrrev_i32_e32 v74, 31, v73
	v_lshlrev_b64 v[71:72], 3, v[73:74]
	v_mov_b32_e32 v79, s5
	v_add_co_u32_e32 v71, vcc, s4, v71
	v_addc_co_u32_e32 v72, vcc, v75, v72, vcc
	v_add_u32_e32 v75, s13, v73
	v_ashrrev_i32_e32 v76, 31, v75
	v_lshlrev_b64 v[73:74], 3, v[75:76]
	v_mov_b32_e32 v81, s5
	v_add_co_u32_e32 v73, vcc, s4, v73
	v_addc_co_u32_e32 v74, vcc, v77, v74, vcc
	v_add_u32_e32 v77, s13, v75
	v_ashrrev_i32_e32 v78, 31, v77
	v_lshlrev_b64 v[75:76], 3, v[77:78]
	v_mov_b32_e32 v83, s5
	v_add_co_u32_e32 v75, vcc, s4, v75
	v_addc_co_u32_e32 v76, vcc, v79, v76, vcc
	v_add_u32_e32 v79, s13, v77
	v_ashrrev_i32_e32 v80, 31, v79
	v_lshlrev_b64 v[77:78], 3, v[79:80]
	v_mov_b32_e32 v85, s5
	v_add_co_u32_e32 v77, vcc, s4, v77
	v_addc_co_u32_e32 v78, vcc, v81, v78, vcc
	v_add_u32_e32 v81, s13, v79
	v_ashrrev_i32_e32 v82, 31, v81
	v_lshlrev_b64 v[79:80], 3, v[81:82]
	v_mov_b32_e32 v87, s5
	v_add_co_u32_e32 v79, vcc, s4, v79
	v_addc_co_u32_e32 v80, vcc, v83, v80, vcc
	v_add_u32_e32 v83, s13, v81
	v_ashrrev_i32_e32 v84, 31, v83
	v_lshlrev_b64 v[81:82], 3, v[83:84]
	v_mov_b32_e32 v89, s5
	v_add_co_u32_e32 v81, vcc, s4, v81
	v_addc_co_u32_e32 v82, vcc, v85, v82, vcc
	v_add_u32_e32 v85, s13, v83
	v_ashrrev_i32_e32 v86, 31, v85
	v_lshlrev_b64 v[83:84], 3, v[85:86]
	v_mov_b32_e32 v91, s5
	v_add_co_u32_e32 v83, vcc, s4, v83
	v_addc_co_u32_e32 v84, vcc, v87, v84, vcc
	v_add_u32_e32 v87, s13, v85
	v_ashrrev_i32_e32 v88, 31, v87
	v_lshlrev_b64 v[85:86], 3, v[87:88]
	s_ashr_i32 s7, s13, 31
	v_add_co_u32_e32 v85, vcc, s4, v85
	v_addc_co_u32_e32 v86, vcc, v89, v86, vcc
	v_add_u32_e32 v89, s13, v87
	v_ashrrev_i32_e32 v90, 31, v89
	v_lshlrev_b64 v[87:88], 3, v[89:90]
	s_mov_b32 s6, s13
	v_add_co_u32_e32 v87, vcc, s4, v87
	v_addc_co_u32_e32 v88, vcc, v91, v88, vcc
	v_add_u32_e32 v91, s13, v89
	v_ashrrev_i32_e32 v92, 31, v91
	v_lshlrev_b64 v[89:90], 3, v[91:92]
	v_mov_b32_e32 v92, s5
	v_add_co_u32_e32 v109, vcc, s4, v113
	v_addc_co_u32_e32 v110, vcc, 0, v92, vcc
	s_lshl_b64 s[6:7], s[6:7], 3
	v_mov_b32_e32 v92, s7
	v_add_co_u32_e32 v107, vcc, s6, v109
	global_load_dwordx2 v[111:112], v113, s[4:5]
	global_load_dwordx2 v[118:119], v[1:2], off
	global_load_dwordx2 v[122:123], v[7:8], off
	v_addc_co_u32_e32 v108, vcc, v110, v92, vcc
	global_load_dwordx2 v[114:115], v[107:108], off
	global_load_dwordx2 v[116:117], v[13:14], off
	v_mov_b32_e32 v93, s5
	v_add_co_u32_e32 v89, vcc, s4, v89
	v_addc_co_u32_e32 v90, vcc, v93, v90, vcc
	v_add_u32_e32 v93, s13, v91
	v_ashrrev_i32_e32 v94, 31, v93
	v_lshlrev_b64 v[91:92], 3, v[93:94]
	v_mov_b32_e32 v95, s5
	v_add_co_u32_e32 v91, vcc, s4, v91
	v_addc_co_u32_e32 v92, vcc, v95, v92, vcc
	v_add_u32_e32 v95, s13, v93
	v_ashrrev_i32_e32 v96, 31, v95
	v_lshlrev_b64 v[93:94], 3, v[95:96]
	;; [unrolled: 6-line block ×7, first 2 shown]
	v_add_u32_e32 v105, s13, v105
	v_ashrrev_i32_e32 v106, 31, v105
	v_mov_b32_e32 v120, s5
	v_add_co_u32_e32 v103, vcc, s4, v103
	v_lshlrev_b64 v[105:106], 3, v[105:106]
	v_addc_co_u32_e32 v104, vcc, v120, v104, vcc
	v_add_co_u32_e32 v105, vcc, s4, v105
	v_addc_co_u32_e32 v106, vcc, v120, v106, vcc
	global_load_dwordx2 v[120:121], v[105:106], off
	s_cmpk_lg_i32 s9, 0x84
	s_cselect_b64 s[10:11], -1, 0
	s_cmpk_eq_i32 s9, 0x84
	s_waitcnt vmcnt(5)
	buffer_store_dword v112, off, s[0:3], 0 offset:4
	buffer_store_dword v111, off, s[0:3], 0
	global_load_dwordx2 v[111:112], v[3:4], off
	s_waitcnt vmcnt(5)
	buffer_store_dword v115, off, s[0:3], 0 offset:12
	buffer_store_dword v114, off, s[0:3], 0 offset:8
	global_load_dwordx2 v[114:115], v[11:12], off
	s_waitcnt vmcnt(7)
	buffer_store_dword v117, off, s[0:3], 0 offset:20
	buffer_store_dword v116, off, s[0:3], 0 offset:16
	global_load_dwordx2 v[116:117], v[5:6], off
	s_nop 0
	buffer_store_dword v119, off, s[0:3], 0 offset:28
	buffer_store_dword v118, off, s[0:3], 0 offset:24
	global_load_dwordx2 v[118:119], v[15:16], off
	s_nop 0
	buffer_store_dword v123, off, s[0:3], 0 offset:36
	buffer_store_dword v122, off, s[0:3], 0 offset:32
	s_waitcnt vmcnt(11)
	buffer_store_dword v112, off, s[0:3], 0 offset:44
	global_load_dwordx2 v[122:123], v[9:10], off
	s_nop 0
	buffer_store_dword v111, off, s[0:3], 0 offset:40
	global_load_dwordx2 v[111:112], v[19:20], off
	s_waitcnt vmcnt(12)
	buffer_store_dword v115, off, s[0:3], 0 offset:52
	buffer_store_dword v114, off, s[0:3], 0 offset:48
	global_load_dwordx2 v[114:115], v[17:18], off
	s_waitcnt vmcnt(12)
	buffer_store_dword v117, off, s[0:3], 0 offset:60
	buffer_store_dword v116, off, s[0:3], 0 offset:56
	global_load_dwordx2 v[116:117], v[21:22], off
	s_waitcnt vmcnt(12)
	buffer_store_dword v119, off, s[0:3], 0 offset:68
	buffer_store_dword v118, off, s[0:3], 0 offset:64
	global_load_dwordx2 v[118:119], v[23:24], off
	s_waitcnt vmcnt(11)
	buffer_store_dword v122, off, s[0:3], 0 offset:72
	buffer_store_dword v123, off, s[0:3], 0 offset:76
	s_waitcnt vmcnt(11)
	buffer_store_dword v111, off, s[0:3], 0 offset:80
	global_load_dwordx2 v[122:123], v[25:26], off
	s_nop 0
	buffer_store_dword v112, off, s[0:3], 0 offset:84
	global_load_dwordx2 v[111:112], v[29:30], off
	s_waitcnt vmcnt(12)
	buffer_store_dword v114, off, s[0:3], 0 offset:88
	buffer_store_dword v115, off, s[0:3], 0 offset:92
	global_load_dwordx2 v[114:115], v[33:34], off
	s_waitcnt vmcnt(12)
	buffer_store_dword v116, off, s[0:3], 0 offset:96
	buffer_store_dword v117, off, s[0:3], 0 offset:100
	global_load_dwordx2 v[116:117], v[37:38], off
	s_waitcnt vmcnt(12)
	buffer_store_dword v118, off, s[0:3], 0 offset:104
	buffer_store_dword v119, off, s[0:3], 0 offset:108
	global_load_dwordx2 v[118:119], v[41:42], off
	s_waitcnt vmcnt(11)
	;; [unrolled: 21-line block ×7, first 2 shown]
	buffer_store_dword v122, off, s[0:3], 0 offset:312
	buffer_store_dword v123, off, s[0:3], 0 offset:316
	s_waitcnt vmcnt(11)
	buffer_store_dword v111, off, s[0:3], 0 offset:320
	buffer_store_dword v112, off, s[0:3], 0 offset:324
	global_load_dwordx2 v[111:112], v[85:86], off
	s_nop 0
	global_load_dwordx2 v[122:123], v[87:88], off
	s_waitcnt vmcnt(12)
	buffer_store_dword v114, off, s[0:3], 0 offset:328
	buffer_store_dword v115, off, s[0:3], 0 offset:332
	global_load_dwordx2 v[114:115], v[89:90], off
	s_waitcnt vmcnt(12)
	buffer_store_dword v116, off, s[0:3], 0 offset:336
	buffer_store_dword v117, off, s[0:3], 0 offset:340
	;; [unrolled: 4-line block ×4, first 2 shown]
	s_waitcnt vmcnt(11)
	buffer_store_dword v122, off, s[0:3], 0 offset:360
	buffer_store_dword v123, off, s[0:3], 0 offset:364
	s_waitcnt vmcnt(10)
	buffer_store_dword v114, off, s[0:3], 0 offset:368
	buffer_store_dword v115, off, s[0:3], 0 offset:372
	global_load_dwordx2 v[111:112], v[95:96], off
	s_nop 0
	global_load_dwordx2 v[114:115], v[97:98], off
	global_load_dwordx2 v[122:123], v[101:102], off
	s_waitcnt vmcnt(12)
	buffer_store_dword v116, off, s[0:3], 0 offset:376
	buffer_store_dword v117, off, s[0:3], 0 offset:380
	global_load_dwordx2 v[116:117], v[99:100], off
	s_waitcnt vmcnt(12)
	buffer_store_dword v118, off, s[0:3], 0 offset:384
	buffer_store_dword v119, off, s[0:3], 0 offset:388
	;; [unrolled: 4-line block ×3, first 2 shown]
	s_waitcnt vmcnt(9)
	buffer_store_dword v115, off, s[0:3], 0 offset:404
	buffer_store_dword v114, off, s[0:3], 0 offset:400
	s_waitcnt vmcnt(7)
	buffer_store_dword v116, off, s[0:3], 0 offset:408
	buffer_store_dword v117, off, s[0:3], 0 offset:412
	;; [unrolled: 1-line block ×4, first 2 shown]
	s_waitcnt vmcnt(8)
	buffer_store_dword v118, off, s[0:3], 0 offset:424
	buffer_store_dword v119, off, s[0:3], 0 offset:428
	;; [unrolled: 1-line block ×3, first 2 shown]
	v_mov_b32_e32 v111, 0
	v_mov_b32_e32 v112, 0xbff00000
	buffer_store_dword v121, off, s[0:3], 0 offset:436
	s_cbranch_scc1 .LBB54_3
; %bb.2:
	v_mov_b32_e32 v111, 0
	v_lshl_add_u32 v122, v0, 3, v111
	buffer_load_dword v111, v122, s[0:3], 0 offen
	buffer_load_dword v112, v122, s[0:3], 0 offen offset:4
	s_waitcnt vmcnt(0)
	v_div_scale_f64 v[114:115], s[4:5], v[111:112], v[111:112], 1.0
	v_rcp_f64_e32 v[116:117], v[114:115]
	v_fma_f64 v[118:119], -v[114:115], v[116:117], 1.0
	v_fma_f64 v[116:117], v[116:117], v[118:119], v[116:117]
	v_div_scale_f64 v[118:119], vcc, 1.0, v[111:112], 1.0
	v_fma_f64 v[120:121], -v[114:115], v[116:117], 1.0
	v_fma_f64 v[116:117], v[116:117], v[120:121], v[116:117]
	v_mul_f64 v[120:121], v[118:119], v[116:117]
	v_fma_f64 v[114:115], -v[114:115], v[120:121], v[118:119]
	v_div_fmas_f64 v[114:115], v[114:115], v[116:117], v[120:121]
	v_div_fixup_f64 v[111:112], v[114:115], v[111:112], 1.0
	buffer_store_dword v111, v122, s[0:3], 0 offen
	buffer_store_dword v112, v122, s[0:3], 0 offen offset:4
	v_xor_b32_e32 v112, 0x80000000, v112
.LBB54_3:
	s_cmpk_eq_i32 s8, 0x79
	v_add_u32_e32 v114, 0x1c0, v113
	v_mov_b32_e32 v115, v113
	s_mov_b64 s[4:5], -1
	ds_write_b64 v113, v[111:112]
	s_cbranch_scc1 .LBB54_537
; %bb.4:
	buffer_load_dword v111, off, s[0:3], 0 offset:424
	buffer_load_dword v112, off, s[0:3], 0 offset:428
	s_movk_i32 s12, 0x48
	s_movk_i32 s13, 0x50
	;; [unrolled: 1-line block ×44, first 2 shown]
	v_cmp_eq_u32_e64 s[4:5], 54, v0
	s_waitcnt vmcnt(0)
	ds_write_b64 v114, v[111:112]
	s_waitcnt lgkmcnt(0)
	; wave barrier
	s_and_saveexec_b64 s[6:7], s[4:5]
	s_cbranch_execz .LBB54_10
; %bb.5:
	s_and_b64 vcc, exec, s[10:11]
	s_cbranch_vccz .LBB54_7
; %bb.6:
	buffer_load_dword v111, v115, s[0:3], 0 offen
	buffer_load_dword v112, v115, s[0:3], 0 offen offset:4
	ds_read_b64 v[116:117], v114
	s_waitcnt vmcnt(0) lgkmcnt(0)
	v_mul_f64 v[111:112], v[111:112], v[116:117]
	s_cbranch_execz .LBB54_8
	s_branch .LBB54_9
.LBB54_7:
                                        ; implicit-def: $vgpr111_vgpr112
.LBB54_8:
	ds_read_b64 v[111:112], v114
.LBB54_9:
	v_mov_b32_e32 v116, 0
	ds_read_b64 v[116:117], v116 offset:424
	s_waitcnt lgkmcnt(0)
	v_mul_f64 v[111:112], v[111:112], v[116:117]
	buffer_store_dword v112, off, s[0:3], 0 offset:428
	buffer_store_dword v111, off, s[0:3], 0 offset:424
.LBB54_10:
	s_or_b64 exec, exec, s[6:7]
	buffer_load_dword v111, off, s[0:3], 0 offset:416
	buffer_load_dword v112, off, s[0:3], 0 offset:420
	s_or_b32 s14, 0, 8
	s_mov_b32 s15, 16
	s_mov_b32 s16, 24
	;; [unrolled: 1-line block ×9, first 2 shown]
	v_cmp_lt_u32_e64 s[6:7], 52, v0
	s_waitcnt vmcnt(0)
	ds_write_b64 v114, v[111:112]
	s_waitcnt lgkmcnt(0)
	; wave barrier
	s_and_saveexec_b64 s[8:9], s[6:7]
	s_cbranch_execz .LBB54_16
; %bb.11:
	s_andn2_b64 vcc, exec, s[10:11]
	s_cbranch_vccnz .LBB54_13
; %bb.12:
	buffer_load_dword v111, v115, s[0:3], 0 offen
	buffer_load_dword v112, v115, s[0:3], 0 offen offset:4
	ds_read_b64 v[116:117], v114
	s_waitcnt vmcnt(0) lgkmcnt(0)
	v_mul_f64 v[111:112], v[111:112], v[116:117]
	s_cbranch_execz .LBB54_14
	s_branch .LBB54_15
.LBB54_13:
                                        ; implicit-def: $vgpr111_vgpr112
.LBB54_14:
	ds_read_b64 v[111:112], v114
.LBB54_15:
	buffer_load_dword v120, off, s[0:3], 0 offset:424
	buffer_load_dword v121, off, s[0:3], 0 offset:428
	v_mov_b32_e32 v116, 0
	ds_read2_b64 v[116:119], v116 offset0:52 offset1:109
	s_waitcnt vmcnt(0) lgkmcnt(0)
	v_fma_f64 v[118:119], v[120:121], v[118:119], v[111:112]
	v_cndmask_b32_e64 v112, v112, v119, s[4:5]
	v_cndmask_b32_e64 v111, v111, v118, s[4:5]
	v_mul_f64 v[111:112], v[111:112], v[116:117]
	buffer_store_dword v112, off, s[0:3], 0 offset:420
	buffer_store_dword v111, off, s[0:3], 0 offset:416
.LBB54_16:
	s_or_b64 exec, exec, s[8:9]
	buffer_load_dword v111, off, s[0:3], 0 offset:408
	buffer_load_dword v112, off, s[0:3], 0 offset:412
	v_cmp_lt_u32_e64 s[4:5], 51, v0
	s_waitcnt vmcnt(0)
	ds_write_b64 v114, v[111:112]
	s_waitcnt lgkmcnt(0)
	; wave barrier
	s_and_saveexec_b64 s[8:9], s[4:5]
	s_cbranch_execz .LBB54_26
; %bb.17:
	s_andn2_b64 vcc, exec, s[10:11]
	s_cbranch_vccnz .LBB54_19
; %bb.18:
	buffer_load_dword v111, v115, s[0:3], 0 offen
	buffer_load_dword v112, v115, s[0:3], 0 offen offset:4
	ds_read_b64 v[116:117], v114
	s_waitcnt vmcnt(0) lgkmcnt(0)
	v_mul_f64 v[111:112], v[111:112], v[116:117]
	s_cbranch_execz .LBB54_20
	s_branch .LBB54_21
.LBB54_19:
                                        ; implicit-def: $vgpr111_vgpr112
.LBB54_20:
	ds_read_b64 v[111:112], v114
.LBB54_21:
	s_and_saveexec_b64 s[12:13], s[6:7]
	s_cbranch_execz .LBB54_25
; %bb.22:
	v_subrev_u32_e32 v116, 52, v0
	s_movk_i32 s67, 0x360
	s_mov_b64 s[6:7], 0
.LBB54_23:                              ; =>This Inner Loop Header: Depth=1
	v_mov_b32_e32 v118, s66
	buffer_load_dword v117, v118, s[0:3], 0 offen
	s_nop 0
	buffer_load_dword v118, v118, s[0:3], 0 offen offset:4
	v_mov_b32_e32 v119, s67
	ds_read_b64 v[119:120], v119
	v_add_u32_e32 v116, -1, v116
	s_add_i32 s67, s67, 8
	s_add_i32 s66, s66, 8
	v_cmp_eq_u32_e32 vcc, 0, v116
	s_or_b64 s[6:7], vcc, s[6:7]
	s_waitcnt vmcnt(0) lgkmcnt(0)
	v_fma_f64 v[111:112], v[117:118], v[119:120], v[111:112]
	s_andn2_b64 exec, exec, s[6:7]
	s_cbranch_execnz .LBB54_23
; %bb.24:
	s_or_b64 exec, exec, s[6:7]
.LBB54_25:
	s_or_b64 exec, exec, s[12:13]
	v_mov_b32_e32 v116, 0
	ds_read_b64 v[116:117], v116 offset:408
	s_waitcnt lgkmcnt(0)
	v_mul_f64 v[111:112], v[111:112], v[116:117]
	buffer_store_dword v112, off, s[0:3], 0 offset:412
	buffer_store_dword v111, off, s[0:3], 0 offset:408
.LBB54_26:
	s_or_b64 exec, exec, s[8:9]
	buffer_load_dword v111, off, s[0:3], 0 offset:400
	buffer_load_dword v112, off, s[0:3], 0 offset:404
	v_cmp_lt_u32_e64 s[6:7], 50, v0
	s_waitcnt vmcnt(0)
	ds_write_b64 v114, v[111:112]
	s_waitcnt lgkmcnt(0)
	; wave barrier
	s_and_saveexec_b64 s[8:9], s[6:7]
	s_cbranch_execz .LBB54_36
; %bb.27:
	s_andn2_b64 vcc, exec, s[10:11]
	s_cbranch_vccnz .LBB54_29
; %bb.28:
	buffer_load_dword v111, v115, s[0:3], 0 offen
	buffer_load_dword v112, v115, s[0:3], 0 offen offset:4
	ds_read_b64 v[116:117], v114
	s_waitcnt vmcnt(0) lgkmcnt(0)
	v_mul_f64 v[111:112], v[111:112], v[116:117]
	s_cbranch_execz .LBB54_30
	s_branch .LBB54_31
.LBB54_29:
                                        ; implicit-def: $vgpr111_vgpr112
.LBB54_30:
	ds_read_b64 v[111:112], v114
.LBB54_31:
	s_and_saveexec_b64 s[12:13], s[4:5]
	s_cbranch_execz .LBB54_35
; %bb.32:
	v_subrev_u32_e32 v116, 51, v0
	s_movk_i32 s66, 0x358
	s_mov_b64 s[4:5], 0
.LBB54_33:                              ; =>This Inner Loop Header: Depth=1
	v_mov_b32_e32 v118, s65
	buffer_load_dword v117, v118, s[0:3], 0 offen
	s_nop 0
	buffer_load_dword v118, v118, s[0:3], 0 offen offset:4
	v_mov_b32_e32 v119, s66
	ds_read_b64 v[119:120], v119
	v_add_u32_e32 v116, -1, v116
	s_add_i32 s66, s66, 8
	s_add_i32 s65, s65, 8
	v_cmp_eq_u32_e32 vcc, 0, v116
	s_or_b64 s[4:5], vcc, s[4:5]
	s_waitcnt vmcnt(0) lgkmcnt(0)
	v_fma_f64 v[111:112], v[117:118], v[119:120], v[111:112]
	s_andn2_b64 exec, exec, s[4:5]
	s_cbranch_execnz .LBB54_33
; %bb.34:
	s_or_b64 exec, exec, s[4:5]
.LBB54_35:
	s_or_b64 exec, exec, s[12:13]
	v_mov_b32_e32 v116, 0
	ds_read_b64 v[116:117], v116 offset:400
	s_waitcnt lgkmcnt(0)
	v_mul_f64 v[111:112], v[111:112], v[116:117]
	buffer_store_dword v112, off, s[0:3], 0 offset:404
	buffer_store_dword v111, off, s[0:3], 0 offset:400
.LBB54_36:
	;; [unrolled: 59-line block ×8, first 2 shown]
	s_or_b64 exec, exec, s[8:9]
	buffer_load_dword v111, off, s[0:3], 0 offset:344
	buffer_load_dword v112, off, s[0:3], 0 offset:348
	v_cmp_lt_u32_e64 s[4:5], 43, v0
	s_waitcnt vmcnt(0)
	ds_write_b64 v114, v[111:112]
	s_waitcnt lgkmcnt(0)
	; wave barrier
	s_and_saveexec_b64 s[8:9], s[4:5]
	s_cbranch_execz .LBB54_106
; %bb.97:
	s_andn2_b64 vcc, exec, s[10:11]
	s_cbranch_vccnz .LBB54_99
; %bb.98:
	buffer_load_dword v111, v115, s[0:3], 0 offen
	buffer_load_dword v112, v115, s[0:3], 0 offen offset:4
	ds_read_b64 v[116:117], v114
	s_waitcnt vmcnt(0) lgkmcnt(0)
	v_mul_f64 v[111:112], v[111:112], v[116:117]
	s_cbranch_execz .LBB54_100
	s_branch .LBB54_101
.LBB54_99:
                                        ; implicit-def: $vgpr111_vgpr112
.LBB54_100:
	ds_read_b64 v[111:112], v114
.LBB54_101:
	s_and_saveexec_b64 s[12:13], s[6:7]
	s_cbranch_execz .LBB54_105
; %bb.102:
	v_subrev_u32_e32 v116, 44, v0
	s_movk_i32 s59, 0x320
	s_mov_b64 s[6:7], 0
.LBB54_103:                             ; =>This Inner Loop Header: Depth=1
	v_mov_b32_e32 v118, s58
	buffer_load_dword v117, v118, s[0:3], 0 offen
	s_nop 0
	buffer_load_dword v118, v118, s[0:3], 0 offen offset:4
	v_mov_b32_e32 v119, s59
	ds_read_b64 v[119:120], v119
	v_add_u32_e32 v116, -1, v116
	s_add_i32 s59, s59, 8
	s_add_i32 s58, s58, 8
	v_cmp_eq_u32_e32 vcc, 0, v116
	s_or_b64 s[6:7], vcc, s[6:7]
	s_waitcnt vmcnt(0) lgkmcnt(0)
	v_fma_f64 v[111:112], v[117:118], v[119:120], v[111:112]
	s_andn2_b64 exec, exec, s[6:7]
	s_cbranch_execnz .LBB54_103
; %bb.104:
	s_or_b64 exec, exec, s[6:7]
.LBB54_105:
	s_or_b64 exec, exec, s[12:13]
	v_mov_b32_e32 v116, 0
	ds_read_b64 v[116:117], v116 offset:344
	s_waitcnt lgkmcnt(0)
	v_mul_f64 v[111:112], v[111:112], v[116:117]
	buffer_store_dword v112, off, s[0:3], 0 offset:348
	buffer_store_dword v111, off, s[0:3], 0 offset:344
.LBB54_106:
	s_or_b64 exec, exec, s[8:9]
	buffer_load_dword v111, off, s[0:3], 0 offset:336
	buffer_load_dword v112, off, s[0:3], 0 offset:340
	v_cmp_lt_u32_e64 s[6:7], 42, v0
	s_waitcnt vmcnt(0)
	ds_write_b64 v114, v[111:112]
	s_waitcnt lgkmcnt(0)
	; wave barrier
	s_and_saveexec_b64 s[8:9], s[6:7]
	s_cbranch_execz .LBB54_116
; %bb.107:
	s_andn2_b64 vcc, exec, s[10:11]
	s_cbranch_vccnz .LBB54_109
; %bb.108:
	buffer_load_dword v111, v115, s[0:3], 0 offen
	buffer_load_dword v112, v115, s[0:3], 0 offen offset:4
	ds_read_b64 v[116:117], v114
	s_waitcnt vmcnt(0) lgkmcnt(0)
	v_mul_f64 v[111:112], v[111:112], v[116:117]
	s_cbranch_execz .LBB54_110
	s_branch .LBB54_111
.LBB54_109:
                                        ; implicit-def: $vgpr111_vgpr112
.LBB54_110:
	ds_read_b64 v[111:112], v114
.LBB54_111:
	s_and_saveexec_b64 s[12:13], s[4:5]
	s_cbranch_execz .LBB54_115
; %bb.112:
	v_subrev_u32_e32 v116, 43, v0
	s_movk_i32 s58, 0x318
	s_mov_b64 s[4:5], 0
.LBB54_113:                             ; =>This Inner Loop Header: Depth=1
	v_mov_b32_e32 v118, s57
	buffer_load_dword v117, v118, s[0:3], 0 offen
	s_nop 0
	buffer_load_dword v118, v118, s[0:3], 0 offen offset:4
	v_mov_b32_e32 v119, s58
	ds_read_b64 v[119:120], v119
	v_add_u32_e32 v116, -1, v116
	s_add_i32 s58, s58, 8
	s_add_i32 s57, s57, 8
	v_cmp_eq_u32_e32 vcc, 0, v116
	s_or_b64 s[4:5], vcc, s[4:5]
	s_waitcnt vmcnt(0) lgkmcnt(0)
	v_fma_f64 v[111:112], v[117:118], v[119:120], v[111:112]
	s_andn2_b64 exec, exec, s[4:5]
	s_cbranch_execnz .LBB54_113
; %bb.114:
	s_or_b64 exec, exec, s[4:5]
.LBB54_115:
	s_or_b64 exec, exec, s[12:13]
	v_mov_b32_e32 v116, 0
	ds_read_b64 v[116:117], v116 offset:336
	s_waitcnt lgkmcnt(0)
	v_mul_f64 v[111:112], v[111:112], v[116:117]
	buffer_store_dword v112, off, s[0:3], 0 offset:340
	buffer_store_dword v111, off, s[0:3], 0 offset:336
.LBB54_116:
	;; [unrolled: 59-line block ×8, first 2 shown]
	s_or_b64 exec, exec, s[8:9]
	buffer_load_dword v111, off, s[0:3], 0 offset:280
	buffer_load_dword v112, off, s[0:3], 0 offset:284
	v_cmp_lt_u32_e64 s[4:5], 35, v0
	s_waitcnt vmcnt(0)
	ds_write_b64 v114, v[111:112]
	s_waitcnt lgkmcnt(0)
	; wave barrier
	s_and_saveexec_b64 s[8:9], s[4:5]
	s_cbranch_execz .LBB54_186
; %bb.177:
	s_andn2_b64 vcc, exec, s[10:11]
	s_cbranch_vccnz .LBB54_179
; %bb.178:
	buffer_load_dword v111, v115, s[0:3], 0 offen
	buffer_load_dword v112, v115, s[0:3], 0 offen offset:4
	ds_read_b64 v[116:117], v114
	s_waitcnt vmcnt(0) lgkmcnt(0)
	v_mul_f64 v[111:112], v[111:112], v[116:117]
	s_cbranch_execz .LBB54_180
	s_branch .LBB54_181
.LBB54_179:
                                        ; implicit-def: $vgpr111_vgpr112
.LBB54_180:
	ds_read_b64 v[111:112], v114
.LBB54_181:
	s_and_saveexec_b64 s[12:13], s[6:7]
	s_cbranch_execz .LBB54_185
; %bb.182:
	v_subrev_u32_e32 v116, 36, v0
	s_movk_i32 s51, 0x2e0
	s_mov_b64 s[6:7], 0
.LBB54_183:                             ; =>This Inner Loop Header: Depth=1
	v_mov_b32_e32 v119, s50
	buffer_load_dword v117, v119, s[0:3], 0 offen
	buffer_load_dword v118, v119, s[0:3], 0 offen offset:4
	v_mov_b32_e32 v119, s51
	ds_read_b64 v[119:120], v119
	v_add_u32_e32 v116, -1, v116
	s_add_i32 s51, s51, 8
	s_add_i32 s50, s50, 8
	v_cmp_eq_u32_e32 vcc, 0, v116
	s_or_b64 s[6:7], vcc, s[6:7]
	s_waitcnt vmcnt(0) lgkmcnt(0)
	v_fma_f64 v[111:112], v[117:118], v[119:120], v[111:112]
	s_andn2_b64 exec, exec, s[6:7]
	s_cbranch_execnz .LBB54_183
; %bb.184:
	s_or_b64 exec, exec, s[6:7]
.LBB54_185:
	s_or_b64 exec, exec, s[12:13]
	v_mov_b32_e32 v116, 0
	ds_read_b64 v[116:117], v116 offset:280
	s_waitcnt lgkmcnt(0)
	v_mul_f64 v[111:112], v[111:112], v[116:117]
	buffer_store_dword v112, off, s[0:3], 0 offset:284
	buffer_store_dword v111, off, s[0:3], 0 offset:280
.LBB54_186:
	s_or_b64 exec, exec, s[8:9]
	buffer_load_dword v111, off, s[0:3], 0 offset:272
	buffer_load_dword v112, off, s[0:3], 0 offset:276
	v_cmp_lt_u32_e64 s[6:7], 34, v0
	s_waitcnt vmcnt(0)
	ds_write_b64 v114, v[111:112]
	s_waitcnt lgkmcnt(0)
	; wave barrier
	s_and_saveexec_b64 s[8:9], s[6:7]
	s_cbranch_execz .LBB54_196
; %bb.187:
	s_andn2_b64 vcc, exec, s[10:11]
	s_cbranch_vccnz .LBB54_189
; %bb.188:
	buffer_load_dword v111, v115, s[0:3], 0 offen
	buffer_load_dword v112, v115, s[0:3], 0 offen offset:4
	ds_read_b64 v[116:117], v114
	s_waitcnt vmcnt(0) lgkmcnt(0)
	v_mul_f64 v[111:112], v[111:112], v[116:117]
	s_cbranch_execz .LBB54_190
	s_branch .LBB54_191
.LBB54_189:
                                        ; implicit-def: $vgpr111_vgpr112
.LBB54_190:
	ds_read_b64 v[111:112], v114
.LBB54_191:
	s_and_saveexec_b64 s[12:13], s[4:5]
	s_cbranch_execz .LBB54_195
; %bb.192:
	v_subrev_u32_e32 v116, 35, v0
	s_movk_i32 s50, 0x2d8
	s_mov_b64 s[4:5], 0
.LBB54_193:                             ; =>This Inner Loop Header: Depth=1
	v_mov_b32_e32 v119, s49
	buffer_load_dword v117, v119, s[0:3], 0 offen
	buffer_load_dword v118, v119, s[0:3], 0 offen offset:4
	v_mov_b32_e32 v119, s50
	ds_read_b64 v[119:120], v119
	v_add_u32_e32 v116, -1, v116
	s_add_i32 s50, s50, 8
	s_add_i32 s49, s49, 8
	v_cmp_eq_u32_e32 vcc, 0, v116
	s_or_b64 s[4:5], vcc, s[4:5]
	s_waitcnt vmcnt(0) lgkmcnt(0)
	v_fma_f64 v[111:112], v[117:118], v[119:120], v[111:112]
	s_andn2_b64 exec, exec, s[4:5]
	s_cbranch_execnz .LBB54_193
; %bb.194:
	s_or_b64 exec, exec, s[4:5]
.LBB54_195:
	s_or_b64 exec, exec, s[12:13]
	v_mov_b32_e32 v116, 0
	ds_read_b64 v[116:117], v116 offset:272
	s_waitcnt lgkmcnt(0)
	v_mul_f64 v[111:112], v[111:112], v[116:117]
	buffer_store_dword v112, off, s[0:3], 0 offset:276
	buffer_store_dword v111, off, s[0:3], 0 offset:272
.LBB54_196:
	;; [unrolled: 58-line block ×20, first 2 shown]
	s_or_b64 exec, exec, s[8:9]
	buffer_load_dword v111, off, s[0:3], 0 offset:120
	buffer_load_dword v112, off, s[0:3], 0 offset:124
	v_cmp_lt_u32_e64 s[4:5], 15, v0
	s_waitcnt vmcnt(0)
	ds_write_b64 v114, v[111:112]
	s_waitcnt lgkmcnt(0)
	; wave barrier
	s_and_saveexec_b64 s[8:9], s[4:5]
	s_cbranch_execz .LBB54_386
; %bb.377:
	s_andn2_b64 vcc, exec, s[10:11]
	s_cbranch_vccnz .LBB54_379
; %bb.378:
	buffer_load_dword v111, v115, s[0:3], 0 offen
	buffer_load_dword v112, v115, s[0:3], 0 offen offset:4
	ds_read_b64 v[116:117], v114
	s_waitcnt vmcnt(0) lgkmcnt(0)
	v_mul_f64 v[111:112], v[111:112], v[116:117]
	s_cbranch_execz .LBB54_380
	s_branch .LBB54_381
.LBB54_379:
                                        ; implicit-def: $vgpr111_vgpr112
.LBB54_380:
	ds_read_b64 v[111:112], v114
.LBB54_381:
	s_and_saveexec_b64 s[12:13], s[6:7]
	s_cbranch_execz .LBB54_385
; %bb.382:
	v_add_u32_e32 v116, -16, v0
	s_movk_i32 s30, 0x240
	s_mov_b64 s[6:7], 0
.LBB54_383:                             ; =>This Inner Loop Header: Depth=1
	v_mov_b32_e32 v119, s29
	buffer_load_dword v117, v119, s[0:3], 0 offen
	buffer_load_dword v118, v119, s[0:3], 0 offen offset:4
	v_mov_b32_e32 v119, s30
	ds_read_b64 v[119:120], v119
	v_add_u32_e32 v116, -1, v116
	s_add_i32 s30, s30, 8
	s_add_i32 s29, s29, 8
	v_cmp_eq_u32_e32 vcc, 0, v116
	s_or_b64 s[6:7], vcc, s[6:7]
	s_waitcnt vmcnt(0) lgkmcnt(0)
	v_fma_f64 v[111:112], v[117:118], v[119:120], v[111:112]
	s_andn2_b64 exec, exec, s[6:7]
	s_cbranch_execnz .LBB54_383
; %bb.384:
	s_or_b64 exec, exec, s[6:7]
.LBB54_385:
	s_or_b64 exec, exec, s[12:13]
	v_mov_b32_e32 v116, 0
	ds_read_b64 v[116:117], v116 offset:120
	s_waitcnt lgkmcnt(0)
	v_mul_f64 v[111:112], v[111:112], v[116:117]
	buffer_store_dword v112, off, s[0:3], 0 offset:124
	buffer_store_dword v111, off, s[0:3], 0 offset:120
.LBB54_386:
	s_or_b64 exec, exec, s[8:9]
	buffer_load_dword v111, off, s[0:3], 0 offset:112
	buffer_load_dword v112, off, s[0:3], 0 offset:116
	v_cmp_lt_u32_e64 s[6:7], 14, v0
	s_waitcnt vmcnt(0)
	ds_write_b64 v114, v[111:112]
	s_waitcnt lgkmcnt(0)
	; wave barrier
	s_and_saveexec_b64 s[8:9], s[6:7]
	s_cbranch_execz .LBB54_396
; %bb.387:
	s_andn2_b64 vcc, exec, s[10:11]
	s_cbranch_vccnz .LBB54_389
; %bb.388:
	buffer_load_dword v111, v115, s[0:3], 0 offen
	buffer_load_dword v112, v115, s[0:3], 0 offen offset:4
	ds_read_b64 v[116:117], v114
	s_waitcnt vmcnt(0) lgkmcnt(0)
	v_mul_f64 v[111:112], v[111:112], v[116:117]
	s_cbranch_execz .LBB54_390
	s_branch .LBB54_391
.LBB54_389:
                                        ; implicit-def: $vgpr111_vgpr112
.LBB54_390:
	ds_read_b64 v[111:112], v114
.LBB54_391:
	s_and_saveexec_b64 s[12:13], s[4:5]
	s_cbranch_execz .LBB54_395
; %bb.392:
	v_add_u32_e32 v116, -15, v0
	s_movk_i32 s29, 0x238
	s_mov_b64 s[4:5], 0
.LBB54_393:                             ; =>This Inner Loop Header: Depth=1
	v_mov_b32_e32 v119, s28
	buffer_load_dword v117, v119, s[0:3], 0 offen
	buffer_load_dword v118, v119, s[0:3], 0 offen offset:4
	v_mov_b32_e32 v119, s29
	ds_read_b64 v[119:120], v119
	v_add_u32_e32 v116, -1, v116
	s_add_i32 s29, s29, 8
	s_add_i32 s28, s28, 8
	v_cmp_eq_u32_e32 vcc, 0, v116
	s_or_b64 s[4:5], vcc, s[4:5]
	s_waitcnt vmcnt(0) lgkmcnt(0)
	v_fma_f64 v[111:112], v[117:118], v[119:120], v[111:112]
	s_andn2_b64 exec, exec, s[4:5]
	s_cbranch_execnz .LBB54_393
; %bb.394:
	s_or_b64 exec, exec, s[4:5]
.LBB54_395:
	s_or_b64 exec, exec, s[12:13]
	v_mov_b32_e32 v116, 0
	ds_read_b64 v[116:117], v116 offset:112
	s_waitcnt lgkmcnt(0)
	v_mul_f64 v[111:112], v[111:112], v[116:117]
	buffer_store_dword v112, off, s[0:3], 0 offset:116
	buffer_store_dword v111, off, s[0:3], 0 offset:112
.LBB54_396:
	;; [unrolled: 58-line block ×15, first 2 shown]
	s_or_b64 exec, exec, s[8:9]
	buffer_load_dword v111, off, s[0:3], 0
	buffer_load_dword v112, off, s[0:3], 0 offset:4
	v_cmp_ne_u32_e32 vcc, 0, v0
	s_waitcnt vmcnt(0)
	ds_write_b64 v114, v[111:112]
	s_waitcnt lgkmcnt(0)
	; wave barrier
	s_and_saveexec_b64 s[6:7], vcc
	s_cbranch_execz .LBB54_536
; %bb.527:
	s_andn2_b64 vcc, exec, s[10:11]
	s_cbranch_vccnz .LBB54_529
; %bb.528:
	buffer_load_dword v111, v115, s[0:3], 0 offen
	buffer_load_dword v112, v115, s[0:3], 0 offen offset:4
	ds_read_b64 v[116:117], v114
	s_waitcnt vmcnt(0) lgkmcnt(0)
	v_mul_f64 v[111:112], v[111:112], v[116:117]
	s_cbranch_execz .LBB54_530
	s_branch .LBB54_531
.LBB54_529:
                                        ; implicit-def: $vgpr111_vgpr112
.LBB54_530:
	ds_read_b64 v[111:112], v114
.LBB54_531:
	s_and_saveexec_b64 s[8:9], s[4:5]
	s_cbranch_execz .LBB54_535
; %bb.532:
	v_add_u32_e32 v116, -1, v0
	s_movk_i32 s12, 0x1c8
	s_mov_b64 s[4:5], 0
.LBB54_533:                             ; =>This Inner Loop Header: Depth=1
	v_mov_b32_e32 v119, s14
	buffer_load_dword v117, v119, s[0:3], 0 offen
	buffer_load_dword v118, v119, s[0:3], 0 offen offset:4
	v_mov_b32_e32 v119, s12
	ds_read_b64 v[119:120], v119
	v_add_u32_e32 v116, -1, v116
	s_add_i32 s12, s12, 8
	s_add_i32 s14, s14, 8
	v_cmp_eq_u32_e32 vcc, 0, v116
	s_or_b64 s[4:5], vcc, s[4:5]
	s_waitcnt vmcnt(0) lgkmcnt(0)
	v_fma_f64 v[111:112], v[117:118], v[119:120], v[111:112]
	s_andn2_b64 exec, exec, s[4:5]
	s_cbranch_execnz .LBB54_533
; %bb.534:
	s_or_b64 exec, exec, s[4:5]
.LBB54_535:
	s_or_b64 exec, exec, s[8:9]
	v_mov_b32_e32 v116, 0
	ds_read_b64 v[116:117], v116
	s_waitcnt lgkmcnt(0)
	v_mul_f64 v[111:112], v[111:112], v[116:117]
	buffer_store_dword v112, off, s[0:3], 0 offset:4
	buffer_store_dword v111, off, s[0:3], 0
.LBB54_536:
	s_or_b64 exec, exec, s[6:7]
	s_mov_b64 s[4:5], 0
.LBB54_537:
	s_and_b64 vcc, exec, s[4:5]
	s_cbranch_vccz .LBB54_1069
; %bb.538:
	buffer_load_dword v111, off, s[0:3], 0 offset:8
	buffer_load_dword v112, off, s[0:3], 0 offset:12
	v_cmp_eq_u32_e64 s[6:7], 0, v0
	s_waitcnt vmcnt(0)
	ds_write_b64 v114, v[111:112]
	s_waitcnt lgkmcnt(0)
	; wave barrier
	s_and_saveexec_b64 s[4:5], s[6:7]
	s_cbranch_execz .LBB54_544
; %bb.539:
	s_and_b64 vcc, exec, s[10:11]
	s_cbranch_vccz .LBB54_541
; %bb.540:
	buffer_load_dword v111, v115, s[0:3], 0 offen
	buffer_load_dword v112, v115, s[0:3], 0 offen offset:4
	ds_read_b64 v[116:117], v114
	s_waitcnt vmcnt(0) lgkmcnt(0)
	v_mul_f64 v[111:112], v[111:112], v[116:117]
	s_cbranch_execz .LBB54_542
	s_branch .LBB54_543
.LBB54_541:
                                        ; implicit-def: $vgpr111_vgpr112
.LBB54_542:
	ds_read_b64 v[111:112], v114
.LBB54_543:
	v_mov_b32_e32 v116, 0
	ds_read_b64 v[116:117], v116 offset:8
	s_waitcnt lgkmcnt(0)
	v_mul_f64 v[111:112], v[111:112], v[116:117]
	buffer_store_dword v112, off, s[0:3], 0 offset:12
	buffer_store_dword v111, off, s[0:3], 0 offset:8
.LBB54_544:
	s_or_b64 exec, exec, s[4:5]
	buffer_load_dword v111, off, s[0:3], 0 offset:16
	buffer_load_dword v112, off, s[0:3], 0 offset:20
	v_cndmask_b32_e64 v116, 0, 1, s[10:11]
	v_cmp_gt_u32_e32 vcc, 2, v0
	v_cmp_ne_u32_e64 s[4:5], 1, v116
	s_waitcnt vmcnt(0)
	ds_write_b64 v114, v[111:112]
	s_waitcnt lgkmcnt(0)
	; wave barrier
	s_and_saveexec_b64 s[8:9], vcc
	s_cbranch_execz .LBB54_550
; %bb.545:
	s_and_b64 vcc, exec, s[4:5]
	s_cbranch_vccnz .LBB54_547
; %bb.546:
	buffer_load_dword v111, v115, s[0:3], 0 offen
	buffer_load_dword v112, v115, s[0:3], 0 offen offset:4
	ds_read_b64 v[116:117], v114
	s_waitcnt vmcnt(0) lgkmcnt(0)
	v_mul_f64 v[111:112], v[111:112], v[116:117]
	s_cbranch_execz .LBB54_548
	s_branch .LBB54_549
.LBB54_547:
                                        ; implicit-def: $vgpr111_vgpr112
.LBB54_548:
	ds_read_b64 v[111:112], v114
.LBB54_549:
	buffer_load_dword v120, off, s[0:3], 0 offset:8
	buffer_load_dword v121, off, s[0:3], 0 offset:12
	v_mov_b32_e32 v116, 0
	ds_read2_b64 v[116:119], v116 offset0:2 offset1:57
	s_waitcnt vmcnt(0) lgkmcnt(0)
	v_fma_f64 v[118:119], v[120:121], v[118:119], v[111:112]
	v_cndmask_b32_e64 v112, v112, v119, s[6:7]
	v_cndmask_b32_e64 v111, v111, v118, s[6:7]
	v_mul_f64 v[111:112], v[111:112], v[116:117]
	buffer_store_dword v112, off, s[0:3], 0 offset:20
	buffer_store_dword v111, off, s[0:3], 0 offset:16
.LBB54_550:
	s_or_b64 exec, exec, s[8:9]
	buffer_load_dword v111, off, s[0:3], 0 offset:24
	buffer_load_dword v112, off, s[0:3], 0 offset:28
	v_cmp_gt_u32_e32 vcc, 3, v0
	s_waitcnt vmcnt(0)
	ds_write_b64 v114, v[111:112]
	s_waitcnt lgkmcnt(0)
	; wave barrier
	s_and_saveexec_b64 s[8:9], vcc
	s_cbranch_execz .LBB54_558
; %bb.551:
	s_and_b64 vcc, exec, s[4:5]
	s_cbranch_vccnz .LBB54_553
; %bb.552:
	buffer_load_dword v111, v115, s[0:3], 0 offen
	buffer_load_dword v112, v115, s[0:3], 0 offen offset:4
	ds_read_b64 v[116:117], v114
	s_waitcnt vmcnt(0) lgkmcnt(0)
	v_mul_f64 v[111:112], v[111:112], v[116:117]
	s_cbranch_execz .LBB54_554
	s_branch .LBB54_555
.LBB54_553:
                                        ; implicit-def: $vgpr111_vgpr112
.LBB54_554:
	ds_read_b64 v[111:112], v114
.LBB54_555:
	v_cmp_ne_u32_e32 vcc, 2, v0
	s_and_saveexec_b64 s[10:11], vcc
	s_cbranch_execz .LBB54_557
; %bb.556:
	buffer_load_dword v116, v115, s[0:3], 0 offen offset:8
	buffer_load_dword v117, v115, s[0:3], 0 offen offset:12
	buffer_load_dword v118, off, s[0:3], 0 offset:16
	buffer_load_dword v119, off, s[0:3], 0 offset:20
	ds_read_b64 v[120:121], v114 offset:8
	v_mov_b32_e32 v122, 0
	ds_read_b64 v[122:123], v122 offset:464
	s_waitcnt vmcnt(2) lgkmcnt(1)
	v_fma_f64 v[111:112], v[116:117], v[120:121], v[111:112]
	s_waitcnt vmcnt(0) lgkmcnt(0)
	v_fma_f64 v[116:117], v[118:119], v[122:123], v[111:112]
	v_cndmask_b32_e64 v112, v112, v117, s[6:7]
	v_cndmask_b32_e64 v111, v111, v116, s[6:7]
.LBB54_557:
	s_or_b64 exec, exec, s[10:11]
	v_mov_b32_e32 v116, 0
	ds_read_b64 v[116:117], v116 offset:24
	s_waitcnt lgkmcnt(0)
	v_mul_f64 v[111:112], v[111:112], v[116:117]
	buffer_store_dword v112, off, s[0:3], 0 offset:28
	buffer_store_dword v111, off, s[0:3], 0 offset:24
.LBB54_558:
	s_or_b64 exec, exec, s[8:9]
	buffer_load_dword v111, off, s[0:3], 0 offset:32
	buffer_load_dword v112, off, s[0:3], 0 offset:36
	v_cmp_gt_u32_e32 vcc, 4, v0
	s_waitcnt vmcnt(0)
	ds_write_b64 v114, v[111:112]
	s_waitcnt lgkmcnt(0)
	; wave barrier
	s_and_saveexec_b64 s[6:7], vcc
	s_cbranch_execz .LBB54_568
; %bb.559:
	s_and_b64 vcc, exec, s[4:5]
	s_cbranch_vccnz .LBB54_561
; %bb.560:
	buffer_load_dword v111, v115, s[0:3], 0 offen
	buffer_load_dword v112, v115, s[0:3], 0 offen offset:4
	ds_read_b64 v[116:117], v114
	s_waitcnt vmcnt(0) lgkmcnt(0)
	v_mul_f64 v[111:112], v[111:112], v[116:117]
	s_cbranch_execz .LBB54_562
	s_branch .LBB54_563
.LBB54_561:
                                        ; implicit-def: $vgpr111_vgpr112
.LBB54_562:
	ds_read_b64 v[111:112], v114
.LBB54_563:
	v_cmp_ne_u32_e32 vcc, 3, v0
	s_and_saveexec_b64 s[8:9], vcc
	s_cbranch_execz .LBB54_567
; %bb.564:
	s_mov_b32 s10, 0
	v_add_u32_e32 v116, 0x1c8, v113
	v_add3_u32 v117, v113, s10, 8
	s_mov_b64 s[10:11], 0
	v_mov_b32_e32 v118, v0
.LBB54_565:                             ; =>This Inner Loop Header: Depth=1
	buffer_load_dword v119, v117, s[0:3], 0 offen
	buffer_load_dword v120, v117, s[0:3], 0 offen offset:4
	ds_read_b64 v[121:122], v116
	v_add_u32_e32 v118, 1, v118
	v_cmp_lt_u32_e32 vcc, 2, v118
	v_add_u32_e32 v116, 8, v116
	s_or_b64 s[10:11], vcc, s[10:11]
	v_add_u32_e32 v117, 8, v117
	s_waitcnt vmcnt(0) lgkmcnt(0)
	v_fma_f64 v[111:112], v[119:120], v[121:122], v[111:112]
	s_andn2_b64 exec, exec, s[10:11]
	s_cbranch_execnz .LBB54_565
; %bb.566:
	s_or_b64 exec, exec, s[10:11]
.LBB54_567:
	s_or_b64 exec, exec, s[8:9]
	v_mov_b32_e32 v116, 0
	ds_read_b64 v[116:117], v116 offset:32
	s_waitcnt lgkmcnt(0)
	v_mul_f64 v[111:112], v[111:112], v[116:117]
	buffer_store_dword v112, off, s[0:3], 0 offset:36
	buffer_store_dword v111, off, s[0:3], 0 offset:32
.LBB54_568:
	s_or_b64 exec, exec, s[6:7]
	buffer_load_dword v111, off, s[0:3], 0 offset:40
	buffer_load_dword v112, off, s[0:3], 0 offset:44
	v_cmp_gt_u32_e32 vcc, 5, v0
	s_waitcnt vmcnt(0)
	ds_write_b64 v114, v[111:112]
	s_waitcnt lgkmcnt(0)
	; wave barrier
	s_and_saveexec_b64 s[6:7], vcc
	s_cbranch_execz .LBB54_578
; %bb.569:
	s_and_b64 vcc, exec, s[4:5]
	s_cbranch_vccnz .LBB54_571
; %bb.570:
	buffer_load_dword v111, v115, s[0:3], 0 offen
	buffer_load_dword v112, v115, s[0:3], 0 offen offset:4
	ds_read_b64 v[116:117], v114
	s_waitcnt vmcnt(0) lgkmcnt(0)
	v_mul_f64 v[111:112], v[111:112], v[116:117]
	s_cbranch_execz .LBB54_572
	s_branch .LBB54_573
.LBB54_571:
                                        ; implicit-def: $vgpr111_vgpr112
.LBB54_572:
	ds_read_b64 v[111:112], v114
.LBB54_573:
	v_cmp_ne_u32_e32 vcc, 4, v0
	s_and_saveexec_b64 s[8:9], vcc
	s_cbranch_execz .LBB54_577
; %bb.574:
	s_mov_b32 s10, 0
	v_add_u32_e32 v116, 0x1c8, v113
	v_add3_u32 v117, v113, s10, 8
	s_mov_b64 s[10:11], 0
	v_mov_b32_e32 v118, v0
.LBB54_575:                             ; =>This Inner Loop Header: Depth=1
	buffer_load_dword v119, v117, s[0:3], 0 offen
	buffer_load_dword v120, v117, s[0:3], 0 offen offset:4
	ds_read_b64 v[121:122], v116
	v_add_u32_e32 v118, 1, v118
	v_cmp_lt_u32_e32 vcc, 3, v118
	v_add_u32_e32 v116, 8, v116
	s_or_b64 s[10:11], vcc, s[10:11]
	v_add_u32_e32 v117, 8, v117
	s_waitcnt vmcnt(0) lgkmcnt(0)
	v_fma_f64 v[111:112], v[119:120], v[121:122], v[111:112]
	s_andn2_b64 exec, exec, s[10:11]
	s_cbranch_execnz .LBB54_575
; %bb.576:
	s_or_b64 exec, exec, s[10:11]
.LBB54_577:
	s_or_b64 exec, exec, s[8:9]
	v_mov_b32_e32 v116, 0
	ds_read_b64 v[116:117], v116 offset:40
	s_waitcnt lgkmcnt(0)
	v_mul_f64 v[111:112], v[111:112], v[116:117]
	buffer_store_dword v112, off, s[0:3], 0 offset:44
	buffer_store_dword v111, off, s[0:3], 0 offset:40
.LBB54_578:
	;; [unrolled: 59-line block ×44, first 2 shown]
	s_or_b64 exec, exec, s[6:7]
	buffer_load_dword v111, off, s[0:3], 0 offset:384
	buffer_load_dword v112, off, s[0:3], 0 offset:388
	v_cmp_gt_u32_e32 vcc, 48, v0
	s_waitcnt vmcnt(0)
	ds_write_b64 v114, v[111:112]
	s_waitcnt lgkmcnt(0)
	; wave barrier
	s_and_saveexec_b64 s[6:7], vcc
	s_cbranch_execz .LBB54_1008
; %bb.999:
	s_and_b64 vcc, exec, s[4:5]
	s_cbranch_vccnz .LBB54_1001
; %bb.1000:
	buffer_load_dword v111, v115, s[0:3], 0 offen
	buffer_load_dword v112, v115, s[0:3], 0 offen offset:4
	ds_read_b64 v[116:117], v114
	s_waitcnt vmcnt(0) lgkmcnt(0)
	v_mul_f64 v[111:112], v[111:112], v[116:117]
	s_cbranch_execz .LBB54_1002
	s_branch .LBB54_1003
.LBB54_1001:
                                        ; implicit-def: $vgpr111_vgpr112
.LBB54_1002:
	ds_read_b64 v[111:112], v114
.LBB54_1003:
	v_cmp_ne_u32_e32 vcc, 47, v0
	s_and_saveexec_b64 s[8:9], vcc
	s_cbranch_execz .LBB54_1007
; %bb.1004:
	s_mov_b32 s10, 0
	v_add_u32_e32 v116, 0x1c8, v113
	v_add3_u32 v117, v113, s10, 8
	s_mov_b64 s[10:11], 0
	v_mov_b32_e32 v118, v0
.LBB54_1005:                            ; =>This Inner Loop Header: Depth=1
	buffer_load_dword v119, v117, s[0:3], 0 offen
	buffer_load_dword v120, v117, s[0:3], 0 offen offset:4
	ds_read_b64 v[121:122], v116
	v_add_u32_e32 v118, 1, v118
	v_cmp_lt_u32_e32 vcc, 46, v118
	v_add_u32_e32 v116, 8, v116
	s_or_b64 s[10:11], vcc, s[10:11]
	v_add_u32_e32 v117, 8, v117
	s_waitcnt vmcnt(0) lgkmcnt(0)
	v_fma_f64 v[111:112], v[119:120], v[121:122], v[111:112]
	s_andn2_b64 exec, exec, s[10:11]
	s_cbranch_execnz .LBB54_1005
; %bb.1006:
	s_or_b64 exec, exec, s[10:11]
.LBB54_1007:
	s_or_b64 exec, exec, s[8:9]
	v_mov_b32_e32 v116, 0
	ds_read_b64 v[116:117], v116 offset:384
	s_waitcnt lgkmcnt(0)
	v_mul_f64 v[111:112], v[111:112], v[116:117]
	buffer_store_dword v112, off, s[0:3], 0 offset:388
	buffer_store_dword v111, off, s[0:3], 0 offset:384
.LBB54_1008:
	s_or_b64 exec, exec, s[6:7]
	buffer_load_dword v111, off, s[0:3], 0 offset:392
	buffer_load_dword v112, off, s[0:3], 0 offset:396
	v_cmp_gt_u32_e32 vcc, 49, v0
	s_waitcnt vmcnt(0)
	ds_write_b64 v114, v[111:112]
	s_waitcnt lgkmcnt(0)
	; wave barrier
	s_and_saveexec_b64 s[6:7], vcc
	s_cbranch_execz .LBB54_1018
; %bb.1009:
	s_and_b64 vcc, exec, s[4:5]
	s_cbranch_vccnz .LBB54_1011
; %bb.1010:
	buffer_load_dword v111, v115, s[0:3], 0 offen
	buffer_load_dword v112, v115, s[0:3], 0 offen offset:4
	ds_read_b64 v[116:117], v114
	s_waitcnt vmcnt(0) lgkmcnt(0)
	v_mul_f64 v[111:112], v[111:112], v[116:117]
	s_cbranch_execz .LBB54_1012
	s_branch .LBB54_1013
.LBB54_1011:
                                        ; implicit-def: $vgpr111_vgpr112
.LBB54_1012:
	ds_read_b64 v[111:112], v114
.LBB54_1013:
	v_cmp_ne_u32_e32 vcc, 48, v0
	s_and_saveexec_b64 s[8:9], vcc
	s_cbranch_execz .LBB54_1017
; %bb.1014:
	s_mov_b32 s10, 0
	v_add_u32_e32 v116, 0x1c8, v113
	v_add3_u32 v117, v113, s10, 8
	s_mov_b64 s[10:11], 0
	v_mov_b32_e32 v118, v0
.LBB54_1015:                            ; =>This Inner Loop Header: Depth=1
	buffer_load_dword v119, v117, s[0:3], 0 offen
	buffer_load_dword v120, v117, s[0:3], 0 offen offset:4
	ds_read_b64 v[121:122], v116
	v_add_u32_e32 v118, 1, v118
	v_cmp_lt_u32_e32 vcc, 47, v118
	v_add_u32_e32 v116, 8, v116
	s_or_b64 s[10:11], vcc, s[10:11]
	v_add_u32_e32 v117, 8, v117
	s_waitcnt vmcnt(0) lgkmcnt(0)
	v_fma_f64 v[111:112], v[119:120], v[121:122], v[111:112]
	s_andn2_b64 exec, exec, s[10:11]
	s_cbranch_execnz .LBB54_1015
; %bb.1016:
	s_or_b64 exec, exec, s[10:11]
.LBB54_1017:
	s_or_b64 exec, exec, s[8:9]
	v_mov_b32_e32 v116, 0
	ds_read_b64 v[116:117], v116 offset:392
	s_waitcnt lgkmcnt(0)
	v_mul_f64 v[111:112], v[111:112], v[116:117]
	buffer_store_dword v112, off, s[0:3], 0 offset:396
	buffer_store_dword v111, off, s[0:3], 0 offset:392
.LBB54_1018:
	;; [unrolled: 59-line block ×5, first 2 shown]
	s_or_b64 exec, exec, s[6:7]
	buffer_load_dword v111, off, s[0:3], 0 offset:424
	buffer_load_dword v112, off, s[0:3], 0 offset:428
	v_cmp_gt_u32_e64 s[6:7], 53, v0
	s_waitcnt vmcnt(0)
	ds_write_b64 v114, v[111:112]
	s_waitcnt lgkmcnt(0)
	; wave barrier
	s_and_saveexec_b64 s[8:9], s[6:7]
	s_cbranch_execz .LBB54_1058
; %bb.1049:
	s_and_b64 vcc, exec, s[4:5]
	s_cbranch_vccnz .LBB54_1051
; %bb.1050:
	buffer_load_dword v111, v115, s[0:3], 0 offen
	buffer_load_dword v112, v115, s[0:3], 0 offen offset:4
	ds_read_b64 v[116:117], v114
	s_waitcnt vmcnt(0) lgkmcnt(0)
	v_mul_f64 v[111:112], v[111:112], v[116:117]
	s_cbranch_execz .LBB54_1052
	s_branch .LBB54_1053
.LBB54_1051:
                                        ; implicit-def: $vgpr111_vgpr112
.LBB54_1052:
	ds_read_b64 v[111:112], v114
.LBB54_1053:
	v_cmp_ne_u32_e32 vcc, 52, v0
	s_and_saveexec_b64 s[10:11], vcc
	s_cbranch_execz .LBB54_1057
; %bb.1054:
	s_mov_b32 s12, 0
	v_add_u32_e32 v116, 0x1c8, v113
	v_add3_u32 v117, v113, s12, 8
	s_mov_b64 s[12:13], 0
	v_mov_b32_e32 v118, v0
.LBB54_1055:                            ; =>This Inner Loop Header: Depth=1
	buffer_load_dword v119, v117, s[0:3], 0 offen
	buffer_load_dword v120, v117, s[0:3], 0 offen offset:4
	ds_read_b64 v[121:122], v116
	v_add_u32_e32 v118, 1, v118
	v_cmp_lt_u32_e32 vcc, 51, v118
	v_add_u32_e32 v116, 8, v116
	s_or_b64 s[12:13], vcc, s[12:13]
	v_add_u32_e32 v117, 8, v117
	s_waitcnt vmcnt(0) lgkmcnt(0)
	v_fma_f64 v[111:112], v[119:120], v[121:122], v[111:112]
	s_andn2_b64 exec, exec, s[12:13]
	s_cbranch_execnz .LBB54_1055
; %bb.1056:
	s_or_b64 exec, exec, s[12:13]
.LBB54_1057:
	s_or_b64 exec, exec, s[10:11]
	v_mov_b32_e32 v116, 0
	ds_read_b64 v[116:117], v116 offset:424
	s_waitcnt lgkmcnt(0)
	v_mul_f64 v[111:112], v[111:112], v[116:117]
	buffer_store_dword v112, off, s[0:3], 0 offset:428
	buffer_store_dword v111, off, s[0:3], 0 offset:424
.LBB54_1058:
	s_or_b64 exec, exec, s[8:9]
	buffer_load_dword v111, off, s[0:3], 0 offset:432
	buffer_load_dword v112, off, s[0:3], 0 offset:436
	v_cmp_ne_u32_e32 vcc, 54, v0
	s_waitcnt vmcnt(0)
	ds_write_b64 v114, v[111:112]
	s_waitcnt lgkmcnt(0)
	; wave barrier
	s_and_saveexec_b64 s[8:9], vcc
	s_cbranch_execz .LBB54_1068
; %bb.1059:
	s_and_b64 vcc, exec, s[4:5]
	s_cbranch_vccnz .LBB54_1061
; %bb.1060:
	buffer_load_dword v111, v115, s[0:3], 0 offen
	buffer_load_dword v112, v115, s[0:3], 0 offen offset:4
	ds_read_b64 v[115:116], v114
	s_waitcnt vmcnt(0) lgkmcnt(0)
	v_mul_f64 v[111:112], v[111:112], v[115:116]
	s_cbranch_execz .LBB54_1062
	s_branch .LBB54_1063
.LBB54_1061:
                                        ; implicit-def: $vgpr111_vgpr112
.LBB54_1062:
	ds_read_b64 v[111:112], v114
.LBB54_1063:
	s_and_saveexec_b64 s[4:5], s[6:7]
	s_cbranch_execz .LBB54_1067
; %bb.1064:
	s_mov_b32 s6, 0
	v_add_u32_e32 v114, 0x1c8, v113
	v_add3_u32 v113, v113, s6, 8
	s_mov_b64 s[6:7], 0
.LBB54_1065:                            ; =>This Inner Loop Header: Depth=1
	buffer_load_dword v115, v113, s[0:3], 0 offen
	buffer_load_dword v116, v113, s[0:3], 0 offen offset:4
	ds_read_b64 v[117:118], v114
	v_add_u32_e32 v0, 1, v0
	v_cmp_lt_u32_e32 vcc, 52, v0
	v_add_u32_e32 v114, 8, v114
	s_or_b64 s[6:7], vcc, s[6:7]
	v_add_u32_e32 v113, 8, v113
	s_waitcnt vmcnt(0) lgkmcnt(0)
	v_fma_f64 v[111:112], v[115:116], v[117:118], v[111:112]
	s_andn2_b64 exec, exec, s[6:7]
	s_cbranch_execnz .LBB54_1065
; %bb.1066:
	s_or_b64 exec, exec, s[6:7]
.LBB54_1067:
	s_or_b64 exec, exec, s[4:5]
	v_mov_b32_e32 v0, 0
	ds_read_b64 v[113:114], v0 offset:432
	s_waitcnt lgkmcnt(0)
	v_mul_f64 v[111:112], v[111:112], v[113:114]
	buffer_store_dword v112, off, s[0:3], 0 offset:436
	buffer_store_dword v111, off, s[0:3], 0 offset:432
.LBB54_1068:
	s_or_b64 exec, exec, s[8:9]
.LBB54_1069:
	buffer_load_dword v111, off, s[0:3], 0
	buffer_load_dword v112, off, s[0:3], 0 offset:4
	buffer_load_dword v113, off, s[0:3], 0 offset:8
	;; [unrolled: 1-line block ×9, first 2 shown]
	s_waitcnt vmcnt(8)
	global_store_dwordx2 v[109:110], v[111:112], off
	buffer_load_dword v109, off, s[0:3], 0 offset:40
	s_nop 0
	buffer_load_dword v110, off, s[0:3], 0 offset:44
	buffer_load_dword v111, off, s[0:3], 0 offset:48
	;; [unrolled: 1-line block ×5, first 2 shown]
	s_waitcnt vmcnt(13)
	global_store_dwordx2 v[107:108], v[113:114], off
	s_waitcnt vmcnt(12)
	global_store_dwordx2 v[13:14], v[115:116], off
	buffer_load_dword v14, off, s[0:3], 0 offset:68
	s_nop 0
	buffer_load_dword v107, off, s[0:3], 0 offset:72
	buffer_load_dword v108, off, s[0:3], 0 offset:76
	;; [unrolled: 1-line block ×7, first 2 shown]
	s_waitcnt vmcnt(19)
	global_store_dwordx2 v[1:2], v[117:118], off
	s_waitcnt vmcnt(18)
	global_store_dwordx2 v[7:8], v[119:120], off
	buffer_load_dword v0, off, s[0:3], 0 offset:96
	buffer_load_dword v1, off, s[0:3], 0 offset:100
	s_nop 0
	buffer_load_dword v7, off, s[0:3], 0 offset:104
	buffer_load_dword v8, off, s[0:3], 0 offset:108
	buffer_load_dword v117, off, s[0:3], 0 offset:112
	buffer_load_dword v118, off, s[0:3], 0 offset:116
	buffer_load_dword v119, off, s[0:3], 0 offset:120
	buffer_load_dword v120, off, s[0:3], 0 offset:124
	s_waitcnt vmcnt(24)
	global_store_dwordx2 v[3:4], v[109:110], off
	s_waitcnt vmcnt(23)
	global_store_dwordx2 v[11:12], v[111:112], off
	buffer_load_dword v2, off, s[0:3], 0 offset:128
	buffer_load_dword v3, off, s[0:3], 0 offset:132
	s_nop 0
	buffer_load_dword v11, off, s[0:3], 0 offset:136
	buffer_load_dword v12, off, s[0:3], 0 offset:140
	buffer_load_dword v109, off, s[0:3], 0 offset:144
	buffer_load_dword v110, off, s[0:3], 0 offset:148
	buffer_load_dword v111, off, s[0:3], 0 offset:152
	buffer_load_dword v112, off, s[0:3], 0 offset:156
	;; [unrolled: 13-line block ×3, first 2 shown]
	s_nop 0
	global_store_dwordx2 v[9:10], v[107:108], off
	global_store_dwordx2 v[19:20], v[113:114], off
	buffer_load_dword v9, off, s[0:3], 0 offset:192
	s_nop 0
	buffer_load_dword v10, off, s[0:3], 0 offset:196
	buffer_load_dword v19, off, s[0:3], 0 offset:200
	;; [unrolled: 1-line block ×7, first 2 shown]
	s_nop 0
	global_store_dwordx2 v[17:18], v[115:116], off
	s_waitcnt vmcnt(37)
	global_store_dwordx2 v[21:22], v[0:1], off
	s_waitcnt vmcnt(36)
	;; [unrolled: 2-line block ×12, first 2 shown]
	global_store_dwordx2 v[61:62], v[121:122], off
	buffer_load_dword v0, off, s[0:3], 0 offset:224
	buffer_load_dword v1, off, s[0:3], 0 offset:228
	;; [unrolled: 1-line block ×54, first 2 shown]
	s_waitcnt vmcnt(62)
	global_store_dwordx2 v[27:28], v[9:10], off
	global_store_dwordx2 v[31:32], v[19:20], off
	;; [unrolled: 1-line block ×4, first 2 shown]
	s_waitcnt vmcnt(56)
	global_store_dwordx2 v[43:44], v[0:1], off
	s_waitcnt vmcnt(55)
	global_store_dwordx2 v[47:48], v[2:3], off
	;; [unrolled: 2-line block ×27, first 2 shown]
.LBB54_1070:
	s_endpgm
	.section	.rodata,"a",@progbits
	.p2align	6, 0x0
	.amdhsa_kernel _ZN9rocsolver6v33100L18trti2_kernel_smallILi55EdPdEEv13rocblas_fill_17rocblas_diagonal_T1_iil
		.amdhsa_group_segment_fixed_size 888
		.amdhsa_private_segment_fixed_size 448
		.amdhsa_kernarg_size 32
		.amdhsa_user_sgpr_count 6
		.amdhsa_user_sgpr_private_segment_buffer 1
		.amdhsa_user_sgpr_dispatch_ptr 0
		.amdhsa_user_sgpr_queue_ptr 0
		.amdhsa_user_sgpr_kernarg_segment_ptr 1
		.amdhsa_user_sgpr_dispatch_id 0
		.amdhsa_user_sgpr_flat_scratch_init 0
		.amdhsa_user_sgpr_private_segment_size 0
		.amdhsa_uses_dynamic_stack 0
		.amdhsa_system_sgpr_private_segment_wavefront_offset 1
		.amdhsa_system_sgpr_workgroup_id_x 1
		.amdhsa_system_sgpr_workgroup_id_y 0
		.amdhsa_system_sgpr_workgroup_id_z 0
		.amdhsa_system_sgpr_workgroup_info 0
		.amdhsa_system_vgpr_workitem_id 0
		.amdhsa_next_free_vgpr 125
		.amdhsa_next_free_sgpr 68
		.amdhsa_reserve_vcc 1
		.amdhsa_reserve_flat_scratch 0
		.amdhsa_float_round_mode_32 0
		.amdhsa_float_round_mode_16_64 0
		.amdhsa_float_denorm_mode_32 3
		.amdhsa_float_denorm_mode_16_64 3
		.amdhsa_dx10_clamp 1
		.amdhsa_ieee_mode 1
		.amdhsa_fp16_overflow 0
		.amdhsa_exception_fp_ieee_invalid_op 0
		.amdhsa_exception_fp_denorm_src 0
		.amdhsa_exception_fp_ieee_div_zero 0
		.amdhsa_exception_fp_ieee_overflow 0
		.amdhsa_exception_fp_ieee_underflow 0
		.amdhsa_exception_fp_ieee_inexact 0
		.amdhsa_exception_int_div_zero 0
	.end_amdhsa_kernel
	.section	.text._ZN9rocsolver6v33100L18trti2_kernel_smallILi55EdPdEEv13rocblas_fill_17rocblas_diagonal_T1_iil,"axG",@progbits,_ZN9rocsolver6v33100L18trti2_kernel_smallILi55EdPdEEv13rocblas_fill_17rocblas_diagonal_T1_iil,comdat
.Lfunc_end54:
	.size	_ZN9rocsolver6v33100L18trti2_kernel_smallILi55EdPdEEv13rocblas_fill_17rocblas_diagonal_T1_iil, .Lfunc_end54-_ZN9rocsolver6v33100L18trti2_kernel_smallILi55EdPdEEv13rocblas_fill_17rocblas_diagonal_T1_iil
                                        ; -- End function
	.set _ZN9rocsolver6v33100L18trti2_kernel_smallILi55EdPdEEv13rocblas_fill_17rocblas_diagonal_T1_iil.num_vgpr, 125
	.set _ZN9rocsolver6v33100L18trti2_kernel_smallILi55EdPdEEv13rocblas_fill_17rocblas_diagonal_T1_iil.num_agpr, 0
	.set _ZN9rocsolver6v33100L18trti2_kernel_smallILi55EdPdEEv13rocblas_fill_17rocblas_diagonal_T1_iil.numbered_sgpr, 68
	.set _ZN9rocsolver6v33100L18trti2_kernel_smallILi55EdPdEEv13rocblas_fill_17rocblas_diagonal_T1_iil.num_named_barrier, 0
	.set _ZN9rocsolver6v33100L18trti2_kernel_smallILi55EdPdEEv13rocblas_fill_17rocblas_diagonal_T1_iil.private_seg_size, 448
	.set _ZN9rocsolver6v33100L18trti2_kernel_smallILi55EdPdEEv13rocblas_fill_17rocblas_diagonal_T1_iil.uses_vcc, 1
	.set _ZN9rocsolver6v33100L18trti2_kernel_smallILi55EdPdEEv13rocblas_fill_17rocblas_diagonal_T1_iil.uses_flat_scratch, 0
	.set _ZN9rocsolver6v33100L18trti2_kernel_smallILi55EdPdEEv13rocblas_fill_17rocblas_diagonal_T1_iil.has_dyn_sized_stack, 0
	.set _ZN9rocsolver6v33100L18trti2_kernel_smallILi55EdPdEEv13rocblas_fill_17rocblas_diagonal_T1_iil.has_recursion, 0
	.set _ZN9rocsolver6v33100L18trti2_kernel_smallILi55EdPdEEv13rocblas_fill_17rocblas_diagonal_T1_iil.has_indirect_call, 0
	.section	.AMDGPU.csdata,"",@progbits
; Kernel info:
; codeLenInByte = 32512
; TotalNumSgprs: 72
; NumVgprs: 125
; ScratchSize: 448
; MemoryBound: 0
; FloatMode: 240
; IeeeMode: 1
; LDSByteSize: 888 bytes/workgroup (compile time only)
; SGPRBlocks: 8
; VGPRBlocks: 31
; NumSGPRsForWavesPerEU: 72
; NumVGPRsForWavesPerEU: 125
; Occupancy: 2
; WaveLimiterHint : 0
; COMPUTE_PGM_RSRC2:SCRATCH_EN: 1
; COMPUTE_PGM_RSRC2:USER_SGPR: 6
; COMPUTE_PGM_RSRC2:TRAP_HANDLER: 0
; COMPUTE_PGM_RSRC2:TGID_X_EN: 1
; COMPUTE_PGM_RSRC2:TGID_Y_EN: 0
; COMPUTE_PGM_RSRC2:TGID_Z_EN: 0
; COMPUTE_PGM_RSRC2:TIDIG_COMP_CNT: 0
	.section	.text._ZN9rocsolver6v33100L18trti2_kernel_smallILi56EdPdEEv13rocblas_fill_17rocblas_diagonal_T1_iil,"axG",@progbits,_ZN9rocsolver6v33100L18trti2_kernel_smallILi56EdPdEEv13rocblas_fill_17rocblas_diagonal_T1_iil,comdat
	.globl	_ZN9rocsolver6v33100L18trti2_kernel_smallILi56EdPdEEv13rocblas_fill_17rocblas_diagonal_T1_iil ; -- Begin function _ZN9rocsolver6v33100L18trti2_kernel_smallILi56EdPdEEv13rocblas_fill_17rocblas_diagonal_T1_iil
	.p2align	8
	.type	_ZN9rocsolver6v33100L18trti2_kernel_smallILi56EdPdEEv13rocblas_fill_17rocblas_diagonal_T1_iil,@function
_ZN9rocsolver6v33100L18trti2_kernel_smallILi56EdPdEEv13rocblas_fill_17rocblas_diagonal_T1_iil: ; @_ZN9rocsolver6v33100L18trti2_kernel_smallILi56EdPdEEv13rocblas_fill_17rocblas_diagonal_T1_iil
; %bb.0:
	s_add_u32 s0, s0, s7
	s_addc_u32 s1, s1, 0
	v_cmp_gt_u32_e32 vcc, 56, v0
	s_and_saveexec_b64 s[8:9], vcc
	s_cbranch_execz .LBB55_1090
; %bb.1:
	s_load_dwordx8 s[8:15], s[4:5], 0x0
	s_ashr_i32 s7, s6, 31
	v_lshlrev_b32_e32 v115, 3, v0
	s_waitcnt lgkmcnt(0)
	s_ashr_i32 s5, s12, 31
	s_mov_b32 s4, s12
	s_mul_hi_u32 s12, s14, s6
	s_mul_i32 s7, s14, s7
	s_add_i32 s7, s12, s7
	s_mul_i32 s12, s15, s6
	s_add_i32 s7, s7, s12
	s_mul_i32 s6, s14, s6
	s_lshl_b64 s[6:7], s[6:7], 3
	s_add_u32 s6, s10, s6
	s_addc_u32 s7, s11, s7
	s_lshl_b64 s[4:5], s[4:5], 3
	s_add_u32 s4, s6, s4
	s_addc_u32 s5, s7, s5
	s_add_i32 s6, s13, s13
	v_add_u32_e32 v1, s6, v0
	v_ashrrev_i32_e32 v2, 31, v1
	v_lshlrev_b64 v[2:3], 3, v[1:2]
	v_mov_b32_e32 v4, s5
	v_add_co_u32_e32 v13, vcc, s4, v2
	v_addc_co_u32_e32 v14, vcc, v4, v3, vcc
	v_add_u32_e32 v3, s13, v1
	v_ashrrev_i32_e32 v4, 31, v3
	v_lshlrev_b64 v[1:2], 3, v[3:4]
	v_mov_b32_e32 v4, s5
	v_add_co_u32_e32 v1, vcc, s4, v1
	v_add_u32_e32 v3, s13, v3
	v_addc_co_u32_e32 v2, vcc, v4, v2, vcc
	v_ashrrev_i32_e32 v4, 31, v3
	v_lshlrev_b64 v[4:5], 3, v[3:4]
	v_mov_b32_e32 v6, s5
	v_add_co_u32_e32 v7, vcc, s4, v4
	v_addc_co_u32_e32 v8, vcc, v6, v5, vcc
	v_add_u32_e32 v5, s13, v3
	v_ashrrev_i32_e32 v6, 31, v5
	v_lshlrev_b64 v[3:4], 3, v[5:6]
	v_mov_b32_e32 v6, s5
	v_add_co_u32_e32 v3, vcc, s4, v3
	v_add_u32_e32 v5, s13, v5
	v_addc_co_u32_e32 v4, vcc, v6, v4, vcc
	v_ashrrev_i32_e32 v6, 31, v5
	v_lshlrev_b64 v[9:10], 3, v[5:6]
	v_mov_b32_e32 v6, s5
	v_add_co_u32_e32 v11, vcc, s4, v9
	v_add_u32_e32 v9, s13, v5
	v_addc_co_u32_e32 v12, vcc, v6, v10, vcc
	;; [unrolled: 6-line block ×3, first 2 shown]
	v_ashrrev_i32_e32 v10, 31, v9
	v_lshlrev_b64 v[15:16], 3, v[9:10]
	v_add_u32_e32 v17, s13, v9
	v_mov_b32_e32 v10, s5
	v_add_co_u32_e32 v15, vcc, s4, v15
	v_ashrrev_i32_e32 v18, 31, v17
	v_addc_co_u32_e32 v16, vcc, v10, v16, vcc
	v_lshlrev_b64 v[9:10], 3, v[17:18]
	v_mov_b32_e32 v18, s5
	v_add_co_u32_e32 v9, vcc, s4, v9
	v_add_u32_e32 v17, s13, v17
	v_addc_co_u32_e32 v10, vcc, v18, v10, vcc
	v_ashrrev_i32_e32 v18, 31, v17
	v_lshlrev_b64 v[19:20], 3, v[17:18]
	v_mov_b32_e32 v21, s5
	v_add_co_u32_e32 v19, vcc, s4, v19
	v_addc_co_u32_e32 v20, vcc, v21, v20, vcc
	v_add_u32_e32 v21, s13, v17
	v_ashrrev_i32_e32 v22, 31, v21
	v_lshlrev_b64 v[17:18], 3, v[21:22]
	v_mov_b32_e32 v23, s5
	v_add_co_u32_e32 v17, vcc, s4, v17
	v_addc_co_u32_e32 v18, vcc, v23, v18, vcc
	v_add_u32_e32 v23, s13, v21
	;; [unrolled: 6-line block ×5, first 2 shown]
	v_ashrrev_i32_e32 v30, 31, v29
	v_lshlrev_b64 v[27:28], 3, v[29:30]
	v_add_u32_e32 v29, s13, v29
	v_mov_b32_e32 v31, s5
	v_add_co_u32_e32 v27, vcc, s4, v27
	v_ashrrev_i32_e32 v30, 31, v29
	v_addc_co_u32_e32 v28, vcc, v31, v28, vcc
	v_lshlrev_b64 v[31:32], 3, v[29:30]
	v_add_u32_e32 v29, s13, v29
	v_mov_b32_e32 v33, s5
	v_add_co_u32_e32 v31, vcc, s4, v31
	v_ashrrev_i32_e32 v30, 31, v29
	v_addc_co_u32_e32 v32, vcc, v33, v32, vcc
	;; [unrolled: 6-line block ×4, first 2 shown]
	v_lshlrev_b64 v[33:34], 3, v[29:30]
	v_add_u32_e32 v29, s13, v29
	v_add_co_u32_e32 v43, vcc, s4, v33
	v_ashrrev_i32_e32 v30, 31, v29
	v_addc_co_u32_e32 v44, vcc, v37, v34, vcc
	v_lshlrev_b64 v[33:34], 3, v[29:30]
	v_add_u32_e32 v29, s13, v29
	v_add_co_u32_e32 v47, vcc, s4, v33
	v_ashrrev_i32_e32 v30, 31, v29
	v_addc_co_u32_e32 v48, vcc, v37, v34, vcc
	;; [unrolled: 5-line block ×5, first 2 shown]
	v_lshlrev_b64 v[33:34], 3, v[29:30]
	v_mov_b32_e32 v41, s5
	v_add_co_u32_e32 v63, vcc, s4, v33
	v_add_u32_e32 v33, s13, v29
	v_addc_co_u32_e32 v64, vcc, v37, v34, vcc
	v_ashrrev_i32_e32 v34, 31, v33
	v_lshlrev_b64 v[29:30], 3, v[33:34]
	v_mov_b32_e32 v45, s5
	v_add_co_u32_e32 v29, vcc, s4, v29
	v_addc_co_u32_e32 v30, vcc, v37, v30, vcc
	v_add_u32_e32 v37, s13, v33
	v_ashrrev_i32_e32 v38, 31, v37
	v_lshlrev_b64 v[33:34], 3, v[37:38]
	v_mov_b32_e32 v49, s5
	v_add_co_u32_e32 v33, vcc, s4, v33
	v_addc_co_u32_e32 v34, vcc, v41, v34, vcc
	v_add_u32_e32 v41, s13, v37
	;; [unrolled: 6-line block ×19, first 2 shown]
	v_ashrrev_i32_e32 v88, 31, v87
	v_lshlrev_b64 v[85:86], 3, v[87:88]
	s_ashr_i32 s7, s13, 31
	v_add_co_u32_e32 v85, vcc, s4, v85
	v_addc_co_u32_e32 v86, vcc, v89, v86, vcc
	v_add_u32_e32 v89, s13, v87
	v_ashrrev_i32_e32 v90, 31, v89
	v_lshlrev_b64 v[87:88], 3, v[89:90]
	s_mov_b32 s6, s13
	v_add_co_u32_e32 v87, vcc, s4, v87
	v_addc_co_u32_e32 v88, vcc, v91, v88, vcc
	v_add_u32_e32 v91, s13, v89
	v_ashrrev_i32_e32 v92, 31, v91
	v_lshlrev_b64 v[89:90], 3, v[91:92]
	v_mov_b32_e32 v92, s5
	v_add_co_u32_e32 v111, vcc, s4, v115
	v_addc_co_u32_e32 v112, vcc, 0, v92, vcc
	s_lshl_b64 s[6:7], s[6:7], 3
	v_mov_b32_e32 v92, s7
	v_add_co_u32_e32 v109, vcc, s6, v111
	global_load_dwordx2 v[113:114], v115, s[4:5]
	global_load_dwordx2 v[118:119], v[13:14], off
	global_load_dwordx2 v[122:123], v[1:2], off
	v_addc_co_u32_e32 v110, vcc, v112, v92, vcc
	global_load_dwordx2 v[116:117], v[109:110], off
	v_mov_b32_e32 v93, s5
	v_add_co_u32_e32 v89, vcc, s4, v89
	v_addc_co_u32_e32 v90, vcc, v93, v90, vcc
	v_add_u32_e32 v93, s13, v91
	v_ashrrev_i32_e32 v94, 31, v93
	v_lshlrev_b64 v[91:92], 3, v[93:94]
	v_mov_b32_e32 v95, s5
	v_add_co_u32_e32 v91, vcc, s4, v91
	v_addc_co_u32_e32 v92, vcc, v95, v92, vcc
	v_add_u32_e32 v95, s13, v93
	v_ashrrev_i32_e32 v96, 31, v95
	v_lshlrev_b64 v[93:94], 3, v[95:96]
	;; [unrolled: 6-line block ×8, first 2 shown]
	v_add_u32_e32 v107, s13, v107
	v_ashrrev_i32_e32 v108, 31, v107
	v_mov_b32_e32 v120, s5
	v_add_co_u32_e32 v105, vcc, s4, v105
	v_lshlrev_b64 v[107:108], 3, v[107:108]
	v_addc_co_u32_e32 v106, vcc, v120, v106, vcc
	v_add_co_u32_e32 v107, vcc, s4, v107
	v_addc_co_u32_e32 v108, vcc, v120, v108, vcc
	global_load_dwordx2 v[120:121], v[107:108], off
	s_cmpk_lg_i32 s9, 0x84
	s_waitcnt vmcnt(4)
	buffer_store_dword v114, off, s[0:3], 0 offset:4
	buffer_store_dword v113, off, s[0:3], 0
	global_load_dwordx2 v[113:114], v[7:8], off
	s_waitcnt vmcnt(4)
	buffer_store_dword v117, off, s[0:3], 0 offset:12
	buffer_store_dword v116, off, s[0:3], 0 offset:8
	;; [unrolled: 1-line block ×3, first 2 shown]
	global_load_dwordx2 v[116:117], v[3:4], off
	s_cselect_b64 s[10:11], -1, 0
	buffer_store_dword v118, off, s[0:3], 0 offset:16
	global_load_dwordx2 v[118:119], v[11:12], off
	s_nop 0
	buffer_store_dword v123, off, s[0:3], 0 offset:28
	buffer_store_dword v122, off, s[0:3], 0 offset:24
	s_waitcnt vmcnt(8)
	buffer_store_dword v114, off, s[0:3], 0 offset:36
	global_load_dwordx2 v[122:123], v[5:6], off
	s_cmpk_eq_i32 s9, 0x84
	buffer_store_dword v113, off, s[0:3], 0 offset:32
	global_load_dwordx2 v[113:114], v[15:16], off
	s_waitcnt vmcnt(8)
	buffer_store_dword v117, off, s[0:3], 0 offset:44
	buffer_store_dword v116, off, s[0:3], 0 offset:40
	s_waitcnt vmcnt(8)
	buffer_store_dword v119, off, s[0:3], 0 offset:52
	global_load_dwordx2 v[116:117], v[9:10], off
	s_nop 0
	buffer_store_dword v118, off, s[0:3], 0 offset:48
	global_load_dwordx2 v[118:119], v[19:20], off
	s_waitcnt vmcnt(8)
	buffer_store_dword v123, off, s[0:3], 0 offset:60
	buffer_store_dword v122, off, s[0:3], 0 offset:56
	s_waitcnt vmcnt(8)
	buffer_store_dword v114, off, s[0:3], 0 offset:68
	global_load_dwordx2 v[122:123], v[17:18], off
	s_nop 0
	;; [unrolled: 9-line block ×21, first 2 shown]
	buffer_store_dword v119, off, s[0:3], 0 offset:372
	global_load_dwordx2 v[118:119], v[97:98], off
	s_waitcnt vmcnt(8)
	buffer_store_dword v122, off, s[0:3], 0 offset:376
	buffer_store_dword v123, off, s[0:3], 0 offset:380
	s_waitcnt vmcnt(8)
	buffer_store_dword v113, off, s[0:3], 0 offset:384
	buffer_store_dword v114, off, s[0:3], 0 offset:388
	global_load_dwordx2 v[113:114], v[99:100], off
	s_nop 0
	global_load_dwordx2 v[122:123], v[101:102], off
	s_waitcnt vmcnt(8)
	buffer_store_dword v117, off, s[0:3], 0 offset:396
	buffer_store_dword v116, off, s[0:3], 0 offset:392
	s_waitcnt vmcnt(8)
	buffer_store_dword v119, off, s[0:3], 0 offset:404
	global_load_dwordx2 v[116:117], v[103:104], off
	s_nop 0
	buffer_store_dword v118, off, s[0:3], 0 offset:400
	global_load_dwordx2 v[118:119], v[105:106], off
	s_waitcnt vmcnt(7)
	buffer_store_dword v113, off, s[0:3], 0 offset:408
	buffer_store_dword v114, off, s[0:3], 0 offset:412
	s_waitcnt vmcnt(8)
	buffer_store_dword v122, off, s[0:3], 0 offset:416
	buffer_store_dword v123, off, s[0:3], 0 offset:420
	s_waitcnt vmcnt(6)
	buffer_store_dword v116, off, s[0:3], 0 offset:424
	buffer_store_dword v117, off, s[0:3], 0 offset:428
	s_waitcnt vmcnt(6)
	buffer_store_dword v118, off, s[0:3], 0 offset:432
	buffer_store_dword v119, off, s[0:3], 0 offset:436
	buffer_store_dword v121, off, s[0:3], 0 offset:444
	v_mov_b32_e32 v113, 0
	v_mov_b32_e32 v114, 0xbff00000
	buffer_store_dword v120, off, s[0:3], 0 offset:440
	s_cbranch_scc1 .LBB55_3
; %bb.2:
	v_mov_b32_e32 v113, 0
	v_lshl_add_u32 v124, v0, 3, v113
	buffer_load_dword v113, v124, s[0:3], 0 offen
	buffer_load_dword v114, v124, s[0:3], 0 offen offset:4
	s_waitcnt vmcnt(0)
	v_div_scale_f64 v[116:117], s[4:5], v[113:114], v[113:114], 1.0
	v_rcp_f64_e32 v[118:119], v[116:117]
	v_fma_f64 v[120:121], -v[116:117], v[118:119], 1.0
	v_fma_f64 v[118:119], v[118:119], v[120:121], v[118:119]
	v_div_scale_f64 v[120:121], vcc, 1.0, v[113:114], 1.0
	v_fma_f64 v[122:123], -v[116:117], v[118:119], 1.0
	v_fma_f64 v[118:119], v[118:119], v[122:123], v[118:119]
	v_mul_f64 v[122:123], v[120:121], v[118:119]
	v_fma_f64 v[116:117], -v[116:117], v[122:123], v[120:121]
	v_div_fmas_f64 v[116:117], v[116:117], v[118:119], v[122:123]
	v_div_fixup_f64 v[113:114], v[116:117], v[113:114], 1.0
	buffer_store_dword v113, v124, s[0:3], 0 offen
	buffer_store_dword v114, v124, s[0:3], 0 offen offset:4
	v_xor_b32_e32 v114, 0x80000000, v114
.LBB55_3:
	s_cmpk_eq_i32 s8, 0x79
	v_add_u32_e32 v116, 0x1c0, v115
	v_mov_b32_e32 v117, v115
	s_mov_b64 s[4:5], -1
	ds_write_b64 v115, v[113:114]
	s_cbranch_scc1 .LBB55_547
; %bb.4:
	buffer_load_dword v113, off, s[0:3], 0 offset:432
	buffer_load_dword v114, off, s[0:3], 0 offset:436
	s_movk_i32 s12, 0x48
	s_movk_i32 s13, 0x50
	;; [unrolled: 1-line block ×45, first 2 shown]
	v_cmp_eq_u32_e64 s[4:5], 55, v0
	s_waitcnt vmcnt(0)
	ds_write_b64 v116, v[113:114]
	s_waitcnt lgkmcnt(0)
	; wave barrier
	s_and_saveexec_b64 s[6:7], s[4:5]
	s_cbranch_execz .LBB55_10
; %bb.5:
	s_and_b64 vcc, exec, s[10:11]
	s_cbranch_vccz .LBB55_7
; %bb.6:
	buffer_load_dword v113, v117, s[0:3], 0 offen
	buffer_load_dword v114, v117, s[0:3], 0 offen offset:4
	ds_read_b64 v[118:119], v116
	s_waitcnt vmcnt(0) lgkmcnt(0)
	v_mul_f64 v[113:114], v[113:114], v[118:119]
	s_cbranch_execz .LBB55_8
	s_branch .LBB55_9
.LBB55_7:
                                        ; implicit-def: $vgpr113_vgpr114
.LBB55_8:
	ds_read_b64 v[113:114], v116
.LBB55_9:
	v_mov_b32_e32 v118, 0
	ds_read_b64 v[118:119], v118 offset:432
	s_waitcnt lgkmcnt(0)
	v_mul_f64 v[113:114], v[113:114], v[118:119]
	buffer_store_dword v114, off, s[0:3], 0 offset:436
	buffer_store_dword v113, off, s[0:3], 0 offset:432
.LBB55_10:
	s_or_b64 exec, exec, s[6:7]
	buffer_load_dword v113, off, s[0:3], 0 offset:424
	buffer_load_dword v114, off, s[0:3], 0 offset:428
	s_or_b32 s14, 0, 8
	s_mov_b32 s15, 16
	s_mov_b32 s16, 24
	;; [unrolled: 1-line block ×9, first 2 shown]
	v_cmp_lt_u32_e64 s[6:7], 53, v0
	s_waitcnt vmcnt(0)
	ds_write_b64 v116, v[113:114]
	s_waitcnt lgkmcnt(0)
	; wave barrier
	s_and_saveexec_b64 s[8:9], s[6:7]
	s_cbranch_execz .LBB55_16
; %bb.11:
	s_andn2_b64 vcc, exec, s[10:11]
	s_cbranch_vccnz .LBB55_13
; %bb.12:
	buffer_load_dword v113, v117, s[0:3], 0 offen
	buffer_load_dword v114, v117, s[0:3], 0 offen offset:4
	ds_read_b64 v[118:119], v116
	s_waitcnt vmcnt(0) lgkmcnt(0)
	v_mul_f64 v[113:114], v[113:114], v[118:119]
	s_cbranch_execz .LBB55_14
	s_branch .LBB55_15
.LBB55_13:
                                        ; implicit-def: $vgpr113_vgpr114
.LBB55_14:
	ds_read_b64 v[113:114], v116
.LBB55_15:
	buffer_load_dword v122, off, s[0:3], 0 offset:432
	buffer_load_dword v123, off, s[0:3], 0 offset:436
	v_mov_b32_e32 v118, 0
	ds_read2_b64 v[118:121], v118 offset0:53 offset1:110
	s_waitcnt vmcnt(0) lgkmcnt(0)
	v_fma_f64 v[120:121], v[122:123], v[120:121], v[113:114]
	v_cndmask_b32_e64 v114, v114, v121, s[4:5]
	v_cndmask_b32_e64 v113, v113, v120, s[4:5]
	v_mul_f64 v[113:114], v[113:114], v[118:119]
	buffer_store_dword v114, off, s[0:3], 0 offset:428
	buffer_store_dword v113, off, s[0:3], 0 offset:424
.LBB55_16:
	s_or_b64 exec, exec, s[8:9]
	buffer_load_dword v113, off, s[0:3], 0 offset:416
	buffer_load_dword v114, off, s[0:3], 0 offset:420
	v_cmp_lt_u32_e64 s[4:5], 52, v0
	s_waitcnt vmcnt(0)
	ds_write_b64 v116, v[113:114]
	s_waitcnt lgkmcnt(0)
	; wave barrier
	s_and_saveexec_b64 s[8:9], s[4:5]
	s_cbranch_execz .LBB55_26
; %bb.17:
	s_andn2_b64 vcc, exec, s[10:11]
	s_cbranch_vccnz .LBB55_19
; %bb.18:
	buffer_load_dword v113, v117, s[0:3], 0 offen
	buffer_load_dword v114, v117, s[0:3], 0 offen offset:4
	ds_read_b64 v[118:119], v116
	s_waitcnt vmcnt(0) lgkmcnt(0)
	v_mul_f64 v[113:114], v[113:114], v[118:119]
	s_cbranch_execz .LBB55_20
	s_branch .LBB55_21
.LBB55_19:
                                        ; implicit-def: $vgpr113_vgpr114
.LBB55_20:
	ds_read_b64 v[113:114], v116
.LBB55_21:
	s_and_saveexec_b64 s[12:13], s[6:7]
	s_cbranch_execz .LBB55_25
; %bb.22:
	v_subrev_u32_e32 v118, 53, v0
	s_movk_i32 s68, 0x368
	s_mov_b64 s[6:7], 0
.LBB55_23:                              ; =>This Inner Loop Header: Depth=1
	v_mov_b32_e32 v120, s67
	buffer_load_dword v119, v120, s[0:3], 0 offen
	s_nop 0
	buffer_load_dword v120, v120, s[0:3], 0 offen offset:4
	v_mov_b32_e32 v121, s68
	ds_read_b64 v[121:122], v121
	v_add_u32_e32 v118, -1, v118
	s_add_i32 s68, s68, 8
	s_add_i32 s67, s67, 8
	v_cmp_eq_u32_e32 vcc, 0, v118
	s_or_b64 s[6:7], vcc, s[6:7]
	s_waitcnt vmcnt(0) lgkmcnt(0)
	v_fma_f64 v[113:114], v[119:120], v[121:122], v[113:114]
	s_andn2_b64 exec, exec, s[6:7]
	s_cbranch_execnz .LBB55_23
; %bb.24:
	s_or_b64 exec, exec, s[6:7]
.LBB55_25:
	s_or_b64 exec, exec, s[12:13]
	v_mov_b32_e32 v118, 0
	ds_read_b64 v[118:119], v118 offset:416
	s_waitcnt lgkmcnt(0)
	v_mul_f64 v[113:114], v[113:114], v[118:119]
	buffer_store_dword v114, off, s[0:3], 0 offset:420
	buffer_store_dword v113, off, s[0:3], 0 offset:416
.LBB55_26:
	s_or_b64 exec, exec, s[8:9]
	buffer_load_dword v113, off, s[0:3], 0 offset:408
	buffer_load_dword v114, off, s[0:3], 0 offset:412
	v_cmp_lt_u32_e64 s[6:7], 51, v0
	s_waitcnt vmcnt(0)
	ds_write_b64 v116, v[113:114]
	s_waitcnt lgkmcnt(0)
	; wave barrier
	s_and_saveexec_b64 s[8:9], s[6:7]
	s_cbranch_execz .LBB55_36
; %bb.27:
	s_andn2_b64 vcc, exec, s[10:11]
	s_cbranch_vccnz .LBB55_29
; %bb.28:
	buffer_load_dword v113, v117, s[0:3], 0 offen
	buffer_load_dword v114, v117, s[0:3], 0 offen offset:4
	ds_read_b64 v[118:119], v116
	s_waitcnt vmcnt(0) lgkmcnt(0)
	v_mul_f64 v[113:114], v[113:114], v[118:119]
	s_cbranch_execz .LBB55_30
	s_branch .LBB55_31
.LBB55_29:
                                        ; implicit-def: $vgpr113_vgpr114
.LBB55_30:
	ds_read_b64 v[113:114], v116
.LBB55_31:
	s_and_saveexec_b64 s[12:13], s[4:5]
	s_cbranch_execz .LBB55_35
; %bb.32:
	v_subrev_u32_e32 v118, 52, v0
	s_movk_i32 s67, 0x360
	s_mov_b64 s[4:5], 0
.LBB55_33:                              ; =>This Inner Loop Header: Depth=1
	v_mov_b32_e32 v120, s66
	buffer_load_dword v119, v120, s[0:3], 0 offen
	s_nop 0
	buffer_load_dword v120, v120, s[0:3], 0 offen offset:4
	v_mov_b32_e32 v121, s67
	ds_read_b64 v[121:122], v121
	v_add_u32_e32 v118, -1, v118
	s_add_i32 s67, s67, 8
	s_add_i32 s66, s66, 8
	v_cmp_eq_u32_e32 vcc, 0, v118
	s_or_b64 s[4:5], vcc, s[4:5]
	s_waitcnt vmcnt(0) lgkmcnt(0)
	v_fma_f64 v[113:114], v[119:120], v[121:122], v[113:114]
	s_andn2_b64 exec, exec, s[4:5]
	s_cbranch_execnz .LBB55_33
; %bb.34:
	s_or_b64 exec, exec, s[4:5]
.LBB55_35:
	s_or_b64 exec, exec, s[12:13]
	v_mov_b32_e32 v118, 0
	ds_read_b64 v[118:119], v118 offset:408
	s_waitcnt lgkmcnt(0)
	v_mul_f64 v[113:114], v[113:114], v[118:119]
	buffer_store_dword v114, off, s[0:3], 0 offset:412
	buffer_store_dword v113, off, s[0:3], 0 offset:408
.LBB55_36:
	;; [unrolled: 59-line block ×8, first 2 shown]
	s_or_b64 exec, exec, s[8:9]
	buffer_load_dword v113, off, s[0:3], 0 offset:352
	buffer_load_dword v114, off, s[0:3], 0 offset:356
	v_cmp_lt_u32_e64 s[4:5], 44, v0
	s_waitcnt vmcnt(0)
	ds_write_b64 v116, v[113:114]
	s_waitcnt lgkmcnt(0)
	; wave barrier
	s_and_saveexec_b64 s[8:9], s[4:5]
	s_cbranch_execz .LBB55_106
; %bb.97:
	s_andn2_b64 vcc, exec, s[10:11]
	s_cbranch_vccnz .LBB55_99
; %bb.98:
	buffer_load_dword v113, v117, s[0:3], 0 offen
	buffer_load_dword v114, v117, s[0:3], 0 offen offset:4
	ds_read_b64 v[118:119], v116
	s_waitcnt vmcnt(0) lgkmcnt(0)
	v_mul_f64 v[113:114], v[113:114], v[118:119]
	s_cbranch_execz .LBB55_100
	s_branch .LBB55_101
.LBB55_99:
                                        ; implicit-def: $vgpr113_vgpr114
.LBB55_100:
	ds_read_b64 v[113:114], v116
.LBB55_101:
	s_and_saveexec_b64 s[12:13], s[6:7]
	s_cbranch_execz .LBB55_105
; %bb.102:
	v_subrev_u32_e32 v118, 45, v0
	s_movk_i32 s60, 0x328
	s_mov_b64 s[6:7], 0
.LBB55_103:                             ; =>This Inner Loop Header: Depth=1
	v_mov_b32_e32 v120, s59
	buffer_load_dword v119, v120, s[0:3], 0 offen
	s_nop 0
	buffer_load_dword v120, v120, s[0:3], 0 offen offset:4
	v_mov_b32_e32 v121, s60
	ds_read_b64 v[121:122], v121
	v_add_u32_e32 v118, -1, v118
	s_add_i32 s60, s60, 8
	s_add_i32 s59, s59, 8
	v_cmp_eq_u32_e32 vcc, 0, v118
	s_or_b64 s[6:7], vcc, s[6:7]
	s_waitcnt vmcnt(0) lgkmcnt(0)
	v_fma_f64 v[113:114], v[119:120], v[121:122], v[113:114]
	s_andn2_b64 exec, exec, s[6:7]
	s_cbranch_execnz .LBB55_103
; %bb.104:
	s_or_b64 exec, exec, s[6:7]
.LBB55_105:
	s_or_b64 exec, exec, s[12:13]
	v_mov_b32_e32 v118, 0
	ds_read_b64 v[118:119], v118 offset:352
	s_waitcnt lgkmcnt(0)
	v_mul_f64 v[113:114], v[113:114], v[118:119]
	buffer_store_dword v114, off, s[0:3], 0 offset:356
	buffer_store_dword v113, off, s[0:3], 0 offset:352
.LBB55_106:
	s_or_b64 exec, exec, s[8:9]
	buffer_load_dword v113, off, s[0:3], 0 offset:344
	buffer_load_dword v114, off, s[0:3], 0 offset:348
	v_cmp_lt_u32_e64 s[6:7], 43, v0
	s_waitcnt vmcnt(0)
	ds_write_b64 v116, v[113:114]
	s_waitcnt lgkmcnt(0)
	; wave barrier
	s_and_saveexec_b64 s[8:9], s[6:7]
	s_cbranch_execz .LBB55_116
; %bb.107:
	s_andn2_b64 vcc, exec, s[10:11]
	s_cbranch_vccnz .LBB55_109
; %bb.108:
	buffer_load_dword v113, v117, s[0:3], 0 offen
	buffer_load_dword v114, v117, s[0:3], 0 offen offset:4
	ds_read_b64 v[118:119], v116
	s_waitcnt vmcnt(0) lgkmcnt(0)
	v_mul_f64 v[113:114], v[113:114], v[118:119]
	s_cbranch_execz .LBB55_110
	s_branch .LBB55_111
.LBB55_109:
                                        ; implicit-def: $vgpr113_vgpr114
.LBB55_110:
	ds_read_b64 v[113:114], v116
.LBB55_111:
	s_and_saveexec_b64 s[12:13], s[4:5]
	s_cbranch_execz .LBB55_115
; %bb.112:
	v_subrev_u32_e32 v118, 44, v0
	s_movk_i32 s59, 0x320
	s_mov_b64 s[4:5], 0
.LBB55_113:                             ; =>This Inner Loop Header: Depth=1
	v_mov_b32_e32 v120, s58
	buffer_load_dword v119, v120, s[0:3], 0 offen
	s_nop 0
	buffer_load_dword v120, v120, s[0:3], 0 offen offset:4
	v_mov_b32_e32 v121, s59
	ds_read_b64 v[121:122], v121
	v_add_u32_e32 v118, -1, v118
	s_add_i32 s59, s59, 8
	s_add_i32 s58, s58, 8
	v_cmp_eq_u32_e32 vcc, 0, v118
	s_or_b64 s[4:5], vcc, s[4:5]
	s_waitcnt vmcnt(0) lgkmcnt(0)
	v_fma_f64 v[113:114], v[119:120], v[121:122], v[113:114]
	s_andn2_b64 exec, exec, s[4:5]
	s_cbranch_execnz .LBB55_113
; %bb.114:
	s_or_b64 exec, exec, s[4:5]
.LBB55_115:
	s_or_b64 exec, exec, s[12:13]
	v_mov_b32_e32 v118, 0
	ds_read_b64 v[118:119], v118 offset:344
	s_waitcnt lgkmcnt(0)
	v_mul_f64 v[113:114], v[113:114], v[118:119]
	buffer_store_dword v114, off, s[0:3], 0 offset:348
	buffer_store_dword v113, off, s[0:3], 0 offset:344
.LBB55_116:
	;; [unrolled: 59-line block ×9, first 2 shown]
	s_or_b64 exec, exec, s[4:5]
	buffer_load_dword v113, off, s[0:3], 0 offset:280
	buffer_load_dword v114, off, s[0:3], 0 offset:284
	v_cmp_lt_u32_e64 s[4:5], 35, v0
	s_waitcnt vmcnt(0)
	ds_write_b64 v116, v[113:114]
	s_waitcnt lgkmcnt(0)
	; wave barrier
	s_and_saveexec_b64 s[6:7], s[4:5]
	s_cbranch_execz .LBB55_196
; %bb.187:
	s_andn2_b64 vcc, exec, s[10:11]
	s_cbranch_vccnz .LBB55_189
; %bb.188:
	buffer_load_dword v113, v117, s[0:3], 0 offen
	buffer_load_dword v114, v117, s[0:3], 0 offen offset:4
	ds_read_b64 v[118:119], v116
	s_waitcnt vmcnt(0) lgkmcnt(0)
	v_mul_f64 v[113:114], v[113:114], v[118:119]
	s_cbranch_execz .LBB55_190
	s_branch .LBB55_191
.LBB55_189:
                                        ; implicit-def: $vgpr113_vgpr114
.LBB55_190:
	ds_read_b64 v[113:114], v116
.LBB55_191:
	s_and_saveexec_b64 s[12:13], s[8:9]
	s_cbranch_execz .LBB55_195
; %bb.192:
	v_subrev_u32_e32 v118, 36, v0
	s_movk_i32 s51, 0x2e0
	s_mov_b64 s[8:9], 0
.LBB55_193:                             ; =>This Inner Loop Header: Depth=1
	v_mov_b32_e32 v121, s50
	buffer_load_dword v119, v121, s[0:3], 0 offen
	buffer_load_dword v120, v121, s[0:3], 0 offen offset:4
	v_mov_b32_e32 v121, s51
	ds_read_b64 v[121:122], v121
	v_add_u32_e32 v118, -1, v118
	s_add_i32 s51, s51, 8
	s_add_i32 s50, s50, 8
	v_cmp_eq_u32_e32 vcc, 0, v118
	s_or_b64 s[8:9], vcc, s[8:9]
	s_waitcnt vmcnt(0) lgkmcnt(0)
	v_fma_f64 v[113:114], v[119:120], v[121:122], v[113:114]
	s_andn2_b64 exec, exec, s[8:9]
	s_cbranch_execnz .LBB55_193
; %bb.194:
	s_or_b64 exec, exec, s[8:9]
.LBB55_195:
	s_or_b64 exec, exec, s[12:13]
	v_mov_b32_e32 v118, 0
	ds_read_b64 v[118:119], v118 offset:280
	s_waitcnt lgkmcnt(0)
	v_mul_f64 v[113:114], v[113:114], v[118:119]
	buffer_store_dword v114, off, s[0:3], 0 offset:284
	buffer_store_dword v113, off, s[0:3], 0 offset:280
.LBB55_196:
	s_or_b64 exec, exec, s[6:7]
	buffer_load_dword v113, off, s[0:3], 0 offset:272
	buffer_load_dword v114, off, s[0:3], 0 offset:276
	v_cmp_lt_u32_e64 s[6:7], 34, v0
	s_waitcnt vmcnt(0)
	ds_write_b64 v116, v[113:114]
	s_waitcnt lgkmcnt(0)
	; wave barrier
	s_and_saveexec_b64 s[8:9], s[6:7]
	s_cbranch_execz .LBB55_206
; %bb.197:
	s_andn2_b64 vcc, exec, s[10:11]
	s_cbranch_vccnz .LBB55_199
; %bb.198:
	buffer_load_dword v113, v117, s[0:3], 0 offen
	buffer_load_dword v114, v117, s[0:3], 0 offen offset:4
	ds_read_b64 v[118:119], v116
	s_waitcnt vmcnt(0) lgkmcnt(0)
	v_mul_f64 v[113:114], v[113:114], v[118:119]
	s_cbranch_execz .LBB55_200
	s_branch .LBB55_201
.LBB55_199:
                                        ; implicit-def: $vgpr113_vgpr114
.LBB55_200:
	ds_read_b64 v[113:114], v116
.LBB55_201:
	s_and_saveexec_b64 s[12:13], s[4:5]
	s_cbranch_execz .LBB55_205
; %bb.202:
	v_subrev_u32_e32 v118, 35, v0
	s_movk_i32 s50, 0x2d8
	s_mov_b64 s[4:5], 0
.LBB55_203:                             ; =>This Inner Loop Header: Depth=1
	v_mov_b32_e32 v121, s49
	buffer_load_dword v119, v121, s[0:3], 0 offen
	buffer_load_dword v120, v121, s[0:3], 0 offen offset:4
	v_mov_b32_e32 v121, s50
	ds_read_b64 v[121:122], v121
	v_add_u32_e32 v118, -1, v118
	s_add_i32 s50, s50, 8
	s_add_i32 s49, s49, 8
	v_cmp_eq_u32_e32 vcc, 0, v118
	s_or_b64 s[4:5], vcc, s[4:5]
	s_waitcnt vmcnt(0) lgkmcnt(0)
	v_fma_f64 v[113:114], v[119:120], v[121:122], v[113:114]
	s_andn2_b64 exec, exec, s[4:5]
	s_cbranch_execnz .LBB55_203
; %bb.204:
	s_or_b64 exec, exec, s[4:5]
.LBB55_205:
	s_or_b64 exec, exec, s[12:13]
	v_mov_b32_e32 v118, 0
	ds_read_b64 v[118:119], v118 offset:272
	s_waitcnt lgkmcnt(0)
	v_mul_f64 v[113:114], v[113:114], v[118:119]
	buffer_store_dword v114, off, s[0:3], 0 offset:276
	buffer_store_dword v113, off, s[0:3], 0 offset:272
.LBB55_206:
	;; [unrolled: 58-line block ×20, first 2 shown]
	s_or_b64 exec, exec, s[8:9]
	buffer_load_dword v113, off, s[0:3], 0 offset:120
	buffer_load_dword v114, off, s[0:3], 0 offset:124
	v_cmp_lt_u32_e64 s[4:5], 15, v0
	s_waitcnt vmcnt(0)
	ds_write_b64 v116, v[113:114]
	s_waitcnt lgkmcnt(0)
	; wave barrier
	s_and_saveexec_b64 s[8:9], s[4:5]
	s_cbranch_execz .LBB55_396
; %bb.387:
	s_andn2_b64 vcc, exec, s[10:11]
	s_cbranch_vccnz .LBB55_389
; %bb.388:
	buffer_load_dword v113, v117, s[0:3], 0 offen
	buffer_load_dword v114, v117, s[0:3], 0 offen offset:4
	ds_read_b64 v[118:119], v116
	s_waitcnt vmcnt(0) lgkmcnt(0)
	v_mul_f64 v[113:114], v[113:114], v[118:119]
	s_cbranch_execz .LBB55_390
	s_branch .LBB55_391
.LBB55_389:
                                        ; implicit-def: $vgpr113_vgpr114
.LBB55_390:
	ds_read_b64 v[113:114], v116
.LBB55_391:
	s_and_saveexec_b64 s[12:13], s[6:7]
	s_cbranch_execz .LBB55_395
; %bb.392:
	v_add_u32_e32 v118, -16, v0
	s_movk_i32 s30, 0x240
	s_mov_b64 s[6:7], 0
.LBB55_393:                             ; =>This Inner Loop Header: Depth=1
	v_mov_b32_e32 v121, s29
	buffer_load_dword v119, v121, s[0:3], 0 offen
	buffer_load_dword v120, v121, s[0:3], 0 offen offset:4
	v_mov_b32_e32 v121, s30
	ds_read_b64 v[121:122], v121
	v_add_u32_e32 v118, -1, v118
	s_add_i32 s30, s30, 8
	s_add_i32 s29, s29, 8
	v_cmp_eq_u32_e32 vcc, 0, v118
	s_or_b64 s[6:7], vcc, s[6:7]
	s_waitcnt vmcnt(0) lgkmcnt(0)
	v_fma_f64 v[113:114], v[119:120], v[121:122], v[113:114]
	s_andn2_b64 exec, exec, s[6:7]
	s_cbranch_execnz .LBB55_393
; %bb.394:
	s_or_b64 exec, exec, s[6:7]
.LBB55_395:
	s_or_b64 exec, exec, s[12:13]
	v_mov_b32_e32 v118, 0
	ds_read_b64 v[118:119], v118 offset:120
	s_waitcnt lgkmcnt(0)
	v_mul_f64 v[113:114], v[113:114], v[118:119]
	buffer_store_dword v114, off, s[0:3], 0 offset:124
	buffer_store_dword v113, off, s[0:3], 0 offset:120
.LBB55_396:
	s_or_b64 exec, exec, s[8:9]
	buffer_load_dword v113, off, s[0:3], 0 offset:112
	buffer_load_dword v114, off, s[0:3], 0 offset:116
	v_cmp_lt_u32_e64 s[6:7], 14, v0
	s_waitcnt vmcnt(0)
	ds_write_b64 v116, v[113:114]
	s_waitcnt lgkmcnt(0)
	; wave barrier
	s_and_saveexec_b64 s[8:9], s[6:7]
	s_cbranch_execz .LBB55_406
; %bb.397:
	s_andn2_b64 vcc, exec, s[10:11]
	s_cbranch_vccnz .LBB55_399
; %bb.398:
	buffer_load_dword v113, v117, s[0:3], 0 offen
	buffer_load_dword v114, v117, s[0:3], 0 offen offset:4
	ds_read_b64 v[118:119], v116
	s_waitcnt vmcnt(0) lgkmcnt(0)
	v_mul_f64 v[113:114], v[113:114], v[118:119]
	s_cbranch_execz .LBB55_400
	s_branch .LBB55_401
.LBB55_399:
                                        ; implicit-def: $vgpr113_vgpr114
.LBB55_400:
	ds_read_b64 v[113:114], v116
.LBB55_401:
	s_and_saveexec_b64 s[12:13], s[4:5]
	s_cbranch_execz .LBB55_405
; %bb.402:
	v_add_u32_e32 v118, -15, v0
	s_movk_i32 s29, 0x238
	s_mov_b64 s[4:5], 0
.LBB55_403:                             ; =>This Inner Loop Header: Depth=1
	v_mov_b32_e32 v121, s28
	buffer_load_dword v119, v121, s[0:3], 0 offen
	buffer_load_dword v120, v121, s[0:3], 0 offen offset:4
	v_mov_b32_e32 v121, s29
	ds_read_b64 v[121:122], v121
	v_add_u32_e32 v118, -1, v118
	s_add_i32 s29, s29, 8
	s_add_i32 s28, s28, 8
	v_cmp_eq_u32_e32 vcc, 0, v118
	s_or_b64 s[4:5], vcc, s[4:5]
	s_waitcnt vmcnt(0) lgkmcnt(0)
	v_fma_f64 v[113:114], v[119:120], v[121:122], v[113:114]
	s_andn2_b64 exec, exec, s[4:5]
	s_cbranch_execnz .LBB55_403
; %bb.404:
	s_or_b64 exec, exec, s[4:5]
.LBB55_405:
	s_or_b64 exec, exec, s[12:13]
	v_mov_b32_e32 v118, 0
	ds_read_b64 v[118:119], v118 offset:112
	s_waitcnt lgkmcnt(0)
	v_mul_f64 v[113:114], v[113:114], v[118:119]
	buffer_store_dword v114, off, s[0:3], 0 offset:116
	buffer_store_dword v113, off, s[0:3], 0 offset:112
.LBB55_406:
	;; [unrolled: 58-line block ×15, first 2 shown]
	s_or_b64 exec, exec, s[8:9]
	buffer_load_dword v113, off, s[0:3], 0
	buffer_load_dword v114, off, s[0:3], 0 offset:4
	v_cmp_ne_u32_e32 vcc, 0, v0
	s_waitcnt vmcnt(0)
	ds_write_b64 v116, v[113:114]
	s_waitcnt lgkmcnt(0)
	; wave barrier
	s_and_saveexec_b64 s[6:7], vcc
	s_cbranch_execz .LBB55_546
; %bb.537:
	s_andn2_b64 vcc, exec, s[10:11]
	s_cbranch_vccnz .LBB55_539
; %bb.538:
	buffer_load_dword v113, v117, s[0:3], 0 offen
	buffer_load_dword v114, v117, s[0:3], 0 offen offset:4
	ds_read_b64 v[118:119], v116
	s_waitcnt vmcnt(0) lgkmcnt(0)
	v_mul_f64 v[113:114], v[113:114], v[118:119]
	s_cbranch_execz .LBB55_540
	s_branch .LBB55_541
.LBB55_539:
                                        ; implicit-def: $vgpr113_vgpr114
.LBB55_540:
	ds_read_b64 v[113:114], v116
.LBB55_541:
	s_and_saveexec_b64 s[8:9], s[4:5]
	s_cbranch_execz .LBB55_545
; %bb.542:
	v_add_u32_e32 v118, -1, v0
	s_movk_i32 s12, 0x1c8
	s_mov_b64 s[4:5], 0
.LBB55_543:                             ; =>This Inner Loop Header: Depth=1
	v_mov_b32_e32 v121, s14
	buffer_load_dword v119, v121, s[0:3], 0 offen
	buffer_load_dword v120, v121, s[0:3], 0 offen offset:4
	v_mov_b32_e32 v121, s12
	ds_read_b64 v[121:122], v121
	v_add_u32_e32 v118, -1, v118
	s_add_i32 s12, s12, 8
	s_add_i32 s14, s14, 8
	v_cmp_eq_u32_e32 vcc, 0, v118
	s_or_b64 s[4:5], vcc, s[4:5]
	s_waitcnt vmcnt(0) lgkmcnt(0)
	v_fma_f64 v[113:114], v[119:120], v[121:122], v[113:114]
	s_andn2_b64 exec, exec, s[4:5]
	s_cbranch_execnz .LBB55_543
; %bb.544:
	s_or_b64 exec, exec, s[4:5]
.LBB55_545:
	s_or_b64 exec, exec, s[8:9]
	v_mov_b32_e32 v118, 0
	ds_read_b64 v[118:119], v118
	s_waitcnt lgkmcnt(0)
	v_mul_f64 v[113:114], v[113:114], v[118:119]
	buffer_store_dword v114, off, s[0:3], 0 offset:4
	buffer_store_dword v113, off, s[0:3], 0
.LBB55_546:
	s_or_b64 exec, exec, s[6:7]
	s_mov_b64 s[4:5], 0
.LBB55_547:
	s_and_b64 vcc, exec, s[4:5]
	s_cbranch_vccz .LBB55_1089
; %bb.548:
	buffer_load_dword v113, off, s[0:3], 0 offset:8
	buffer_load_dword v114, off, s[0:3], 0 offset:12
	v_cmp_eq_u32_e64 s[6:7], 0, v0
	s_waitcnt vmcnt(0)
	ds_write_b64 v116, v[113:114]
	s_waitcnt lgkmcnt(0)
	; wave barrier
	s_and_saveexec_b64 s[4:5], s[6:7]
	s_cbranch_execz .LBB55_554
; %bb.549:
	s_and_b64 vcc, exec, s[10:11]
	s_cbranch_vccz .LBB55_551
; %bb.550:
	buffer_load_dword v113, v117, s[0:3], 0 offen
	buffer_load_dword v114, v117, s[0:3], 0 offen offset:4
	ds_read_b64 v[118:119], v116
	s_waitcnt vmcnt(0) lgkmcnt(0)
	v_mul_f64 v[113:114], v[113:114], v[118:119]
	s_cbranch_execz .LBB55_552
	s_branch .LBB55_553
.LBB55_551:
                                        ; implicit-def: $vgpr113_vgpr114
.LBB55_552:
	ds_read_b64 v[113:114], v116
.LBB55_553:
	v_mov_b32_e32 v118, 0
	ds_read_b64 v[118:119], v118 offset:8
	s_waitcnt lgkmcnt(0)
	v_mul_f64 v[113:114], v[113:114], v[118:119]
	buffer_store_dword v114, off, s[0:3], 0 offset:12
	buffer_store_dword v113, off, s[0:3], 0 offset:8
.LBB55_554:
	s_or_b64 exec, exec, s[4:5]
	buffer_load_dword v113, off, s[0:3], 0 offset:16
	buffer_load_dword v114, off, s[0:3], 0 offset:20
	v_cndmask_b32_e64 v118, 0, 1, s[10:11]
	v_cmp_gt_u32_e32 vcc, 2, v0
	v_cmp_ne_u32_e64 s[4:5], 1, v118
	s_waitcnt vmcnt(0)
	ds_write_b64 v116, v[113:114]
	s_waitcnt lgkmcnt(0)
	; wave barrier
	s_and_saveexec_b64 s[8:9], vcc
	s_cbranch_execz .LBB55_560
; %bb.555:
	s_and_b64 vcc, exec, s[4:5]
	s_cbranch_vccnz .LBB55_557
; %bb.556:
	buffer_load_dword v113, v117, s[0:3], 0 offen
	buffer_load_dword v114, v117, s[0:3], 0 offen offset:4
	ds_read_b64 v[118:119], v116
	s_waitcnt vmcnt(0) lgkmcnt(0)
	v_mul_f64 v[113:114], v[113:114], v[118:119]
	s_cbranch_execz .LBB55_558
	s_branch .LBB55_559
.LBB55_557:
                                        ; implicit-def: $vgpr113_vgpr114
.LBB55_558:
	ds_read_b64 v[113:114], v116
.LBB55_559:
	buffer_load_dword v122, off, s[0:3], 0 offset:8
	buffer_load_dword v123, off, s[0:3], 0 offset:12
	v_mov_b32_e32 v118, 0
	ds_read2_b64 v[118:121], v118 offset0:2 offset1:57
	s_waitcnt vmcnt(0) lgkmcnt(0)
	v_fma_f64 v[120:121], v[122:123], v[120:121], v[113:114]
	v_cndmask_b32_e64 v114, v114, v121, s[6:7]
	v_cndmask_b32_e64 v113, v113, v120, s[6:7]
	v_mul_f64 v[113:114], v[113:114], v[118:119]
	buffer_store_dword v114, off, s[0:3], 0 offset:20
	buffer_store_dword v113, off, s[0:3], 0 offset:16
.LBB55_560:
	s_or_b64 exec, exec, s[8:9]
	buffer_load_dword v113, off, s[0:3], 0 offset:24
	buffer_load_dword v114, off, s[0:3], 0 offset:28
	v_cmp_gt_u32_e32 vcc, 3, v0
	s_waitcnt vmcnt(0)
	ds_write_b64 v116, v[113:114]
	s_waitcnt lgkmcnt(0)
	; wave barrier
	s_and_saveexec_b64 s[8:9], vcc
	s_cbranch_execz .LBB55_568
; %bb.561:
	s_and_b64 vcc, exec, s[4:5]
	s_cbranch_vccnz .LBB55_563
; %bb.562:
	buffer_load_dword v113, v117, s[0:3], 0 offen
	buffer_load_dword v114, v117, s[0:3], 0 offen offset:4
	ds_read_b64 v[118:119], v116
	s_waitcnt vmcnt(0) lgkmcnt(0)
	v_mul_f64 v[113:114], v[113:114], v[118:119]
	s_cbranch_execz .LBB55_564
	s_branch .LBB55_565
.LBB55_563:
                                        ; implicit-def: $vgpr113_vgpr114
.LBB55_564:
	ds_read_b64 v[113:114], v116
.LBB55_565:
	v_cmp_ne_u32_e32 vcc, 2, v0
	s_and_saveexec_b64 s[10:11], vcc
	s_cbranch_execz .LBB55_567
; %bb.566:
	buffer_load_dword v118, v117, s[0:3], 0 offen offset:8
	buffer_load_dword v119, v117, s[0:3], 0 offen offset:12
	buffer_load_dword v120, off, s[0:3], 0 offset:16
	buffer_load_dword v121, off, s[0:3], 0 offset:20
	ds_read_b64 v[122:123], v116 offset:8
	v_mov_b32_e32 v124, 0
	ds_read_b64 v[124:125], v124 offset:464
	s_waitcnt vmcnt(2) lgkmcnt(1)
	v_fma_f64 v[113:114], v[118:119], v[122:123], v[113:114]
	s_waitcnt vmcnt(0) lgkmcnt(0)
	v_fma_f64 v[118:119], v[120:121], v[124:125], v[113:114]
	v_cndmask_b32_e64 v114, v114, v119, s[6:7]
	v_cndmask_b32_e64 v113, v113, v118, s[6:7]
.LBB55_567:
	s_or_b64 exec, exec, s[10:11]
	v_mov_b32_e32 v118, 0
	ds_read_b64 v[118:119], v118 offset:24
	s_waitcnt lgkmcnt(0)
	v_mul_f64 v[113:114], v[113:114], v[118:119]
	buffer_store_dword v114, off, s[0:3], 0 offset:28
	buffer_store_dword v113, off, s[0:3], 0 offset:24
.LBB55_568:
	s_or_b64 exec, exec, s[8:9]
	buffer_load_dword v113, off, s[0:3], 0 offset:32
	buffer_load_dword v114, off, s[0:3], 0 offset:36
	v_cmp_gt_u32_e32 vcc, 4, v0
	s_waitcnt vmcnt(0)
	ds_write_b64 v116, v[113:114]
	s_waitcnt lgkmcnt(0)
	; wave barrier
	s_and_saveexec_b64 s[6:7], vcc
	s_cbranch_execz .LBB55_578
; %bb.569:
	s_and_b64 vcc, exec, s[4:5]
	s_cbranch_vccnz .LBB55_571
; %bb.570:
	buffer_load_dword v113, v117, s[0:3], 0 offen
	buffer_load_dword v114, v117, s[0:3], 0 offen offset:4
	ds_read_b64 v[118:119], v116
	s_waitcnt vmcnt(0) lgkmcnt(0)
	v_mul_f64 v[113:114], v[113:114], v[118:119]
	s_cbranch_execz .LBB55_572
	s_branch .LBB55_573
.LBB55_571:
                                        ; implicit-def: $vgpr113_vgpr114
.LBB55_572:
	ds_read_b64 v[113:114], v116
.LBB55_573:
	v_cmp_ne_u32_e32 vcc, 3, v0
	s_and_saveexec_b64 s[8:9], vcc
	s_cbranch_execz .LBB55_577
; %bb.574:
	s_mov_b32 s10, 0
	v_add_u32_e32 v118, 0x1c8, v115
	v_add3_u32 v119, v115, s10, 8
	s_mov_b64 s[10:11], 0
	v_mov_b32_e32 v120, v0
.LBB55_575:                             ; =>This Inner Loop Header: Depth=1
	buffer_load_dword v121, v119, s[0:3], 0 offen
	buffer_load_dword v122, v119, s[0:3], 0 offen offset:4
	ds_read_b64 v[123:124], v118
	v_add_u32_e32 v120, 1, v120
	v_cmp_lt_u32_e32 vcc, 2, v120
	v_add_u32_e32 v118, 8, v118
	s_or_b64 s[10:11], vcc, s[10:11]
	v_add_u32_e32 v119, 8, v119
	s_waitcnt vmcnt(0) lgkmcnt(0)
	v_fma_f64 v[113:114], v[121:122], v[123:124], v[113:114]
	s_andn2_b64 exec, exec, s[10:11]
	s_cbranch_execnz .LBB55_575
; %bb.576:
	s_or_b64 exec, exec, s[10:11]
.LBB55_577:
	s_or_b64 exec, exec, s[8:9]
	v_mov_b32_e32 v118, 0
	ds_read_b64 v[118:119], v118 offset:32
	s_waitcnt lgkmcnt(0)
	v_mul_f64 v[113:114], v[113:114], v[118:119]
	buffer_store_dword v114, off, s[0:3], 0 offset:36
	buffer_store_dword v113, off, s[0:3], 0 offset:32
.LBB55_578:
	s_or_b64 exec, exec, s[6:7]
	buffer_load_dword v113, off, s[0:3], 0 offset:40
	buffer_load_dword v114, off, s[0:3], 0 offset:44
	v_cmp_gt_u32_e32 vcc, 5, v0
	s_waitcnt vmcnt(0)
	ds_write_b64 v116, v[113:114]
	s_waitcnt lgkmcnt(0)
	; wave barrier
	s_and_saveexec_b64 s[6:7], vcc
	s_cbranch_execz .LBB55_588
; %bb.579:
	s_and_b64 vcc, exec, s[4:5]
	s_cbranch_vccnz .LBB55_581
; %bb.580:
	buffer_load_dword v113, v117, s[0:3], 0 offen
	buffer_load_dword v114, v117, s[0:3], 0 offen offset:4
	ds_read_b64 v[118:119], v116
	s_waitcnt vmcnt(0) lgkmcnt(0)
	v_mul_f64 v[113:114], v[113:114], v[118:119]
	s_cbranch_execz .LBB55_582
	s_branch .LBB55_583
.LBB55_581:
                                        ; implicit-def: $vgpr113_vgpr114
.LBB55_582:
	ds_read_b64 v[113:114], v116
.LBB55_583:
	v_cmp_ne_u32_e32 vcc, 4, v0
	s_and_saveexec_b64 s[8:9], vcc
	s_cbranch_execz .LBB55_587
; %bb.584:
	s_mov_b32 s10, 0
	v_add_u32_e32 v118, 0x1c8, v115
	v_add3_u32 v119, v115, s10, 8
	s_mov_b64 s[10:11], 0
	v_mov_b32_e32 v120, v0
.LBB55_585:                             ; =>This Inner Loop Header: Depth=1
	buffer_load_dword v121, v119, s[0:3], 0 offen
	buffer_load_dword v122, v119, s[0:3], 0 offen offset:4
	ds_read_b64 v[123:124], v118
	v_add_u32_e32 v120, 1, v120
	v_cmp_lt_u32_e32 vcc, 3, v120
	v_add_u32_e32 v118, 8, v118
	s_or_b64 s[10:11], vcc, s[10:11]
	v_add_u32_e32 v119, 8, v119
	s_waitcnt vmcnt(0) lgkmcnt(0)
	v_fma_f64 v[113:114], v[121:122], v[123:124], v[113:114]
	s_andn2_b64 exec, exec, s[10:11]
	s_cbranch_execnz .LBB55_585
; %bb.586:
	s_or_b64 exec, exec, s[10:11]
.LBB55_587:
	s_or_b64 exec, exec, s[8:9]
	v_mov_b32_e32 v118, 0
	ds_read_b64 v[118:119], v118 offset:40
	s_waitcnt lgkmcnt(0)
	v_mul_f64 v[113:114], v[113:114], v[118:119]
	buffer_store_dword v114, off, s[0:3], 0 offset:44
	buffer_store_dword v113, off, s[0:3], 0 offset:40
.LBB55_588:
	;; [unrolled: 59-line block ×43, first 2 shown]
	s_or_b64 exec, exec, s[6:7]
	buffer_load_dword v113, off, s[0:3], 0 offset:376
	buffer_load_dword v114, off, s[0:3], 0 offset:380
	v_cmp_gt_u32_e32 vcc, 47, v0
	s_waitcnt vmcnt(0)
	ds_write_b64 v116, v[113:114]
	s_waitcnt lgkmcnt(0)
	; wave barrier
	s_and_saveexec_b64 s[6:7], vcc
	s_cbranch_execz .LBB55_1008
; %bb.999:
	s_and_b64 vcc, exec, s[4:5]
	s_cbranch_vccnz .LBB55_1001
; %bb.1000:
	buffer_load_dword v113, v117, s[0:3], 0 offen
	buffer_load_dword v114, v117, s[0:3], 0 offen offset:4
	ds_read_b64 v[118:119], v116
	s_waitcnt vmcnt(0) lgkmcnt(0)
	v_mul_f64 v[113:114], v[113:114], v[118:119]
	s_cbranch_execz .LBB55_1002
	s_branch .LBB55_1003
.LBB55_1001:
                                        ; implicit-def: $vgpr113_vgpr114
.LBB55_1002:
	ds_read_b64 v[113:114], v116
.LBB55_1003:
	v_cmp_ne_u32_e32 vcc, 46, v0
	s_and_saveexec_b64 s[8:9], vcc
	s_cbranch_execz .LBB55_1007
; %bb.1004:
	s_mov_b32 s10, 0
	v_add_u32_e32 v118, 0x1c8, v115
	v_add3_u32 v119, v115, s10, 8
	s_mov_b64 s[10:11], 0
	v_mov_b32_e32 v120, v0
.LBB55_1005:                            ; =>This Inner Loop Header: Depth=1
	buffer_load_dword v121, v119, s[0:3], 0 offen
	buffer_load_dword v122, v119, s[0:3], 0 offen offset:4
	ds_read_b64 v[123:124], v118
	v_add_u32_e32 v120, 1, v120
	v_cmp_lt_u32_e32 vcc, 45, v120
	v_add_u32_e32 v118, 8, v118
	s_or_b64 s[10:11], vcc, s[10:11]
	v_add_u32_e32 v119, 8, v119
	s_waitcnt vmcnt(0) lgkmcnt(0)
	v_fma_f64 v[113:114], v[121:122], v[123:124], v[113:114]
	s_andn2_b64 exec, exec, s[10:11]
	s_cbranch_execnz .LBB55_1005
; %bb.1006:
	s_or_b64 exec, exec, s[10:11]
.LBB55_1007:
	s_or_b64 exec, exec, s[8:9]
	v_mov_b32_e32 v118, 0
	ds_read_b64 v[118:119], v118 offset:376
	s_waitcnt lgkmcnt(0)
	v_mul_f64 v[113:114], v[113:114], v[118:119]
	buffer_store_dword v114, off, s[0:3], 0 offset:380
	buffer_store_dword v113, off, s[0:3], 0 offset:376
.LBB55_1008:
	s_or_b64 exec, exec, s[6:7]
	buffer_load_dword v113, off, s[0:3], 0 offset:384
	buffer_load_dword v114, off, s[0:3], 0 offset:388
	v_cmp_gt_u32_e32 vcc, 48, v0
	s_waitcnt vmcnt(0)
	ds_write_b64 v116, v[113:114]
	s_waitcnt lgkmcnt(0)
	; wave barrier
	s_and_saveexec_b64 s[6:7], vcc
	s_cbranch_execz .LBB55_1018
; %bb.1009:
	s_and_b64 vcc, exec, s[4:5]
	s_cbranch_vccnz .LBB55_1011
; %bb.1010:
	buffer_load_dword v113, v117, s[0:3], 0 offen
	buffer_load_dword v114, v117, s[0:3], 0 offen offset:4
	ds_read_b64 v[118:119], v116
	s_waitcnt vmcnt(0) lgkmcnt(0)
	v_mul_f64 v[113:114], v[113:114], v[118:119]
	s_cbranch_execz .LBB55_1012
	s_branch .LBB55_1013
.LBB55_1011:
                                        ; implicit-def: $vgpr113_vgpr114
.LBB55_1012:
	ds_read_b64 v[113:114], v116
.LBB55_1013:
	v_cmp_ne_u32_e32 vcc, 47, v0
	s_and_saveexec_b64 s[8:9], vcc
	s_cbranch_execz .LBB55_1017
; %bb.1014:
	s_mov_b32 s10, 0
	v_add_u32_e32 v118, 0x1c8, v115
	v_add3_u32 v119, v115, s10, 8
	s_mov_b64 s[10:11], 0
	v_mov_b32_e32 v120, v0
.LBB55_1015:                            ; =>This Inner Loop Header: Depth=1
	buffer_load_dword v121, v119, s[0:3], 0 offen
	buffer_load_dword v122, v119, s[0:3], 0 offen offset:4
	ds_read_b64 v[123:124], v118
	v_add_u32_e32 v120, 1, v120
	v_cmp_lt_u32_e32 vcc, 46, v120
	v_add_u32_e32 v118, 8, v118
	s_or_b64 s[10:11], vcc, s[10:11]
	v_add_u32_e32 v119, 8, v119
	s_waitcnt vmcnt(0) lgkmcnt(0)
	v_fma_f64 v[113:114], v[121:122], v[123:124], v[113:114]
	s_andn2_b64 exec, exec, s[10:11]
	s_cbranch_execnz .LBB55_1015
; %bb.1016:
	s_or_b64 exec, exec, s[10:11]
.LBB55_1017:
	s_or_b64 exec, exec, s[8:9]
	v_mov_b32_e32 v118, 0
	ds_read_b64 v[118:119], v118 offset:384
	s_waitcnt lgkmcnt(0)
	v_mul_f64 v[113:114], v[113:114], v[118:119]
	buffer_store_dword v114, off, s[0:3], 0 offset:388
	buffer_store_dword v113, off, s[0:3], 0 offset:384
.LBB55_1018:
	;; [unrolled: 59-line block ×7, first 2 shown]
	s_or_b64 exec, exec, s[6:7]
	buffer_load_dword v113, off, s[0:3], 0 offset:432
	buffer_load_dword v114, off, s[0:3], 0 offset:436
	v_cmp_gt_u32_e64 s[6:7], 54, v0
	s_waitcnt vmcnt(0)
	ds_write_b64 v116, v[113:114]
	s_waitcnt lgkmcnt(0)
	; wave barrier
	s_and_saveexec_b64 s[8:9], s[6:7]
	s_cbranch_execz .LBB55_1078
; %bb.1069:
	s_and_b64 vcc, exec, s[4:5]
	s_cbranch_vccnz .LBB55_1071
; %bb.1070:
	buffer_load_dword v113, v117, s[0:3], 0 offen
	buffer_load_dword v114, v117, s[0:3], 0 offen offset:4
	ds_read_b64 v[118:119], v116
	s_waitcnt vmcnt(0) lgkmcnt(0)
	v_mul_f64 v[113:114], v[113:114], v[118:119]
	s_cbranch_execz .LBB55_1072
	s_branch .LBB55_1073
.LBB55_1071:
                                        ; implicit-def: $vgpr113_vgpr114
.LBB55_1072:
	ds_read_b64 v[113:114], v116
.LBB55_1073:
	v_cmp_ne_u32_e32 vcc, 53, v0
	s_and_saveexec_b64 s[10:11], vcc
	s_cbranch_execz .LBB55_1077
; %bb.1074:
	s_mov_b32 s12, 0
	v_add_u32_e32 v118, 0x1c8, v115
	v_add3_u32 v119, v115, s12, 8
	s_mov_b64 s[12:13], 0
	v_mov_b32_e32 v120, v0
.LBB55_1075:                            ; =>This Inner Loop Header: Depth=1
	buffer_load_dword v121, v119, s[0:3], 0 offen
	buffer_load_dword v122, v119, s[0:3], 0 offen offset:4
	ds_read_b64 v[123:124], v118
	v_add_u32_e32 v120, 1, v120
	v_cmp_lt_u32_e32 vcc, 52, v120
	v_add_u32_e32 v118, 8, v118
	s_or_b64 s[12:13], vcc, s[12:13]
	v_add_u32_e32 v119, 8, v119
	s_waitcnt vmcnt(0) lgkmcnt(0)
	v_fma_f64 v[113:114], v[121:122], v[123:124], v[113:114]
	s_andn2_b64 exec, exec, s[12:13]
	s_cbranch_execnz .LBB55_1075
; %bb.1076:
	s_or_b64 exec, exec, s[12:13]
.LBB55_1077:
	s_or_b64 exec, exec, s[10:11]
	v_mov_b32_e32 v118, 0
	ds_read_b64 v[118:119], v118 offset:432
	s_waitcnt lgkmcnt(0)
	v_mul_f64 v[113:114], v[113:114], v[118:119]
	buffer_store_dword v114, off, s[0:3], 0 offset:436
	buffer_store_dword v113, off, s[0:3], 0 offset:432
.LBB55_1078:
	s_or_b64 exec, exec, s[8:9]
	buffer_load_dword v113, off, s[0:3], 0 offset:440
	buffer_load_dword v114, off, s[0:3], 0 offset:444
	v_cmp_ne_u32_e32 vcc, 55, v0
	s_waitcnt vmcnt(0)
	ds_write_b64 v116, v[113:114]
	s_waitcnt lgkmcnt(0)
	; wave barrier
	s_and_saveexec_b64 s[8:9], vcc
	s_cbranch_execz .LBB55_1088
; %bb.1079:
	s_and_b64 vcc, exec, s[4:5]
	s_cbranch_vccnz .LBB55_1081
; %bb.1080:
	buffer_load_dword v113, v117, s[0:3], 0 offen
	buffer_load_dword v114, v117, s[0:3], 0 offen offset:4
	ds_read_b64 v[117:118], v116
	s_waitcnt vmcnt(0) lgkmcnt(0)
	v_mul_f64 v[113:114], v[113:114], v[117:118]
	s_cbranch_execz .LBB55_1082
	s_branch .LBB55_1083
.LBB55_1081:
                                        ; implicit-def: $vgpr113_vgpr114
.LBB55_1082:
	ds_read_b64 v[113:114], v116
.LBB55_1083:
	s_and_saveexec_b64 s[4:5], s[6:7]
	s_cbranch_execz .LBB55_1087
; %bb.1084:
	s_mov_b32 s6, 0
	v_add_u32_e32 v116, 0x1c8, v115
	v_add3_u32 v115, v115, s6, 8
	s_mov_b64 s[6:7], 0
.LBB55_1085:                            ; =>This Inner Loop Header: Depth=1
	buffer_load_dword v117, v115, s[0:3], 0 offen
	buffer_load_dword v118, v115, s[0:3], 0 offen offset:4
	ds_read_b64 v[119:120], v116
	v_add_u32_e32 v0, 1, v0
	v_cmp_lt_u32_e32 vcc, 53, v0
	v_add_u32_e32 v116, 8, v116
	s_or_b64 s[6:7], vcc, s[6:7]
	v_add_u32_e32 v115, 8, v115
	s_waitcnt vmcnt(0) lgkmcnt(0)
	v_fma_f64 v[113:114], v[117:118], v[119:120], v[113:114]
	s_andn2_b64 exec, exec, s[6:7]
	s_cbranch_execnz .LBB55_1085
; %bb.1086:
	s_or_b64 exec, exec, s[6:7]
.LBB55_1087:
	s_or_b64 exec, exec, s[4:5]
	v_mov_b32_e32 v0, 0
	ds_read_b64 v[115:116], v0 offset:440
	s_waitcnt lgkmcnt(0)
	v_mul_f64 v[113:114], v[113:114], v[115:116]
	buffer_store_dword v114, off, s[0:3], 0 offset:444
	buffer_store_dword v113, off, s[0:3], 0 offset:440
.LBB55_1088:
	s_or_b64 exec, exec, s[8:9]
.LBB55_1089:
	buffer_load_dword v113, off, s[0:3], 0
	buffer_load_dword v114, off, s[0:3], 0 offset:4
	buffer_load_dword v115, off, s[0:3], 0 offset:8
	;; [unrolled: 1-line block ×9, first 2 shown]
	s_waitcnt vmcnt(8)
	global_store_dwordx2 v[111:112], v[113:114], off
	buffer_load_dword v111, off, s[0:3], 0 offset:40
	s_nop 0
	buffer_load_dword v112, off, s[0:3], 0 offset:44
	buffer_load_dword v113, off, s[0:3], 0 offset:48
	;; [unrolled: 1-line block ×5, first 2 shown]
	s_waitcnt vmcnt(13)
	global_store_dwordx2 v[109:110], v[115:116], off
	s_waitcnt vmcnt(12)
	global_store_dwordx2 v[13:14], v[117:118], off
	buffer_load_dword v14, off, s[0:3], 0 offset:68
	s_nop 0
	buffer_load_dword v109, off, s[0:3], 0 offset:72
	buffer_load_dword v110, off, s[0:3], 0 offset:76
	;; [unrolled: 1-line block ×7, first 2 shown]
	s_waitcnt vmcnt(19)
	global_store_dwordx2 v[1:2], v[119:120], off
	s_waitcnt vmcnt(18)
	global_store_dwordx2 v[7:8], v[121:122], off
	buffer_load_dword v0, off, s[0:3], 0 offset:96
	buffer_load_dword v1, off, s[0:3], 0 offset:100
	s_nop 0
	buffer_load_dword v7, off, s[0:3], 0 offset:104
	buffer_load_dword v8, off, s[0:3], 0 offset:108
	buffer_load_dword v119, off, s[0:3], 0 offset:112
	buffer_load_dword v120, off, s[0:3], 0 offset:116
	buffer_load_dword v121, off, s[0:3], 0 offset:120
	buffer_load_dword v122, off, s[0:3], 0 offset:124
	s_waitcnt vmcnt(24)
	global_store_dwordx2 v[3:4], v[111:112], off
	s_waitcnt vmcnt(23)
	global_store_dwordx2 v[11:12], v[113:114], off
	buffer_load_dword v2, off, s[0:3], 0 offset:128
	buffer_load_dword v3, off, s[0:3], 0 offset:132
	s_nop 0
	buffer_load_dword v11, off, s[0:3], 0 offset:136
	buffer_load_dword v12, off, s[0:3], 0 offset:140
	buffer_load_dword v111, off, s[0:3], 0 offset:144
	buffer_load_dword v112, off, s[0:3], 0 offset:148
	buffer_load_dword v113, off, s[0:3], 0 offset:152
	buffer_load_dword v114, off, s[0:3], 0 offset:156
	;; [unrolled: 13-line block ×3, first 2 shown]
	s_nop 0
	global_store_dwordx2 v[9:10], v[109:110], off
	buffer_load_dword v9, off, s[0:3], 0 offset:192
	s_nop 0
	buffer_load_dword v10, off, s[0:3], 0 offset:196
	s_nop 0
	global_store_dwordx2 v[19:20], v[115:116], off
	buffer_load_dword v19, off, s[0:3], 0 offset:200
	s_nop 0
	buffer_load_dword v20, off, s[0:3], 0 offset:204
	buffer_load_dword v109, off, s[0:3], 0 offset:208
	;; [unrolled: 1-line block ×5, first 2 shown]
	s_nop 0
	global_store_dwordx2 v[17:18], v[117:118], off
	s_waitcnt vmcnt(37)
	global_store_dwordx2 v[21:22], v[0:1], off
	s_waitcnt vmcnt(36)
	;; [unrolled: 2-line block ×13, first 2 shown]
	global_store_dwordx2 v[63:64], v[9:10], off
	buffer_load_dword v0, off, s[0:3], 0 offset:224
	buffer_load_dword v1, off, s[0:3], 0 offset:228
	;; [unrolled: 1-line block ×56, first 2 shown]
	s_waitcnt vmcnt(62)
	global_store_dwordx2 v[29:30], v[19:20], off
	global_store_dwordx2 v[33:34], v[109:110], off
	global_store_dwordx2 v[37:38], v[115:116], off
	s_waitcnt vmcnt(57)
	global_store_dwordx2 v[41:42], v[0:1], off
	s_waitcnt vmcnt(56)
	global_store_dwordx2 v[45:46], v[2:3], off
	;; [unrolled: 2-line block ×28, first 2 shown]
.LBB55_1090:
	s_endpgm
	.section	.rodata,"a",@progbits
	.p2align	6, 0x0
	.amdhsa_kernel _ZN9rocsolver6v33100L18trti2_kernel_smallILi56EdPdEEv13rocblas_fill_17rocblas_diagonal_T1_iil
		.amdhsa_group_segment_fixed_size 896
		.amdhsa_private_segment_fixed_size 464
		.amdhsa_kernarg_size 32
		.amdhsa_user_sgpr_count 6
		.amdhsa_user_sgpr_private_segment_buffer 1
		.amdhsa_user_sgpr_dispatch_ptr 0
		.amdhsa_user_sgpr_queue_ptr 0
		.amdhsa_user_sgpr_kernarg_segment_ptr 1
		.amdhsa_user_sgpr_dispatch_id 0
		.amdhsa_user_sgpr_flat_scratch_init 0
		.amdhsa_user_sgpr_private_segment_size 0
		.amdhsa_uses_dynamic_stack 0
		.amdhsa_system_sgpr_private_segment_wavefront_offset 1
		.amdhsa_system_sgpr_workgroup_id_x 1
		.amdhsa_system_sgpr_workgroup_id_y 0
		.amdhsa_system_sgpr_workgroup_id_z 0
		.amdhsa_system_sgpr_workgroup_info 0
		.amdhsa_system_vgpr_workitem_id 0
		.amdhsa_next_free_vgpr 126
		.amdhsa_next_free_sgpr 69
		.amdhsa_reserve_vcc 1
		.amdhsa_reserve_flat_scratch 0
		.amdhsa_float_round_mode_32 0
		.amdhsa_float_round_mode_16_64 0
		.amdhsa_float_denorm_mode_32 3
		.amdhsa_float_denorm_mode_16_64 3
		.amdhsa_dx10_clamp 1
		.amdhsa_ieee_mode 1
		.amdhsa_fp16_overflow 0
		.amdhsa_exception_fp_ieee_invalid_op 0
		.amdhsa_exception_fp_denorm_src 0
		.amdhsa_exception_fp_ieee_div_zero 0
		.amdhsa_exception_fp_ieee_overflow 0
		.amdhsa_exception_fp_ieee_underflow 0
		.amdhsa_exception_fp_ieee_inexact 0
		.amdhsa_exception_int_div_zero 0
	.end_amdhsa_kernel
	.section	.text._ZN9rocsolver6v33100L18trti2_kernel_smallILi56EdPdEEv13rocblas_fill_17rocblas_diagonal_T1_iil,"axG",@progbits,_ZN9rocsolver6v33100L18trti2_kernel_smallILi56EdPdEEv13rocblas_fill_17rocblas_diagonal_T1_iil,comdat
.Lfunc_end55:
	.size	_ZN9rocsolver6v33100L18trti2_kernel_smallILi56EdPdEEv13rocblas_fill_17rocblas_diagonal_T1_iil, .Lfunc_end55-_ZN9rocsolver6v33100L18trti2_kernel_smallILi56EdPdEEv13rocblas_fill_17rocblas_diagonal_T1_iil
                                        ; -- End function
	.set _ZN9rocsolver6v33100L18trti2_kernel_smallILi56EdPdEEv13rocblas_fill_17rocblas_diagonal_T1_iil.num_vgpr, 126
	.set _ZN9rocsolver6v33100L18trti2_kernel_smallILi56EdPdEEv13rocblas_fill_17rocblas_diagonal_T1_iil.num_agpr, 0
	.set _ZN9rocsolver6v33100L18trti2_kernel_smallILi56EdPdEEv13rocblas_fill_17rocblas_diagonal_T1_iil.numbered_sgpr, 69
	.set _ZN9rocsolver6v33100L18trti2_kernel_smallILi56EdPdEEv13rocblas_fill_17rocblas_diagonal_T1_iil.num_named_barrier, 0
	.set _ZN9rocsolver6v33100L18trti2_kernel_smallILi56EdPdEEv13rocblas_fill_17rocblas_diagonal_T1_iil.private_seg_size, 464
	.set _ZN9rocsolver6v33100L18trti2_kernel_smallILi56EdPdEEv13rocblas_fill_17rocblas_diagonal_T1_iil.uses_vcc, 1
	.set _ZN9rocsolver6v33100L18trti2_kernel_smallILi56EdPdEEv13rocblas_fill_17rocblas_diagonal_T1_iil.uses_flat_scratch, 0
	.set _ZN9rocsolver6v33100L18trti2_kernel_smallILi56EdPdEEv13rocblas_fill_17rocblas_diagonal_T1_iil.has_dyn_sized_stack, 0
	.set _ZN9rocsolver6v33100L18trti2_kernel_smallILi56EdPdEEv13rocblas_fill_17rocblas_diagonal_T1_iil.has_recursion, 0
	.set _ZN9rocsolver6v33100L18trti2_kernel_smallILi56EdPdEEv13rocblas_fill_17rocblas_diagonal_T1_iil.has_indirect_call, 0
	.section	.AMDGPU.csdata,"",@progbits
; Kernel info:
; codeLenInByte = 33184
; TotalNumSgprs: 73
; NumVgprs: 126
; ScratchSize: 464
; MemoryBound: 0
; FloatMode: 240
; IeeeMode: 1
; LDSByteSize: 896 bytes/workgroup (compile time only)
; SGPRBlocks: 9
; VGPRBlocks: 31
; NumSGPRsForWavesPerEU: 73
; NumVGPRsForWavesPerEU: 126
; Occupancy: 2
; WaveLimiterHint : 0
; COMPUTE_PGM_RSRC2:SCRATCH_EN: 1
; COMPUTE_PGM_RSRC2:USER_SGPR: 6
; COMPUTE_PGM_RSRC2:TRAP_HANDLER: 0
; COMPUTE_PGM_RSRC2:TGID_X_EN: 1
; COMPUTE_PGM_RSRC2:TGID_Y_EN: 0
; COMPUTE_PGM_RSRC2:TGID_Z_EN: 0
; COMPUTE_PGM_RSRC2:TIDIG_COMP_CNT: 0
	.section	.text._ZN9rocsolver6v33100L18trti2_kernel_smallILi57EdPdEEv13rocblas_fill_17rocblas_diagonal_T1_iil,"axG",@progbits,_ZN9rocsolver6v33100L18trti2_kernel_smallILi57EdPdEEv13rocblas_fill_17rocblas_diagonal_T1_iil,comdat
	.globl	_ZN9rocsolver6v33100L18trti2_kernel_smallILi57EdPdEEv13rocblas_fill_17rocblas_diagonal_T1_iil ; -- Begin function _ZN9rocsolver6v33100L18trti2_kernel_smallILi57EdPdEEv13rocblas_fill_17rocblas_diagonal_T1_iil
	.p2align	8
	.type	_ZN9rocsolver6v33100L18trti2_kernel_smallILi57EdPdEEv13rocblas_fill_17rocblas_diagonal_T1_iil,@function
_ZN9rocsolver6v33100L18trti2_kernel_smallILi57EdPdEEv13rocblas_fill_17rocblas_diagonal_T1_iil: ; @_ZN9rocsolver6v33100L18trti2_kernel_smallILi57EdPdEEv13rocblas_fill_17rocblas_diagonal_T1_iil
; %bb.0:
	s_add_u32 s0, s0, s7
	s_addc_u32 s1, s1, 0
	v_cmp_gt_u32_e32 vcc, 57, v0
	s_and_saveexec_b64 s[8:9], vcc
	s_cbranch_execz .LBB56_1110
; %bb.1:
	s_load_dwordx8 s[8:15], s[4:5], 0x0
	s_ashr_i32 s7, s6, 31
	v_lshlrev_b32_e32 v117, 3, v0
	s_waitcnt lgkmcnt(0)
	s_ashr_i32 s5, s12, 31
	s_mov_b32 s4, s12
	s_mul_hi_u32 s12, s14, s6
	s_mul_i32 s7, s14, s7
	s_add_i32 s7, s12, s7
	s_mul_i32 s12, s15, s6
	s_add_i32 s7, s7, s12
	s_mul_i32 s6, s14, s6
	s_lshl_b64 s[6:7], s[6:7], 3
	s_add_u32 s6, s10, s6
	s_addc_u32 s7, s11, s7
	s_lshl_b64 s[4:5], s[4:5], 3
	s_add_u32 s4, s6, s4
	s_addc_u32 s5, s7, s5
	s_add_i32 s6, s13, s13
	v_add_u32_e32 v3, s6, v0
	v_ashrrev_i32_e32 v4, 31, v3
	v_lshlrev_b64 v[1:2], 3, v[3:4]
	v_add_u32_e32 v5, s13, v3
	v_mov_b32_e32 v4, s5
	v_add_co_u32_e32 v1, vcc, s4, v1
	v_ashrrev_i32_e32 v6, 31, v5
	v_addc_co_u32_e32 v2, vcc, v4, v2, vcc
	v_lshlrev_b64 v[3:4], 3, v[5:6]
	v_add_u32_e32 v7, s13, v5
	v_mov_b32_e32 v6, s5
	v_add_co_u32_e32 v3, vcc, s4, v3
	v_ashrrev_i32_e32 v8, 31, v7
	v_addc_co_u32_e32 v4, vcc, v6, v4, vcc
	;; [unrolled: 6-line block ×8, first 2 shown]
	v_lshlrev_b64 v[17:18], 3, v[19:20]
	v_mov_b32_e32 v21, s5
	v_add_co_u32_e32 v17, vcc, s4, v17
	v_addc_co_u32_e32 v18, vcc, v21, v18, vcc
	v_add_u32_e32 v21, s13, v19
	v_ashrrev_i32_e32 v22, 31, v21
	v_lshlrev_b64 v[19:20], 3, v[21:22]
	v_mov_b32_e32 v23, s5
	v_add_co_u32_e32 v19, vcc, s4, v19
	v_addc_co_u32_e32 v20, vcc, v23, v20, vcc
	v_add_u32_e32 v23, s13, v21
	v_ashrrev_i32_e32 v24, 31, v23
	;; [unrolled: 6-line block ×39, first 2 shown]
	v_lshlrev_b64 v[95:96], 3, v[97:98]
	v_mov_b32_e32 v99, s5
	v_add_co_u32_e32 v95, vcc, s4, v95
	v_addc_co_u32_e32 v96, vcc, v99, v96, vcc
	v_add_u32_e32 v99, s13, v97
	v_mov_b32_e32 v97, s5
	v_add_co_u32_e32 v103, vcc, s4, v117
	s_ashr_i32 s7, s13, 31
	s_mov_b32 s6, s13
	v_addc_co_u32_e32 v104, vcc, 0, v97, vcc
	s_lshl_b64 s[6:7], s[6:7], 3
	v_mov_b32_e32 v97, s7
	v_add_co_u32_e32 v107, vcc, s6, v103
	v_addc_co_u32_e32 v108, vcc, v104, v97, vcc
	global_load_dwordx2 v[115:116], v117, s[4:5]
	global_load_dwordx2 v[118:119], v[107:108], off
	global_load_dwordx2 v[120:121], v[1:2], off
	;; [unrolled: 1-line block ×16, first 2 shown]
	v_ashrrev_i32_e32 v100, 31, v99
	v_lshlrev_b64 v[97:98], 3, v[99:100]
	v_mov_b32_e32 v101, s5
	v_add_co_u32_e32 v97, vcc, s4, v97
	v_addc_co_u32_e32 v98, vcc, v101, v98, vcc
	v_add_u32_e32 v101, s13, v99
	v_ashrrev_i32_e32 v102, 31, v101
	v_lshlrev_b64 v[99:100], 3, v[101:102]
	v_mov_b32_e32 v105, s5
	v_add_co_u32_e32 v99, vcc, s4, v99
	v_addc_co_u32_e32 v100, vcc, v105, v100, vcc
	v_add_u32_e32 v105, s13, v101
	;; [unrolled: 6-line block ×5, first 2 shown]
	v_ashrrev_i32_e32 v114, 31, v113
	v_lshlrev_b64 v[111:112], 3, v[113:114]
	v_add_u32_e32 v113, s13, v113
	v_ashrrev_i32_e32 v114, 31, v113
	v_mov_b32_e32 v148, s5
	v_add_co_u32_e32 v111, vcc, s4, v111
	v_lshlrev_b64 v[113:114], 3, v[113:114]
	v_addc_co_u32_e32 v112, vcc, v148, v112, vcc
	global_load_dwordx2 v[148:149], v[29:30], off
	global_load_dwordx2 v[152:153], v[33:34], off
	v_mov_b32_e32 v162, s5
	global_load_dwordx2 v[154:155], v[35:36], off
	global_load_dwordx2 v[156:157], v[37:38], off
	;; [unrolled: 1-line block ×4, first 2 shown]
	v_add_co_u32_e32 v113, vcc, s4, v113
	v_addc_co_u32_e32 v114, vcc, v162, v114, vcc
	global_load_dwordx2 v[196:197], v[113:114], off
	global_load_dwordx2 v[162:163], v[43:44], off
	;; [unrolled: 1-line block ×18, first 2 shown]
	s_cmpk_lg_i32 s9, 0x84
	s_waitcnt vmcnt(40)
	buffer_store_dword v116, off, s[0:3], 0 offset:4
	s_waitcnt vmcnt(26)
	buffer_store_dword v146, off, s[0:3], 0 offset:120
	buffer_store_dword v147, off, s[0:3], 0 offset:124
	global_load_dwordx2 v[146:147], v[111:112], off
	s_cselect_b64 s[10:11], -1, 0
	buffer_store_dword v115, off, s[0:3], 0
	global_load_dwordx2 v[115:116], v[47:48], off
	s_cmpk_eq_i32 s9, 0x84
	buffer_store_dword v119, off, s[0:3], 0 offset:12
	buffer_store_dword v118, off, s[0:3], 0 offset:8
	global_load_dwordx2 v[118:119], v[51:52], off
	s_nop 0
	buffer_store_dword v121, off, s[0:3], 0 offset:20
	buffer_store_dword v120, off, s[0:3], 0 offset:16
	global_load_dwordx2 v[120:121], v[55:56], off
	s_nop 0
	buffer_store_dword v123, off, s[0:3], 0 offset:28
	buffer_store_dword v122, off, s[0:3], 0 offset:24
	global_load_dwordx2 v[122:123], v[59:60], off
	s_nop 0
	buffer_store_dword v125, off, s[0:3], 0 offset:36
	buffer_store_dword v124, off, s[0:3], 0 offset:32
	global_load_dwordx2 v[124:125], v[63:64], off
	s_nop 0
	buffer_store_dword v127, off, s[0:3], 0 offset:44
	buffer_store_dword v126, off, s[0:3], 0 offset:40
	global_load_dwordx2 v[126:127], v[67:68], off
	s_nop 0
	buffer_store_dword v129, off, s[0:3], 0 offset:52
	buffer_store_dword v128, off, s[0:3], 0 offset:48
	global_load_dwordx2 v[128:129], v[71:72], off
	s_nop 0
	buffer_store_dword v131, off, s[0:3], 0 offset:60
	buffer_store_dword v130, off, s[0:3], 0 offset:56
	global_load_dwordx2 v[130:131], v[75:76], off
	s_nop 0
	buffer_store_dword v133, off, s[0:3], 0 offset:68
	buffer_store_dword v132, off, s[0:3], 0 offset:64
	global_load_dwordx2 v[132:133], v[79:80], off
	s_nop 0
	buffer_store_dword v134, off, s[0:3], 0 offset:72
	buffer_store_dword v135, off, s[0:3], 0 offset:76
	global_load_dwordx2 v[134:135], v[83:84], off
	s_nop 0
	buffer_store_dword v136, off, s[0:3], 0 offset:80
	buffer_store_dword v137, off, s[0:3], 0 offset:84
	global_load_dwordx2 v[136:137], v[87:88], off
	s_nop 0
	buffer_store_dword v138, off, s[0:3], 0 offset:88
	buffer_store_dword v139, off, s[0:3], 0 offset:92
	global_load_dwordx2 v[138:139], v[91:92], off
	s_nop 0
	buffer_store_dword v140, off, s[0:3], 0 offset:96
	buffer_store_dword v141, off, s[0:3], 0 offset:100
	global_load_dwordx2 v[140:141], v[95:96], off
	s_nop 0
	buffer_store_dword v142, off, s[0:3], 0 offset:104
	buffer_store_dword v143, off, s[0:3], 0 offset:108
	global_load_dwordx2 v[142:143], v[99:100], off
	s_nop 0
	buffer_store_dword v145, off, s[0:3], 0 offset:116
	buffer_store_dword v144, off, s[0:3], 0 offset:112
	global_load_dwordx2 v[144:145], v[105:106], off
	s_waitcnt vmcnt(62)
	buffer_store_dword v148, off, s[0:3], 0 offset:128
	buffer_store_dword v149, off, s[0:3], 0 offset:132
	buffer_store_dword v150, off, s[0:3], 0 offset:136
	buffer_store_dword v151, off, s[0:3], 0 offset:140
	buffer_store_dword v152, off, s[0:3], 0 offset:144
	buffer_store_dword v153, off, s[0:3], 0 offset:148
	buffer_store_dword v155, off, s[0:3], 0 offset:156
	buffer_store_dword v154, off, s[0:3], 0 offset:152
	buffer_store_dword v157, off, s[0:3], 0 offset:164
	buffer_store_dword v156, off, s[0:3], 0 offset:160
	buffer_store_dword v158, off, s[0:3], 0 offset:168
	buffer_store_dword v159, off, s[0:3], 0 offset:172
	buffer_store_dword v160, off, s[0:3], 0 offset:176
	buffer_store_dword v161, off, s[0:3], 0 offset:180
	buffer_store_dword v162, off, s[0:3], 0 offset:184
	buffer_store_dword v163, off, s[0:3], 0 offset:188
	buffer_store_dword v164, off, s[0:3], 0 offset:192
	buffer_store_dword v165, off, s[0:3], 0 offset:196
	s_waitcnt vmcnt(60)
	buffer_store_dword v116, off, s[0:3], 0 offset:204
	buffer_store_dword v115, off, s[0:3], 0 offset:200
	buffer_store_dword v167, off, s[0:3], 0 offset:212
	buffer_store_dword v166, off, s[0:3], 0 offset:208
	s_waitcnt vmcnt(61)
	buffer_store_dword v118, off, s[0:3], 0 offset:216
	buffer_store_dword v119, off, s[0:3], 0 offset:220
	buffer_store_dword v168, off, s[0:3], 0 offset:224
	buffer_store_dword v169, off, s[0:3], 0 offset:228
	;; [unrolled: 5-line block ×6, first 2 shown]
	buffer_store_dword v129, off, s[0:3], 0 offset:300
	buffer_store_dword v128, off, s[0:3], 0 offset:296
	buffer_store_dword v179, off, s[0:3], 0 offset:308
	buffer_store_dword v178, off, s[0:3], 0 offset:304
	s_waitcnt vmcnt(62)
	buffer_store_dword v130, off, s[0:3], 0 offset:312
	buffer_store_dword v131, off, s[0:3], 0 offset:316
	;; [unrolled: 1-line block ×8, first 2 shown]
	s_waitcnt vmcnt(62)
	buffer_store_dword v135, off, s[0:3], 0 offset:348
	buffer_store_dword v134, off, s[0:3], 0 offset:344
	buffer_store_dword v185, off, s[0:3], 0 offset:356
	buffer_store_dword v184, off, s[0:3], 0 offset:352
	buffer_store_dword v136, off, s[0:3], 0 offset:360
	buffer_store_dword v137, off, s[0:3], 0 offset:364
	buffer_store_dword v186, off, s[0:3], 0 offset:368
	buffer_store_dword v187, off, s[0:3], 0 offset:372
	buffer_store_dword v138, off, s[0:3], 0 offset:376
	buffer_store_dword v139, off, s[0:3], 0 offset:380
	buffer_store_dword v188, off, s[0:3], 0 offset:384
	buffer_store_dword v189, off, s[0:3], 0 offset:388
	s_waitcnt vmcnt(62)
	buffer_store_dword v141, off, s[0:3], 0 offset:396
	buffer_store_dword v140, off, s[0:3], 0 offset:392
	;; [unrolled: 1-line block ×15, first 2 shown]
	v_mov_b32_e32 v115, 0
	v_mov_b32_e32 v116, 0xbff00000
	buffer_store_dword v196, off, s[0:3], 0 offset:448
	s_cbranch_scc1 .LBB56_3
; %bb.2:
	v_mov_b32_e32 v115, 0
	v_lshl_add_u32 v126, v0, 3, v115
	buffer_load_dword v115, v126, s[0:3], 0 offen
	buffer_load_dword v116, v126, s[0:3], 0 offen offset:4
	s_waitcnt vmcnt(0)
	v_div_scale_f64 v[118:119], s[4:5], v[115:116], v[115:116], 1.0
	v_rcp_f64_e32 v[120:121], v[118:119]
	v_fma_f64 v[122:123], -v[118:119], v[120:121], 1.0
	v_fma_f64 v[120:121], v[120:121], v[122:123], v[120:121]
	v_div_scale_f64 v[122:123], vcc, 1.0, v[115:116], 1.0
	v_fma_f64 v[124:125], -v[118:119], v[120:121], 1.0
	v_fma_f64 v[120:121], v[120:121], v[124:125], v[120:121]
	v_mul_f64 v[124:125], v[122:123], v[120:121]
	v_fma_f64 v[118:119], -v[118:119], v[124:125], v[122:123]
	v_div_fmas_f64 v[118:119], v[118:119], v[120:121], v[124:125]
	v_div_fixup_f64 v[115:116], v[118:119], v[115:116], 1.0
	buffer_store_dword v115, v126, s[0:3], 0 offen
	buffer_store_dword v116, v126, s[0:3], 0 offen offset:4
	v_xor_b32_e32 v116, 0x80000000, v116
.LBB56_3:
	s_cmpk_eq_i32 s8, 0x79
	v_add_u32_e32 v118, 0x1d0, v117
	v_mov_b32_e32 v119, v117
	s_mov_b64 s[4:5], -1
	ds_write_b64 v117, v[115:116]
	s_cbranch_scc1 .LBB56_557
; %bb.4:
	buffer_load_dword v115, off, s[0:3], 0 offset:440
	buffer_load_dword v116, off, s[0:3], 0 offset:444
	s_movk_i32 s12, 0x48
	s_movk_i32 s13, 0x50
	;; [unrolled: 1-line block ×46, first 2 shown]
	v_cmp_eq_u32_e64 s[4:5], 56, v0
	s_waitcnt vmcnt(0)
	ds_write_b64 v118, v[115:116]
	s_waitcnt lgkmcnt(0)
	; wave barrier
	s_and_saveexec_b64 s[6:7], s[4:5]
	s_cbranch_execz .LBB56_10
; %bb.5:
	s_and_b64 vcc, exec, s[10:11]
	s_cbranch_vccz .LBB56_7
; %bb.6:
	buffer_load_dword v115, v119, s[0:3], 0 offen
	buffer_load_dword v116, v119, s[0:3], 0 offen offset:4
	ds_read_b64 v[120:121], v118
	s_waitcnt vmcnt(0) lgkmcnt(0)
	v_mul_f64 v[115:116], v[115:116], v[120:121]
	s_cbranch_execz .LBB56_8
	s_branch .LBB56_9
.LBB56_7:
                                        ; implicit-def: $vgpr115_vgpr116
.LBB56_8:
	ds_read_b64 v[115:116], v118
.LBB56_9:
	v_mov_b32_e32 v120, 0
	ds_read_b64 v[120:121], v120 offset:440
	s_waitcnt lgkmcnt(0)
	v_mul_f64 v[115:116], v[115:116], v[120:121]
	buffer_store_dword v116, off, s[0:3], 0 offset:444
	buffer_store_dword v115, off, s[0:3], 0 offset:440
.LBB56_10:
	s_or_b64 exec, exec, s[6:7]
	buffer_load_dword v115, off, s[0:3], 0 offset:432
	buffer_load_dword v116, off, s[0:3], 0 offset:436
	s_or_b32 s14, 0, 8
	s_mov_b32 s15, 16
	s_mov_b32 s16, 24
	;; [unrolled: 1-line block ×9, first 2 shown]
	v_cmp_lt_u32_e64 s[6:7], 54, v0
	s_waitcnt vmcnt(0)
	ds_write_b64 v118, v[115:116]
	s_waitcnt lgkmcnt(0)
	; wave barrier
	s_and_saveexec_b64 s[8:9], s[6:7]
	s_cbranch_execz .LBB56_16
; %bb.11:
	s_andn2_b64 vcc, exec, s[10:11]
	s_cbranch_vccnz .LBB56_13
; %bb.12:
	buffer_load_dword v115, v119, s[0:3], 0 offen
	buffer_load_dword v116, v119, s[0:3], 0 offen offset:4
	ds_read_b64 v[120:121], v118
	s_waitcnt vmcnt(0) lgkmcnt(0)
	v_mul_f64 v[115:116], v[115:116], v[120:121]
	s_cbranch_execz .LBB56_14
	s_branch .LBB56_15
.LBB56_13:
                                        ; implicit-def: $vgpr115_vgpr116
.LBB56_14:
	ds_read_b64 v[115:116], v118
.LBB56_15:
	buffer_load_dword v124, off, s[0:3], 0 offset:440
	buffer_load_dword v125, off, s[0:3], 0 offset:444
	v_mov_b32_e32 v120, 0
	ds_read2_b64 v[120:123], v120 offset0:54 offset1:113
	s_waitcnt vmcnt(0) lgkmcnt(0)
	v_fma_f64 v[122:123], v[124:125], v[122:123], v[115:116]
	v_cndmask_b32_e64 v116, v116, v123, s[4:5]
	v_cndmask_b32_e64 v115, v115, v122, s[4:5]
	v_mul_f64 v[115:116], v[115:116], v[120:121]
	buffer_store_dword v116, off, s[0:3], 0 offset:436
	buffer_store_dword v115, off, s[0:3], 0 offset:432
.LBB56_16:
	s_or_b64 exec, exec, s[8:9]
	buffer_load_dword v115, off, s[0:3], 0 offset:424
	buffer_load_dword v116, off, s[0:3], 0 offset:428
	v_cmp_lt_u32_e64 s[4:5], 53, v0
	s_waitcnt vmcnt(0)
	ds_write_b64 v118, v[115:116]
	s_waitcnt lgkmcnt(0)
	; wave barrier
	s_and_saveexec_b64 s[8:9], s[4:5]
	s_cbranch_execz .LBB56_26
; %bb.17:
	s_andn2_b64 vcc, exec, s[10:11]
	s_cbranch_vccnz .LBB56_19
; %bb.18:
	buffer_load_dword v115, v119, s[0:3], 0 offen
	buffer_load_dword v116, v119, s[0:3], 0 offen offset:4
	ds_read_b64 v[120:121], v118
	s_waitcnt vmcnt(0) lgkmcnt(0)
	v_mul_f64 v[115:116], v[115:116], v[120:121]
	s_cbranch_execz .LBB56_20
	s_branch .LBB56_21
.LBB56_19:
                                        ; implicit-def: $vgpr115_vgpr116
.LBB56_20:
	ds_read_b64 v[115:116], v118
.LBB56_21:
	s_and_saveexec_b64 s[12:13], s[6:7]
	s_cbranch_execz .LBB56_25
; %bb.22:
	v_subrev_u32_e32 v120, 54, v0
	s_movk_i32 s69, 0x380
	s_mov_b64 s[6:7], 0
.LBB56_23:                              ; =>This Inner Loop Header: Depth=1
	v_mov_b32_e32 v122, s68
	buffer_load_dword v121, v122, s[0:3], 0 offen
	s_nop 0
	buffer_load_dword v122, v122, s[0:3], 0 offen offset:4
	v_mov_b32_e32 v123, s69
	ds_read_b64 v[123:124], v123
	v_add_u32_e32 v120, -1, v120
	s_add_i32 s69, s69, 8
	s_add_i32 s68, s68, 8
	v_cmp_eq_u32_e32 vcc, 0, v120
	s_or_b64 s[6:7], vcc, s[6:7]
	s_waitcnt vmcnt(0) lgkmcnt(0)
	v_fma_f64 v[115:116], v[121:122], v[123:124], v[115:116]
	s_andn2_b64 exec, exec, s[6:7]
	s_cbranch_execnz .LBB56_23
; %bb.24:
	s_or_b64 exec, exec, s[6:7]
.LBB56_25:
	s_or_b64 exec, exec, s[12:13]
	v_mov_b32_e32 v120, 0
	ds_read_b64 v[120:121], v120 offset:424
	s_waitcnt lgkmcnt(0)
	v_mul_f64 v[115:116], v[115:116], v[120:121]
	buffer_store_dword v116, off, s[0:3], 0 offset:428
	buffer_store_dword v115, off, s[0:3], 0 offset:424
.LBB56_26:
	s_or_b64 exec, exec, s[8:9]
	buffer_load_dword v115, off, s[0:3], 0 offset:416
	buffer_load_dword v116, off, s[0:3], 0 offset:420
	v_cmp_lt_u32_e64 s[6:7], 52, v0
	s_waitcnt vmcnt(0)
	ds_write_b64 v118, v[115:116]
	s_waitcnt lgkmcnt(0)
	; wave barrier
	s_and_saveexec_b64 s[8:9], s[6:7]
	s_cbranch_execz .LBB56_36
; %bb.27:
	s_andn2_b64 vcc, exec, s[10:11]
	s_cbranch_vccnz .LBB56_29
; %bb.28:
	buffer_load_dword v115, v119, s[0:3], 0 offen
	buffer_load_dword v116, v119, s[0:3], 0 offen offset:4
	ds_read_b64 v[120:121], v118
	s_waitcnt vmcnt(0) lgkmcnt(0)
	v_mul_f64 v[115:116], v[115:116], v[120:121]
	s_cbranch_execz .LBB56_30
	s_branch .LBB56_31
.LBB56_29:
                                        ; implicit-def: $vgpr115_vgpr116
.LBB56_30:
	ds_read_b64 v[115:116], v118
.LBB56_31:
	s_and_saveexec_b64 s[12:13], s[4:5]
	s_cbranch_execz .LBB56_35
; %bb.32:
	v_subrev_u32_e32 v120, 53, v0
	s_movk_i32 s68, 0x378
	s_mov_b64 s[4:5], 0
.LBB56_33:                              ; =>This Inner Loop Header: Depth=1
	v_mov_b32_e32 v122, s67
	buffer_load_dword v121, v122, s[0:3], 0 offen
	s_nop 0
	buffer_load_dword v122, v122, s[0:3], 0 offen offset:4
	v_mov_b32_e32 v123, s68
	ds_read_b64 v[123:124], v123
	v_add_u32_e32 v120, -1, v120
	s_add_i32 s68, s68, 8
	s_add_i32 s67, s67, 8
	v_cmp_eq_u32_e32 vcc, 0, v120
	s_or_b64 s[4:5], vcc, s[4:5]
	s_waitcnt vmcnt(0) lgkmcnt(0)
	v_fma_f64 v[115:116], v[121:122], v[123:124], v[115:116]
	s_andn2_b64 exec, exec, s[4:5]
	s_cbranch_execnz .LBB56_33
; %bb.34:
	s_or_b64 exec, exec, s[4:5]
.LBB56_35:
	s_or_b64 exec, exec, s[12:13]
	v_mov_b32_e32 v120, 0
	ds_read_b64 v[120:121], v120 offset:416
	s_waitcnt lgkmcnt(0)
	v_mul_f64 v[115:116], v[115:116], v[120:121]
	buffer_store_dword v116, off, s[0:3], 0 offset:420
	buffer_store_dword v115, off, s[0:3], 0 offset:416
.LBB56_36:
	;; [unrolled: 59-line block ×8, first 2 shown]
	s_or_b64 exec, exec, s[8:9]
	buffer_load_dword v115, off, s[0:3], 0 offset:360
	buffer_load_dword v116, off, s[0:3], 0 offset:364
	v_cmp_lt_u32_e64 s[4:5], 45, v0
	s_waitcnt vmcnt(0)
	ds_write_b64 v118, v[115:116]
	s_waitcnt lgkmcnt(0)
	; wave barrier
	s_and_saveexec_b64 s[8:9], s[4:5]
	s_cbranch_execz .LBB56_106
; %bb.97:
	s_andn2_b64 vcc, exec, s[10:11]
	s_cbranch_vccnz .LBB56_99
; %bb.98:
	buffer_load_dword v115, v119, s[0:3], 0 offen
	buffer_load_dword v116, v119, s[0:3], 0 offen offset:4
	ds_read_b64 v[120:121], v118
	s_waitcnt vmcnt(0) lgkmcnt(0)
	v_mul_f64 v[115:116], v[115:116], v[120:121]
	s_cbranch_execz .LBB56_100
	s_branch .LBB56_101
.LBB56_99:
                                        ; implicit-def: $vgpr115_vgpr116
.LBB56_100:
	ds_read_b64 v[115:116], v118
.LBB56_101:
	s_and_saveexec_b64 s[12:13], s[6:7]
	s_cbranch_execz .LBB56_105
; %bb.102:
	v_subrev_u32_e32 v120, 46, v0
	s_movk_i32 s61, 0x340
	s_mov_b64 s[6:7], 0
.LBB56_103:                             ; =>This Inner Loop Header: Depth=1
	v_mov_b32_e32 v122, s60
	buffer_load_dword v121, v122, s[0:3], 0 offen
	s_nop 0
	buffer_load_dword v122, v122, s[0:3], 0 offen offset:4
	v_mov_b32_e32 v123, s61
	ds_read_b64 v[123:124], v123
	v_add_u32_e32 v120, -1, v120
	s_add_i32 s61, s61, 8
	s_add_i32 s60, s60, 8
	v_cmp_eq_u32_e32 vcc, 0, v120
	s_or_b64 s[6:7], vcc, s[6:7]
	s_waitcnt vmcnt(0) lgkmcnt(0)
	v_fma_f64 v[115:116], v[121:122], v[123:124], v[115:116]
	s_andn2_b64 exec, exec, s[6:7]
	s_cbranch_execnz .LBB56_103
; %bb.104:
	s_or_b64 exec, exec, s[6:7]
.LBB56_105:
	s_or_b64 exec, exec, s[12:13]
	v_mov_b32_e32 v120, 0
	ds_read_b64 v[120:121], v120 offset:360
	s_waitcnt lgkmcnt(0)
	v_mul_f64 v[115:116], v[115:116], v[120:121]
	buffer_store_dword v116, off, s[0:3], 0 offset:364
	buffer_store_dword v115, off, s[0:3], 0 offset:360
.LBB56_106:
	s_or_b64 exec, exec, s[8:9]
	buffer_load_dword v115, off, s[0:3], 0 offset:352
	buffer_load_dword v116, off, s[0:3], 0 offset:356
	v_cmp_lt_u32_e64 s[6:7], 44, v0
	s_waitcnt vmcnt(0)
	ds_write_b64 v118, v[115:116]
	s_waitcnt lgkmcnt(0)
	; wave barrier
	s_and_saveexec_b64 s[8:9], s[6:7]
	s_cbranch_execz .LBB56_116
; %bb.107:
	s_andn2_b64 vcc, exec, s[10:11]
	s_cbranch_vccnz .LBB56_109
; %bb.108:
	buffer_load_dword v115, v119, s[0:3], 0 offen
	buffer_load_dword v116, v119, s[0:3], 0 offen offset:4
	ds_read_b64 v[120:121], v118
	s_waitcnt vmcnt(0) lgkmcnt(0)
	v_mul_f64 v[115:116], v[115:116], v[120:121]
	s_cbranch_execz .LBB56_110
	s_branch .LBB56_111
.LBB56_109:
                                        ; implicit-def: $vgpr115_vgpr116
.LBB56_110:
	ds_read_b64 v[115:116], v118
.LBB56_111:
	s_and_saveexec_b64 s[12:13], s[4:5]
	s_cbranch_execz .LBB56_115
; %bb.112:
	v_subrev_u32_e32 v120, 45, v0
	s_movk_i32 s60, 0x338
	s_mov_b64 s[4:5], 0
.LBB56_113:                             ; =>This Inner Loop Header: Depth=1
	v_mov_b32_e32 v122, s59
	buffer_load_dword v121, v122, s[0:3], 0 offen
	s_nop 0
	buffer_load_dword v122, v122, s[0:3], 0 offen offset:4
	v_mov_b32_e32 v123, s60
	ds_read_b64 v[123:124], v123
	v_add_u32_e32 v120, -1, v120
	s_add_i32 s60, s60, 8
	s_add_i32 s59, s59, 8
	v_cmp_eq_u32_e32 vcc, 0, v120
	s_or_b64 s[4:5], vcc, s[4:5]
	s_waitcnt vmcnt(0) lgkmcnt(0)
	v_fma_f64 v[115:116], v[121:122], v[123:124], v[115:116]
	s_andn2_b64 exec, exec, s[4:5]
	s_cbranch_execnz .LBB56_113
; %bb.114:
	s_or_b64 exec, exec, s[4:5]
.LBB56_115:
	s_or_b64 exec, exec, s[12:13]
	v_mov_b32_e32 v120, 0
	ds_read_b64 v[120:121], v120 offset:352
	s_waitcnt lgkmcnt(0)
	v_mul_f64 v[115:116], v[115:116], v[120:121]
	buffer_store_dword v116, off, s[0:3], 0 offset:356
	buffer_store_dword v115, off, s[0:3], 0 offset:352
.LBB56_116:
	;; [unrolled: 59-line block ×10, first 2 shown]
	s_or_b64 exec, exec, s[8:9]
	buffer_load_dword v115, off, s[0:3], 0 offset:280
	buffer_load_dword v116, off, s[0:3], 0 offset:284
	v_cmp_lt_u32_e64 s[4:5], 35, v0
	s_waitcnt vmcnt(0)
	ds_write_b64 v118, v[115:116]
	s_waitcnt lgkmcnt(0)
	; wave barrier
	s_and_saveexec_b64 s[8:9], s[4:5]
	s_cbranch_execz .LBB56_206
; %bb.197:
	s_andn2_b64 vcc, exec, s[10:11]
	s_cbranch_vccnz .LBB56_199
; %bb.198:
	buffer_load_dword v115, v119, s[0:3], 0 offen
	buffer_load_dword v116, v119, s[0:3], 0 offen offset:4
	ds_read_b64 v[120:121], v118
	s_waitcnt vmcnt(0) lgkmcnt(0)
	v_mul_f64 v[115:116], v[115:116], v[120:121]
	s_cbranch_execz .LBB56_200
	s_branch .LBB56_201
.LBB56_199:
                                        ; implicit-def: $vgpr115_vgpr116
.LBB56_200:
	ds_read_b64 v[115:116], v118
.LBB56_201:
	s_and_saveexec_b64 s[12:13], s[6:7]
	s_cbranch_execz .LBB56_205
; %bb.202:
	v_subrev_u32_e32 v120, 36, v0
	s_movk_i32 s51, 0x2f0
	s_mov_b64 s[6:7], 0
.LBB56_203:                             ; =>This Inner Loop Header: Depth=1
	v_mov_b32_e32 v123, s50
	buffer_load_dword v121, v123, s[0:3], 0 offen
	buffer_load_dword v122, v123, s[0:3], 0 offen offset:4
	v_mov_b32_e32 v123, s51
	ds_read_b64 v[123:124], v123
	v_add_u32_e32 v120, -1, v120
	s_add_i32 s51, s51, 8
	s_add_i32 s50, s50, 8
	v_cmp_eq_u32_e32 vcc, 0, v120
	s_or_b64 s[6:7], vcc, s[6:7]
	s_waitcnt vmcnt(0) lgkmcnt(0)
	v_fma_f64 v[115:116], v[121:122], v[123:124], v[115:116]
	s_andn2_b64 exec, exec, s[6:7]
	s_cbranch_execnz .LBB56_203
; %bb.204:
	s_or_b64 exec, exec, s[6:7]
.LBB56_205:
	s_or_b64 exec, exec, s[12:13]
	v_mov_b32_e32 v120, 0
	ds_read_b64 v[120:121], v120 offset:280
	s_waitcnt lgkmcnt(0)
	v_mul_f64 v[115:116], v[115:116], v[120:121]
	buffer_store_dword v116, off, s[0:3], 0 offset:284
	buffer_store_dword v115, off, s[0:3], 0 offset:280
.LBB56_206:
	s_or_b64 exec, exec, s[8:9]
	buffer_load_dword v115, off, s[0:3], 0 offset:272
	buffer_load_dword v116, off, s[0:3], 0 offset:276
	v_cmp_lt_u32_e64 s[6:7], 34, v0
	s_waitcnt vmcnt(0)
	ds_write_b64 v118, v[115:116]
	s_waitcnt lgkmcnt(0)
	; wave barrier
	s_and_saveexec_b64 s[8:9], s[6:7]
	s_cbranch_execz .LBB56_216
; %bb.207:
	s_andn2_b64 vcc, exec, s[10:11]
	s_cbranch_vccnz .LBB56_209
; %bb.208:
	buffer_load_dword v115, v119, s[0:3], 0 offen
	buffer_load_dword v116, v119, s[0:3], 0 offen offset:4
	ds_read_b64 v[120:121], v118
	s_waitcnt vmcnt(0) lgkmcnt(0)
	v_mul_f64 v[115:116], v[115:116], v[120:121]
	s_cbranch_execz .LBB56_210
	s_branch .LBB56_211
.LBB56_209:
                                        ; implicit-def: $vgpr115_vgpr116
.LBB56_210:
	ds_read_b64 v[115:116], v118
.LBB56_211:
	s_and_saveexec_b64 s[12:13], s[4:5]
	s_cbranch_execz .LBB56_215
; %bb.212:
	v_subrev_u32_e32 v120, 35, v0
	s_movk_i32 s50, 0x2e8
	s_mov_b64 s[4:5], 0
.LBB56_213:                             ; =>This Inner Loop Header: Depth=1
	v_mov_b32_e32 v123, s49
	buffer_load_dword v121, v123, s[0:3], 0 offen
	buffer_load_dword v122, v123, s[0:3], 0 offen offset:4
	v_mov_b32_e32 v123, s50
	ds_read_b64 v[123:124], v123
	v_add_u32_e32 v120, -1, v120
	s_add_i32 s50, s50, 8
	s_add_i32 s49, s49, 8
	v_cmp_eq_u32_e32 vcc, 0, v120
	s_or_b64 s[4:5], vcc, s[4:5]
	s_waitcnt vmcnt(0) lgkmcnt(0)
	v_fma_f64 v[115:116], v[121:122], v[123:124], v[115:116]
	s_andn2_b64 exec, exec, s[4:5]
	s_cbranch_execnz .LBB56_213
; %bb.214:
	s_or_b64 exec, exec, s[4:5]
.LBB56_215:
	s_or_b64 exec, exec, s[12:13]
	v_mov_b32_e32 v120, 0
	ds_read_b64 v[120:121], v120 offset:272
	s_waitcnt lgkmcnt(0)
	v_mul_f64 v[115:116], v[115:116], v[120:121]
	buffer_store_dword v116, off, s[0:3], 0 offset:276
	buffer_store_dword v115, off, s[0:3], 0 offset:272
.LBB56_216:
	;; [unrolled: 58-line block ×20, first 2 shown]
	s_or_b64 exec, exec, s[8:9]
	buffer_load_dword v115, off, s[0:3], 0 offset:120
	buffer_load_dword v116, off, s[0:3], 0 offset:124
	v_cmp_lt_u32_e64 s[4:5], 15, v0
	s_waitcnt vmcnt(0)
	ds_write_b64 v118, v[115:116]
	s_waitcnt lgkmcnt(0)
	; wave barrier
	s_and_saveexec_b64 s[8:9], s[4:5]
	s_cbranch_execz .LBB56_406
; %bb.397:
	s_andn2_b64 vcc, exec, s[10:11]
	s_cbranch_vccnz .LBB56_399
; %bb.398:
	buffer_load_dword v115, v119, s[0:3], 0 offen
	buffer_load_dword v116, v119, s[0:3], 0 offen offset:4
	ds_read_b64 v[120:121], v118
	s_waitcnt vmcnt(0) lgkmcnt(0)
	v_mul_f64 v[115:116], v[115:116], v[120:121]
	s_cbranch_execz .LBB56_400
	s_branch .LBB56_401
.LBB56_399:
                                        ; implicit-def: $vgpr115_vgpr116
.LBB56_400:
	ds_read_b64 v[115:116], v118
.LBB56_401:
	s_and_saveexec_b64 s[12:13], s[6:7]
	s_cbranch_execz .LBB56_405
; %bb.402:
	v_add_u32_e32 v120, -16, v0
	s_movk_i32 s30, 0x250
	s_mov_b64 s[6:7], 0
.LBB56_403:                             ; =>This Inner Loop Header: Depth=1
	v_mov_b32_e32 v123, s29
	buffer_load_dword v121, v123, s[0:3], 0 offen
	buffer_load_dword v122, v123, s[0:3], 0 offen offset:4
	v_mov_b32_e32 v123, s30
	ds_read_b64 v[123:124], v123
	v_add_u32_e32 v120, -1, v120
	s_add_i32 s30, s30, 8
	s_add_i32 s29, s29, 8
	v_cmp_eq_u32_e32 vcc, 0, v120
	s_or_b64 s[6:7], vcc, s[6:7]
	s_waitcnt vmcnt(0) lgkmcnt(0)
	v_fma_f64 v[115:116], v[121:122], v[123:124], v[115:116]
	s_andn2_b64 exec, exec, s[6:7]
	s_cbranch_execnz .LBB56_403
; %bb.404:
	s_or_b64 exec, exec, s[6:7]
.LBB56_405:
	s_or_b64 exec, exec, s[12:13]
	v_mov_b32_e32 v120, 0
	ds_read_b64 v[120:121], v120 offset:120
	s_waitcnt lgkmcnt(0)
	v_mul_f64 v[115:116], v[115:116], v[120:121]
	buffer_store_dword v116, off, s[0:3], 0 offset:124
	buffer_store_dword v115, off, s[0:3], 0 offset:120
.LBB56_406:
	s_or_b64 exec, exec, s[8:9]
	buffer_load_dword v115, off, s[0:3], 0 offset:112
	buffer_load_dword v116, off, s[0:3], 0 offset:116
	v_cmp_lt_u32_e64 s[6:7], 14, v0
	s_waitcnt vmcnt(0)
	ds_write_b64 v118, v[115:116]
	s_waitcnt lgkmcnt(0)
	; wave barrier
	s_and_saveexec_b64 s[8:9], s[6:7]
	s_cbranch_execz .LBB56_416
; %bb.407:
	s_andn2_b64 vcc, exec, s[10:11]
	s_cbranch_vccnz .LBB56_409
; %bb.408:
	buffer_load_dword v115, v119, s[0:3], 0 offen
	buffer_load_dword v116, v119, s[0:3], 0 offen offset:4
	ds_read_b64 v[120:121], v118
	s_waitcnt vmcnt(0) lgkmcnt(0)
	v_mul_f64 v[115:116], v[115:116], v[120:121]
	s_cbranch_execz .LBB56_410
	s_branch .LBB56_411
.LBB56_409:
                                        ; implicit-def: $vgpr115_vgpr116
.LBB56_410:
	ds_read_b64 v[115:116], v118
.LBB56_411:
	s_and_saveexec_b64 s[12:13], s[4:5]
	s_cbranch_execz .LBB56_415
; %bb.412:
	v_add_u32_e32 v120, -15, v0
	s_movk_i32 s29, 0x248
	s_mov_b64 s[4:5], 0
.LBB56_413:                             ; =>This Inner Loop Header: Depth=1
	v_mov_b32_e32 v123, s28
	buffer_load_dword v121, v123, s[0:3], 0 offen
	buffer_load_dword v122, v123, s[0:3], 0 offen offset:4
	v_mov_b32_e32 v123, s29
	ds_read_b64 v[123:124], v123
	v_add_u32_e32 v120, -1, v120
	s_add_i32 s29, s29, 8
	s_add_i32 s28, s28, 8
	v_cmp_eq_u32_e32 vcc, 0, v120
	s_or_b64 s[4:5], vcc, s[4:5]
	s_waitcnt vmcnt(0) lgkmcnt(0)
	v_fma_f64 v[115:116], v[121:122], v[123:124], v[115:116]
	s_andn2_b64 exec, exec, s[4:5]
	s_cbranch_execnz .LBB56_413
; %bb.414:
	s_or_b64 exec, exec, s[4:5]
.LBB56_415:
	s_or_b64 exec, exec, s[12:13]
	v_mov_b32_e32 v120, 0
	ds_read_b64 v[120:121], v120 offset:112
	s_waitcnt lgkmcnt(0)
	v_mul_f64 v[115:116], v[115:116], v[120:121]
	buffer_store_dword v116, off, s[0:3], 0 offset:116
	buffer_store_dword v115, off, s[0:3], 0 offset:112
.LBB56_416:
	s_or_b64 exec, exec, s[8:9]
	buffer_load_dword v115, off, s[0:3], 0 offset:104
	buffer_load_dword v116, off, s[0:3], 0 offset:108
	v_cmp_lt_u32_e64 s[4:5], 13, v0
	s_waitcnt vmcnt(0)
	ds_write_b64 v118, v[115:116]
	s_waitcnt lgkmcnt(0)
	; wave barrier
	s_and_saveexec_b64 s[8:9], s[4:5]
	s_cbranch_execz .LBB56_426
; %bb.417:
	s_andn2_b64 vcc, exec, s[10:11]
	s_cbranch_vccnz .LBB56_419
; %bb.418:
	buffer_load_dword v115, v119, s[0:3], 0 offen
	buffer_load_dword v116, v119, s[0:3], 0 offen offset:4
	ds_read_b64 v[120:121], v118
	s_waitcnt vmcnt(0) lgkmcnt(0)
	v_mul_f64 v[115:116], v[115:116], v[120:121]
	s_cbranch_execz .LBB56_420
	s_branch .LBB56_421
.LBB56_419:
                                        ; implicit-def: $vgpr115_vgpr116
.LBB56_420:
	ds_read_b64 v[115:116], v118
.LBB56_421:
	s_and_saveexec_b64 s[12:13], s[6:7]
	s_cbranch_execz .LBB56_425
; %bb.422:
	v_add_u32_e32 v120, -14, v0
	s_movk_i32 s28, 0x240
	s_mov_b64 s[6:7], 0
.LBB56_423:                             ; =>This Inner Loop Header: Depth=1
	v_mov_b32_e32 v123, s27
	buffer_load_dword v121, v123, s[0:3], 0 offen
	buffer_load_dword v122, v123, s[0:3], 0 offen offset:4
	v_mov_b32_e32 v123, s28
	ds_read_b64 v[123:124], v123
	v_add_u32_e32 v120, -1, v120
	s_add_i32 s28, s28, 8
	s_add_i32 s27, s27, 8
	v_cmp_eq_u32_e32 vcc, 0, v120
	s_or_b64 s[6:7], vcc, s[6:7]
	s_waitcnt vmcnt(0) lgkmcnt(0)
	v_fma_f64 v[115:116], v[121:122], v[123:124], v[115:116]
	s_andn2_b64 exec, exec, s[6:7]
	s_cbranch_execnz .LBB56_423
; %bb.424:
	s_or_b64 exec, exec, s[6:7]
.LBB56_425:
	s_or_b64 exec, exec, s[12:13]
	v_mov_b32_e32 v120, 0
	ds_read_b64 v[120:121], v120 offset:104
	s_waitcnt lgkmcnt(0)
	v_mul_f64 v[115:116], v[115:116], v[120:121]
	buffer_store_dword v116, off, s[0:3], 0 offset:108
	buffer_store_dword v115, off, s[0:3], 0 offset:104
.LBB56_426:
	s_or_b64 exec, exec, s[8:9]
	buffer_load_dword v115, off, s[0:3], 0 offset:96
	buffer_load_dword v116, off, s[0:3], 0 offset:100
	v_cmp_lt_u32_e64 s[6:7], 12, v0
	s_waitcnt vmcnt(0)
	ds_write_b64 v118, v[115:116]
	s_waitcnt lgkmcnt(0)
	; wave barrier
	s_and_saveexec_b64 s[8:9], s[6:7]
	s_cbranch_execz .LBB56_436
; %bb.427:
	s_andn2_b64 vcc, exec, s[10:11]
	s_cbranch_vccnz .LBB56_429
; %bb.428:
	buffer_load_dword v115, v119, s[0:3], 0 offen
	buffer_load_dword v116, v119, s[0:3], 0 offen offset:4
	ds_read_b64 v[120:121], v118
	s_waitcnt vmcnt(0) lgkmcnt(0)
	v_mul_f64 v[115:116], v[115:116], v[120:121]
	s_cbranch_execz .LBB56_430
	s_branch .LBB56_431
.LBB56_429:
                                        ; implicit-def: $vgpr115_vgpr116
.LBB56_430:
	ds_read_b64 v[115:116], v118
.LBB56_431:
	s_and_saveexec_b64 s[12:13], s[4:5]
	s_cbranch_execz .LBB56_435
; %bb.432:
	v_add_u32_e32 v120, -13, v0
	s_movk_i32 s27, 0x238
	s_mov_b64 s[4:5], 0
.LBB56_433:                             ; =>This Inner Loop Header: Depth=1
	v_mov_b32_e32 v123, s26
	buffer_load_dword v121, v123, s[0:3], 0 offen
	buffer_load_dword v122, v123, s[0:3], 0 offen offset:4
	v_mov_b32_e32 v123, s27
	ds_read_b64 v[123:124], v123
	v_add_u32_e32 v120, -1, v120
	s_add_i32 s27, s27, 8
	s_add_i32 s26, s26, 8
	v_cmp_eq_u32_e32 vcc, 0, v120
	s_or_b64 s[4:5], vcc, s[4:5]
	s_waitcnt vmcnt(0) lgkmcnt(0)
	v_fma_f64 v[115:116], v[121:122], v[123:124], v[115:116]
	s_andn2_b64 exec, exec, s[4:5]
	s_cbranch_execnz .LBB56_433
; %bb.434:
	s_or_b64 exec, exec, s[4:5]
.LBB56_435:
	s_or_b64 exec, exec, s[12:13]
	v_mov_b32_e32 v120, 0
	ds_read_b64 v[120:121], v120 offset:96
	s_waitcnt lgkmcnt(0)
	v_mul_f64 v[115:116], v[115:116], v[120:121]
	buffer_store_dword v116, off, s[0:3], 0 offset:100
	buffer_store_dword v115, off, s[0:3], 0 offset:96
.LBB56_436:
	s_or_b64 exec, exec, s[8:9]
	buffer_load_dword v115, off, s[0:3], 0 offset:88
	buffer_load_dword v116, off, s[0:3], 0 offset:92
	v_cmp_lt_u32_e64 s[4:5], 11, v0
	s_waitcnt vmcnt(0)
	ds_write_b64 v118, v[115:116]
	s_waitcnt lgkmcnt(0)
	; wave barrier
	s_and_saveexec_b64 s[8:9], s[4:5]
	s_cbranch_execz .LBB56_446
; %bb.437:
	s_andn2_b64 vcc, exec, s[10:11]
	s_cbranch_vccnz .LBB56_439
; %bb.438:
	buffer_load_dword v115, v119, s[0:3], 0 offen
	buffer_load_dword v116, v119, s[0:3], 0 offen offset:4
	ds_read_b64 v[120:121], v118
	s_waitcnt vmcnt(0) lgkmcnt(0)
	v_mul_f64 v[115:116], v[115:116], v[120:121]
	s_cbranch_execz .LBB56_440
	s_branch .LBB56_441
.LBB56_439:
                                        ; implicit-def: $vgpr115_vgpr116
.LBB56_440:
	ds_read_b64 v[115:116], v118
.LBB56_441:
	s_and_saveexec_b64 s[12:13], s[6:7]
	s_cbranch_execz .LBB56_445
; %bb.442:
	v_add_u32_e32 v120, -12, v0
	s_movk_i32 s26, 0x230
	s_mov_b64 s[6:7], 0
.LBB56_443:                             ; =>This Inner Loop Header: Depth=1
	v_mov_b32_e32 v123, s25
	buffer_load_dword v121, v123, s[0:3], 0 offen
	buffer_load_dword v122, v123, s[0:3], 0 offen offset:4
	v_mov_b32_e32 v123, s26
	ds_read_b64 v[123:124], v123
	v_add_u32_e32 v120, -1, v120
	s_add_i32 s26, s26, 8
	s_add_i32 s25, s25, 8
	v_cmp_eq_u32_e32 vcc, 0, v120
	s_or_b64 s[6:7], vcc, s[6:7]
	s_waitcnt vmcnt(0) lgkmcnt(0)
	v_fma_f64 v[115:116], v[121:122], v[123:124], v[115:116]
	s_andn2_b64 exec, exec, s[6:7]
	s_cbranch_execnz .LBB56_443
; %bb.444:
	s_or_b64 exec, exec, s[6:7]
.LBB56_445:
	s_or_b64 exec, exec, s[12:13]
	v_mov_b32_e32 v120, 0
	ds_read_b64 v[120:121], v120 offset:88
	s_waitcnt lgkmcnt(0)
	v_mul_f64 v[115:116], v[115:116], v[120:121]
	buffer_store_dword v116, off, s[0:3], 0 offset:92
	buffer_store_dword v115, off, s[0:3], 0 offset:88
.LBB56_446:
	s_or_b64 exec, exec, s[8:9]
	buffer_load_dword v115, off, s[0:3], 0 offset:80
	buffer_load_dword v116, off, s[0:3], 0 offset:84
	v_cmp_lt_u32_e64 s[6:7], 10, v0
	s_waitcnt vmcnt(0)
	ds_write_b64 v118, v[115:116]
	s_waitcnt lgkmcnt(0)
	; wave barrier
	s_and_saveexec_b64 s[8:9], s[6:7]
	s_cbranch_execz .LBB56_456
; %bb.447:
	s_andn2_b64 vcc, exec, s[10:11]
	s_cbranch_vccnz .LBB56_449
; %bb.448:
	buffer_load_dword v115, v119, s[0:3], 0 offen
	buffer_load_dword v116, v119, s[0:3], 0 offen offset:4
	ds_read_b64 v[120:121], v118
	s_waitcnt vmcnt(0) lgkmcnt(0)
	v_mul_f64 v[115:116], v[115:116], v[120:121]
	s_cbranch_execz .LBB56_450
	s_branch .LBB56_451
.LBB56_449:
                                        ; implicit-def: $vgpr115_vgpr116
.LBB56_450:
	ds_read_b64 v[115:116], v118
.LBB56_451:
	s_and_saveexec_b64 s[12:13], s[4:5]
	s_cbranch_execz .LBB56_455
; %bb.452:
	v_add_u32_e32 v120, -11, v0
	s_movk_i32 s25, 0x228
	s_mov_b64 s[4:5], 0
.LBB56_453:                             ; =>This Inner Loop Header: Depth=1
	v_mov_b32_e32 v123, s24
	buffer_load_dword v121, v123, s[0:3], 0 offen
	buffer_load_dword v122, v123, s[0:3], 0 offen offset:4
	v_mov_b32_e32 v123, s25
	ds_read_b64 v[123:124], v123
	v_add_u32_e32 v120, -1, v120
	s_add_i32 s25, s25, 8
	s_add_i32 s24, s24, 8
	v_cmp_eq_u32_e32 vcc, 0, v120
	s_or_b64 s[4:5], vcc, s[4:5]
	s_waitcnt vmcnt(0) lgkmcnt(0)
	v_fma_f64 v[115:116], v[121:122], v[123:124], v[115:116]
	s_andn2_b64 exec, exec, s[4:5]
	s_cbranch_execnz .LBB56_453
; %bb.454:
	s_or_b64 exec, exec, s[4:5]
.LBB56_455:
	s_or_b64 exec, exec, s[12:13]
	v_mov_b32_e32 v120, 0
	ds_read_b64 v[120:121], v120 offset:80
	s_waitcnt lgkmcnt(0)
	v_mul_f64 v[115:116], v[115:116], v[120:121]
	buffer_store_dword v116, off, s[0:3], 0 offset:84
	buffer_store_dword v115, off, s[0:3], 0 offset:80
.LBB56_456:
	s_or_b64 exec, exec, s[8:9]
	buffer_load_dword v115, off, s[0:3], 0 offset:72
	buffer_load_dword v116, off, s[0:3], 0 offset:76
	v_cmp_lt_u32_e64 s[4:5], 9, v0
	s_waitcnt vmcnt(0)
	ds_write_b64 v118, v[115:116]
	s_waitcnt lgkmcnt(0)
	; wave barrier
	s_and_saveexec_b64 s[8:9], s[4:5]
	s_cbranch_execz .LBB56_466
; %bb.457:
	s_andn2_b64 vcc, exec, s[10:11]
	s_cbranch_vccnz .LBB56_459
; %bb.458:
	buffer_load_dword v115, v119, s[0:3], 0 offen
	buffer_load_dword v116, v119, s[0:3], 0 offen offset:4
	ds_read_b64 v[120:121], v118
	s_waitcnt vmcnt(0) lgkmcnt(0)
	v_mul_f64 v[115:116], v[115:116], v[120:121]
	s_cbranch_execz .LBB56_460
	s_branch .LBB56_461
.LBB56_459:
                                        ; implicit-def: $vgpr115_vgpr116
.LBB56_460:
	ds_read_b64 v[115:116], v118
.LBB56_461:
	s_and_saveexec_b64 s[12:13], s[6:7]
	s_cbranch_execz .LBB56_465
; %bb.462:
	v_add_u32_e32 v120, -10, v0
	s_movk_i32 s24, 0x220
	s_mov_b64 s[6:7], 0
.LBB56_463:                             ; =>This Inner Loop Header: Depth=1
	v_mov_b32_e32 v123, s23
	buffer_load_dword v121, v123, s[0:3], 0 offen
	buffer_load_dword v122, v123, s[0:3], 0 offen offset:4
	v_mov_b32_e32 v123, s24
	ds_read_b64 v[123:124], v123
	v_add_u32_e32 v120, -1, v120
	s_add_i32 s24, s24, 8
	s_add_i32 s23, s23, 8
	v_cmp_eq_u32_e32 vcc, 0, v120
	s_or_b64 s[6:7], vcc, s[6:7]
	s_waitcnt vmcnt(0) lgkmcnt(0)
	v_fma_f64 v[115:116], v[121:122], v[123:124], v[115:116]
	s_andn2_b64 exec, exec, s[6:7]
	s_cbranch_execnz .LBB56_463
; %bb.464:
	s_or_b64 exec, exec, s[6:7]
.LBB56_465:
	s_or_b64 exec, exec, s[12:13]
	v_mov_b32_e32 v120, 0
	ds_read_b64 v[120:121], v120 offset:72
	s_waitcnt lgkmcnt(0)
	v_mul_f64 v[115:116], v[115:116], v[120:121]
	buffer_store_dword v116, off, s[0:3], 0 offset:76
	buffer_store_dword v115, off, s[0:3], 0 offset:72
.LBB56_466:
	s_or_b64 exec, exec, s[8:9]
	buffer_load_dword v115, off, s[0:3], 0 offset:64
	buffer_load_dword v116, off, s[0:3], 0 offset:68
	v_cmp_lt_u32_e64 s[6:7], 8, v0
	s_waitcnt vmcnt(0)
	ds_write_b64 v118, v[115:116]
	s_waitcnt lgkmcnt(0)
	; wave barrier
	s_and_saveexec_b64 s[8:9], s[6:7]
	s_cbranch_execz .LBB56_476
; %bb.467:
	s_andn2_b64 vcc, exec, s[10:11]
	s_cbranch_vccnz .LBB56_469
; %bb.468:
	buffer_load_dword v115, v119, s[0:3], 0 offen
	buffer_load_dword v116, v119, s[0:3], 0 offen offset:4
	ds_read_b64 v[120:121], v118
	s_waitcnt vmcnt(0) lgkmcnt(0)
	v_mul_f64 v[115:116], v[115:116], v[120:121]
	s_cbranch_execz .LBB56_470
	s_branch .LBB56_471
.LBB56_469:
                                        ; implicit-def: $vgpr115_vgpr116
.LBB56_470:
	ds_read_b64 v[115:116], v118
.LBB56_471:
	s_and_saveexec_b64 s[12:13], s[4:5]
	s_cbranch_execz .LBB56_475
; %bb.472:
	v_add_u32_e32 v120, -9, v0
	s_movk_i32 s23, 0x218
	s_mov_b64 s[4:5], 0
.LBB56_473:                             ; =>This Inner Loop Header: Depth=1
	v_mov_b32_e32 v123, s22
	buffer_load_dword v121, v123, s[0:3], 0 offen
	buffer_load_dword v122, v123, s[0:3], 0 offen offset:4
	v_mov_b32_e32 v123, s23
	ds_read_b64 v[123:124], v123
	v_add_u32_e32 v120, -1, v120
	s_add_i32 s23, s23, 8
	s_add_i32 s22, s22, 8
	v_cmp_eq_u32_e32 vcc, 0, v120
	s_or_b64 s[4:5], vcc, s[4:5]
	s_waitcnt vmcnt(0) lgkmcnt(0)
	v_fma_f64 v[115:116], v[121:122], v[123:124], v[115:116]
	s_andn2_b64 exec, exec, s[4:5]
	s_cbranch_execnz .LBB56_473
; %bb.474:
	s_or_b64 exec, exec, s[4:5]
.LBB56_475:
	s_or_b64 exec, exec, s[12:13]
	v_mov_b32_e32 v120, 0
	ds_read_b64 v[120:121], v120 offset:64
	s_waitcnt lgkmcnt(0)
	v_mul_f64 v[115:116], v[115:116], v[120:121]
	buffer_store_dword v116, off, s[0:3], 0 offset:68
	buffer_store_dword v115, off, s[0:3], 0 offset:64
.LBB56_476:
	s_or_b64 exec, exec, s[8:9]
	buffer_load_dword v115, off, s[0:3], 0 offset:56
	buffer_load_dword v116, off, s[0:3], 0 offset:60
	v_cmp_lt_u32_e64 s[4:5], 7, v0
	s_waitcnt vmcnt(0)
	ds_write_b64 v118, v[115:116]
	s_waitcnt lgkmcnt(0)
	; wave barrier
	s_and_saveexec_b64 s[8:9], s[4:5]
	s_cbranch_execz .LBB56_486
; %bb.477:
	s_andn2_b64 vcc, exec, s[10:11]
	s_cbranch_vccnz .LBB56_479
; %bb.478:
	buffer_load_dword v115, v119, s[0:3], 0 offen
	buffer_load_dword v116, v119, s[0:3], 0 offen offset:4
	ds_read_b64 v[120:121], v118
	s_waitcnt vmcnt(0) lgkmcnt(0)
	v_mul_f64 v[115:116], v[115:116], v[120:121]
	s_cbranch_execz .LBB56_480
	s_branch .LBB56_481
.LBB56_479:
                                        ; implicit-def: $vgpr115_vgpr116
.LBB56_480:
	ds_read_b64 v[115:116], v118
.LBB56_481:
	s_and_saveexec_b64 s[12:13], s[6:7]
	s_cbranch_execz .LBB56_485
; %bb.482:
	v_add_u32_e32 v120, -8, v0
	s_movk_i32 s22, 0x210
	s_mov_b64 s[6:7], 0
.LBB56_483:                             ; =>This Inner Loop Header: Depth=1
	v_mov_b32_e32 v123, s21
	buffer_load_dword v121, v123, s[0:3], 0 offen
	buffer_load_dword v122, v123, s[0:3], 0 offen offset:4
	v_mov_b32_e32 v123, s22
	ds_read_b64 v[123:124], v123
	v_add_u32_e32 v120, -1, v120
	s_add_i32 s22, s22, 8
	s_add_i32 s21, s21, 8
	v_cmp_eq_u32_e32 vcc, 0, v120
	s_or_b64 s[6:7], vcc, s[6:7]
	s_waitcnt vmcnt(0) lgkmcnt(0)
	v_fma_f64 v[115:116], v[121:122], v[123:124], v[115:116]
	s_andn2_b64 exec, exec, s[6:7]
	s_cbranch_execnz .LBB56_483
; %bb.484:
	s_or_b64 exec, exec, s[6:7]
.LBB56_485:
	s_or_b64 exec, exec, s[12:13]
	v_mov_b32_e32 v120, 0
	ds_read_b64 v[120:121], v120 offset:56
	s_waitcnt lgkmcnt(0)
	v_mul_f64 v[115:116], v[115:116], v[120:121]
	buffer_store_dword v116, off, s[0:3], 0 offset:60
	buffer_store_dword v115, off, s[0:3], 0 offset:56
.LBB56_486:
	s_or_b64 exec, exec, s[8:9]
	buffer_load_dword v115, off, s[0:3], 0 offset:48
	buffer_load_dword v116, off, s[0:3], 0 offset:52
	v_cmp_lt_u32_e64 s[6:7], 6, v0
	s_waitcnt vmcnt(0)
	ds_write_b64 v118, v[115:116]
	s_waitcnt lgkmcnt(0)
	; wave barrier
	s_and_saveexec_b64 s[8:9], s[6:7]
	s_cbranch_execz .LBB56_496
; %bb.487:
	s_andn2_b64 vcc, exec, s[10:11]
	s_cbranch_vccnz .LBB56_489
; %bb.488:
	buffer_load_dword v115, v119, s[0:3], 0 offen
	buffer_load_dword v116, v119, s[0:3], 0 offen offset:4
	ds_read_b64 v[120:121], v118
	s_waitcnt vmcnt(0) lgkmcnt(0)
	v_mul_f64 v[115:116], v[115:116], v[120:121]
	s_cbranch_execz .LBB56_490
	s_branch .LBB56_491
.LBB56_489:
                                        ; implicit-def: $vgpr115_vgpr116
.LBB56_490:
	ds_read_b64 v[115:116], v118
.LBB56_491:
	s_and_saveexec_b64 s[12:13], s[4:5]
	s_cbranch_execz .LBB56_495
; %bb.492:
	v_add_u32_e32 v120, -7, v0
	s_movk_i32 s21, 0x208
	s_mov_b64 s[4:5], 0
.LBB56_493:                             ; =>This Inner Loop Header: Depth=1
	v_mov_b32_e32 v123, s20
	buffer_load_dword v121, v123, s[0:3], 0 offen
	buffer_load_dword v122, v123, s[0:3], 0 offen offset:4
	v_mov_b32_e32 v123, s21
	ds_read_b64 v[123:124], v123
	v_add_u32_e32 v120, -1, v120
	s_add_i32 s21, s21, 8
	s_add_i32 s20, s20, 8
	v_cmp_eq_u32_e32 vcc, 0, v120
	s_or_b64 s[4:5], vcc, s[4:5]
	s_waitcnt vmcnt(0) lgkmcnt(0)
	v_fma_f64 v[115:116], v[121:122], v[123:124], v[115:116]
	s_andn2_b64 exec, exec, s[4:5]
	s_cbranch_execnz .LBB56_493
; %bb.494:
	s_or_b64 exec, exec, s[4:5]
.LBB56_495:
	s_or_b64 exec, exec, s[12:13]
	v_mov_b32_e32 v120, 0
	ds_read_b64 v[120:121], v120 offset:48
	s_waitcnt lgkmcnt(0)
	v_mul_f64 v[115:116], v[115:116], v[120:121]
	buffer_store_dword v116, off, s[0:3], 0 offset:52
	buffer_store_dword v115, off, s[0:3], 0 offset:48
.LBB56_496:
	s_or_b64 exec, exec, s[8:9]
	buffer_load_dword v115, off, s[0:3], 0 offset:40
	buffer_load_dword v116, off, s[0:3], 0 offset:44
	v_cmp_lt_u32_e64 s[4:5], 5, v0
	s_waitcnt vmcnt(0)
	ds_write_b64 v118, v[115:116]
	s_waitcnt lgkmcnt(0)
	; wave barrier
	s_and_saveexec_b64 s[8:9], s[4:5]
	s_cbranch_execz .LBB56_506
; %bb.497:
	s_andn2_b64 vcc, exec, s[10:11]
	s_cbranch_vccnz .LBB56_499
; %bb.498:
	buffer_load_dword v115, v119, s[0:3], 0 offen
	buffer_load_dword v116, v119, s[0:3], 0 offen offset:4
	ds_read_b64 v[120:121], v118
	s_waitcnt vmcnt(0) lgkmcnt(0)
	v_mul_f64 v[115:116], v[115:116], v[120:121]
	s_cbranch_execz .LBB56_500
	s_branch .LBB56_501
.LBB56_499:
                                        ; implicit-def: $vgpr115_vgpr116
.LBB56_500:
	ds_read_b64 v[115:116], v118
.LBB56_501:
	s_and_saveexec_b64 s[12:13], s[6:7]
	s_cbranch_execz .LBB56_505
; %bb.502:
	v_add_u32_e32 v120, -6, v0
	s_movk_i32 s20, 0x200
	s_mov_b64 s[6:7], 0
.LBB56_503:                             ; =>This Inner Loop Header: Depth=1
	v_mov_b32_e32 v123, s19
	buffer_load_dword v121, v123, s[0:3], 0 offen
	buffer_load_dword v122, v123, s[0:3], 0 offen offset:4
	v_mov_b32_e32 v123, s20
	ds_read_b64 v[123:124], v123
	v_add_u32_e32 v120, -1, v120
	s_add_i32 s20, s20, 8
	s_add_i32 s19, s19, 8
	v_cmp_eq_u32_e32 vcc, 0, v120
	s_or_b64 s[6:7], vcc, s[6:7]
	s_waitcnt vmcnt(0) lgkmcnt(0)
	v_fma_f64 v[115:116], v[121:122], v[123:124], v[115:116]
	s_andn2_b64 exec, exec, s[6:7]
	s_cbranch_execnz .LBB56_503
; %bb.504:
	s_or_b64 exec, exec, s[6:7]
.LBB56_505:
	s_or_b64 exec, exec, s[12:13]
	v_mov_b32_e32 v120, 0
	ds_read_b64 v[120:121], v120 offset:40
	s_waitcnt lgkmcnt(0)
	v_mul_f64 v[115:116], v[115:116], v[120:121]
	buffer_store_dword v116, off, s[0:3], 0 offset:44
	buffer_store_dword v115, off, s[0:3], 0 offset:40
.LBB56_506:
	s_or_b64 exec, exec, s[8:9]
	buffer_load_dword v115, off, s[0:3], 0 offset:32
	buffer_load_dword v116, off, s[0:3], 0 offset:36
	v_cmp_lt_u32_e64 s[6:7], 4, v0
	s_waitcnt vmcnt(0)
	ds_write_b64 v118, v[115:116]
	s_waitcnt lgkmcnt(0)
	; wave barrier
	s_and_saveexec_b64 s[8:9], s[6:7]
	s_cbranch_execz .LBB56_516
; %bb.507:
	s_andn2_b64 vcc, exec, s[10:11]
	s_cbranch_vccnz .LBB56_509
; %bb.508:
	buffer_load_dword v115, v119, s[0:3], 0 offen
	buffer_load_dword v116, v119, s[0:3], 0 offen offset:4
	ds_read_b64 v[120:121], v118
	s_waitcnt vmcnt(0) lgkmcnt(0)
	v_mul_f64 v[115:116], v[115:116], v[120:121]
	s_cbranch_execz .LBB56_510
	s_branch .LBB56_511
.LBB56_509:
                                        ; implicit-def: $vgpr115_vgpr116
.LBB56_510:
	ds_read_b64 v[115:116], v118
.LBB56_511:
	s_and_saveexec_b64 s[12:13], s[4:5]
	s_cbranch_execz .LBB56_515
; %bb.512:
	v_add_u32_e32 v120, -5, v0
	s_movk_i32 s19, 0x1f8
	s_mov_b64 s[4:5], 0
.LBB56_513:                             ; =>This Inner Loop Header: Depth=1
	v_mov_b32_e32 v123, s18
	buffer_load_dword v121, v123, s[0:3], 0 offen
	buffer_load_dword v122, v123, s[0:3], 0 offen offset:4
	v_mov_b32_e32 v123, s19
	ds_read_b64 v[123:124], v123
	v_add_u32_e32 v120, -1, v120
	s_add_i32 s19, s19, 8
	s_add_i32 s18, s18, 8
	v_cmp_eq_u32_e32 vcc, 0, v120
	s_or_b64 s[4:5], vcc, s[4:5]
	s_waitcnt vmcnt(0) lgkmcnt(0)
	v_fma_f64 v[115:116], v[121:122], v[123:124], v[115:116]
	s_andn2_b64 exec, exec, s[4:5]
	s_cbranch_execnz .LBB56_513
; %bb.514:
	s_or_b64 exec, exec, s[4:5]
.LBB56_515:
	s_or_b64 exec, exec, s[12:13]
	v_mov_b32_e32 v120, 0
	ds_read_b64 v[120:121], v120 offset:32
	s_waitcnt lgkmcnt(0)
	v_mul_f64 v[115:116], v[115:116], v[120:121]
	buffer_store_dword v116, off, s[0:3], 0 offset:36
	buffer_store_dword v115, off, s[0:3], 0 offset:32
.LBB56_516:
	s_or_b64 exec, exec, s[8:9]
	buffer_load_dword v115, off, s[0:3], 0 offset:24
	buffer_load_dword v116, off, s[0:3], 0 offset:28
	v_cmp_lt_u32_e64 s[4:5], 3, v0
	s_waitcnt vmcnt(0)
	ds_write_b64 v118, v[115:116]
	s_waitcnt lgkmcnt(0)
	; wave barrier
	s_and_saveexec_b64 s[8:9], s[4:5]
	s_cbranch_execz .LBB56_526
; %bb.517:
	s_andn2_b64 vcc, exec, s[10:11]
	s_cbranch_vccnz .LBB56_519
; %bb.518:
	buffer_load_dword v115, v119, s[0:3], 0 offen
	buffer_load_dword v116, v119, s[0:3], 0 offen offset:4
	ds_read_b64 v[120:121], v118
	s_waitcnt vmcnt(0) lgkmcnt(0)
	v_mul_f64 v[115:116], v[115:116], v[120:121]
	s_cbranch_execz .LBB56_520
	s_branch .LBB56_521
.LBB56_519:
                                        ; implicit-def: $vgpr115_vgpr116
.LBB56_520:
	ds_read_b64 v[115:116], v118
.LBB56_521:
	s_and_saveexec_b64 s[12:13], s[6:7]
	s_cbranch_execz .LBB56_525
; %bb.522:
	v_add_u32_e32 v120, -4, v0
	s_movk_i32 s18, 0x1f0
	s_mov_b64 s[6:7], 0
.LBB56_523:                             ; =>This Inner Loop Header: Depth=1
	v_mov_b32_e32 v123, s17
	buffer_load_dword v121, v123, s[0:3], 0 offen
	buffer_load_dword v122, v123, s[0:3], 0 offen offset:4
	v_mov_b32_e32 v123, s18
	ds_read_b64 v[123:124], v123
	v_add_u32_e32 v120, -1, v120
	s_add_i32 s18, s18, 8
	s_add_i32 s17, s17, 8
	v_cmp_eq_u32_e32 vcc, 0, v120
	s_or_b64 s[6:7], vcc, s[6:7]
	s_waitcnt vmcnt(0) lgkmcnt(0)
	v_fma_f64 v[115:116], v[121:122], v[123:124], v[115:116]
	s_andn2_b64 exec, exec, s[6:7]
	s_cbranch_execnz .LBB56_523
; %bb.524:
	s_or_b64 exec, exec, s[6:7]
.LBB56_525:
	s_or_b64 exec, exec, s[12:13]
	v_mov_b32_e32 v120, 0
	ds_read_b64 v[120:121], v120 offset:24
	s_waitcnt lgkmcnt(0)
	v_mul_f64 v[115:116], v[115:116], v[120:121]
	buffer_store_dword v116, off, s[0:3], 0 offset:28
	buffer_store_dword v115, off, s[0:3], 0 offset:24
.LBB56_526:
	s_or_b64 exec, exec, s[8:9]
	buffer_load_dword v115, off, s[0:3], 0 offset:16
	buffer_load_dword v116, off, s[0:3], 0 offset:20
	v_cmp_lt_u32_e64 s[6:7], 2, v0
	s_waitcnt vmcnt(0)
	ds_write_b64 v118, v[115:116]
	s_waitcnt lgkmcnt(0)
	; wave barrier
	s_and_saveexec_b64 s[8:9], s[6:7]
	s_cbranch_execz .LBB56_536
; %bb.527:
	s_andn2_b64 vcc, exec, s[10:11]
	s_cbranch_vccnz .LBB56_529
; %bb.528:
	buffer_load_dword v115, v119, s[0:3], 0 offen
	buffer_load_dword v116, v119, s[0:3], 0 offen offset:4
	ds_read_b64 v[120:121], v118
	s_waitcnt vmcnt(0) lgkmcnt(0)
	v_mul_f64 v[115:116], v[115:116], v[120:121]
	s_cbranch_execz .LBB56_530
	s_branch .LBB56_531
.LBB56_529:
                                        ; implicit-def: $vgpr115_vgpr116
.LBB56_530:
	ds_read_b64 v[115:116], v118
.LBB56_531:
	s_and_saveexec_b64 s[12:13], s[4:5]
	s_cbranch_execz .LBB56_535
; %bb.532:
	v_add_u32_e32 v120, -3, v0
	s_movk_i32 s17, 0x1e8
	s_mov_b64 s[4:5], 0
.LBB56_533:                             ; =>This Inner Loop Header: Depth=1
	v_mov_b32_e32 v123, s16
	buffer_load_dword v121, v123, s[0:3], 0 offen
	buffer_load_dword v122, v123, s[0:3], 0 offen offset:4
	v_mov_b32_e32 v123, s17
	ds_read_b64 v[123:124], v123
	v_add_u32_e32 v120, -1, v120
	s_add_i32 s17, s17, 8
	s_add_i32 s16, s16, 8
	v_cmp_eq_u32_e32 vcc, 0, v120
	s_or_b64 s[4:5], vcc, s[4:5]
	s_waitcnt vmcnt(0) lgkmcnt(0)
	v_fma_f64 v[115:116], v[121:122], v[123:124], v[115:116]
	s_andn2_b64 exec, exec, s[4:5]
	s_cbranch_execnz .LBB56_533
; %bb.534:
	s_or_b64 exec, exec, s[4:5]
.LBB56_535:
	s_or_b64 exec, exec, s[12:13]
	v_mov_b32_e32 v120, 0
	ds_read_b64 v[120:121], v120 offset:16
	s_waitcnt lgkmcnt(0)
	v_mul_f64 v[115:116], v[115:116], v[120:121]
	buffer_store_dword v116, off, s[0:3], 0 offset:20
	buffer_store_dword v115, off, s[0:3], 0 offset:16
.LBB56_536:
	s_or_b64 exec, exec, s[8:9]
	buffer_load_dword v115, off, s[0:3], 0 offset:8
	buffer_load_dword v116, off, s[0:3], 0 offset:12
	v_cmp_lt_u32_e64 s[4:5], 1, v0
	s_waitcnt vmcnt(0)
	ds_write_b64 v118, v[115:116]
	s_waitcnt lgkmcnt(0)
	; wave barrier
	s_and_saveexec_b64 s[8:9], s[4:5]
	s_cbranch_execz .LBB56_546
; %bb.537:
	s_andn2_b64 vcc, exec, s[10:11]
	s_cbranch_vccnz .LBB56_539
; %bb.538:
	buffer_load_dword v115, v119, s[0:3], 0 offen
	buffer_load_dword v116, v119, s[0:3], 0 offen offset:4
	ds_read_b64 v[120:121], v118
	s_waitcnt vmcnt(0) lgkmcnt(0)
	v_mul_f64 v[115:116], v[115:116], v[120:121]
	s_cbranch_execz .LBB56_540
	s_branch .LBB56_541
.LBB56_539:
                                        ; implicit-def: $vgpr115_vgpr116
.LBB56_540:
	ds_read_b64 v[115:116], v118
.LBB56_541:
	s_and_saveexec_b64 s[12:13], s[6:7]
	s_cbranch_execz .LBB56_545
; %bb.542:
	v_add_u32_e32 v120, -2, v0
	s_movk_i32 s16, 0x1e0
	s_mov_b64 s[6:7], 0
.LBB56_543:                             ; =>This Inner Loop Header: Depth=1
	v_mov_b32_e32 v123, s15
	buffer_load_dword v121, v123, s[0:3], 0 offen
	buffer_load_dword v122, v123, s[0:3], 0 offen offset:4
	v_mov_b32_e32 v123, s16
	ds_read_b64 v[123:124], v123
	v_add_u32_e32 v120, -1, v120
	s_add_i32 s16, s16, 8
	s_add_i32 s15, s15, 8
	v_cmp_eq_u32_e32 vcc, 0, v120
	s_or_b64 s[6:7], vcc, s[6:7]
	s_waitcnt vmcnt(0) lgkmcnt(0)
	v_fma_f64 v[115:116], v[121:122], v[123:124], v[115:116]
	s_andn2_b64 exec, exec, s[6:7]
	s_cbranch_execnz .LBB56_543
; %bb.544:
	s_or_b64 exec, exec, s[6:7]
.LBB56_545:
	s_or_b64 exec, exec, s[12:13]
	v_mov_b32_e32 v120, 0
	ds_read_b64 v[120:121], v120 offset:8
	s_waitcnt lgkmcnt(0)
	v_mul_f64 v[115:116], v[115:116], v[120:121]
	buffer_store_dword v116, off, s[0:3], 0 offset:12
	buffer_store_dword v115, off, s[0:3], 0 offset:8
.LBB56_546:
	s_or_b64 exec, exec, s[8:9]
	buffer_load_dword v115, off, s[0:3], 0
	buffer_load_dword v116, off, s[0:3], 0 offset:4
	v_cmp_ne_u32_e32 vcc, 0, v0
	s_waitcnt vmcnt(0)
	ds_write_b64 v118, v[115:116]
	s_waitcnt lgkmcnt(0)
	; wave barrier
	s_and_saveexec_b64 s[6:7], vcc
	s_cbranch_execz .LBB56_556
; %bb.547:
	s_andn2_b64 vcc, exec, s[10:11]
	s_cbranch_vccnz .LBB56_549
; %bb.548:
	buffer_load_dword v115, v119, s[0:3], 0 offen
	buffer_load_dword v116, v119, s[0:3], 0 offen offset:4
	ds_read_b64 v[120:121], v118
	s_waitcnt vmcnt(0) lgkmcnt(0)
	v_mul_f64 v[115:116], v[115:116], v[120:121]
	s_cbranch_execz .LBB56_550
	s_branch .LBB56_551
.LBB56_549:
                                        ; implicit-def: $vgpr115_vgpr116
.LBB56_550:
	ds_read_b64 v[115:116], v118
.LBB56_551:
	s_and_saveexec_b64 s[8:9], s[4:5]
	s_cbranch_execz .LBB56_555
; %bb.552:
	v_add_u32_e32 v120, -1, v0
	s_movk_i32 s12, 0x1d8
	s_mov_b64 s[4:5], 0
.LBB56_553:                             ; =>This Inner Loop Header: Depth=1
	v_mov_b32_e32 v123, s14
	buffer_load_dword v121, v123, s[0:3], 0 offen
	buffer_load_dword v122, v123, s[0:3], 0 offen offset:4
	v_mov_b32_e32 v123, s12
	ds_read_b64 v[123:124], v123
	v_add_u32_e32 v120, -1, v120
	s_add_i32 s12, s12, 8
	s_add_i32 s14, s14, 8
	v_cmp_eq_u32_e32 vcc, 0, v120
	s_or_b64 s[4:5], vcc, s[4:5]
	s_waitcnt vmcnt(0) lgkmcnt(0)
	v_fma_f64 v[115:116], v[121:122], v[123:124], v[115:116]
	s_andn2_b64 exec, exec, s[4:5]
	s_cbranch_execnz .LBB56_553
; %bb.554:
	s_or_b64 exec, exec, s[4:5]
.LBB56_555:
	s_or_b64 exec, exec, s[8:9]
	v_mov_b32_e32 v120, 0
	ds_read_b64 v[120:121], v120
	s_waitcnt lgkmcnt(0)
	v_mul_f64 v[115:116], v[115:116], v[120:121]
	buffer_store_dword v116, off, s[0:3], 0 offset:4
	buffer_store_dword v115, off, s[0:3], 0
.LBB56_556:
	s_or_b64 exec, exec, s[6:7]
	s_mov_b64 s[4:5], 0
.LBB56_557:
	s_and_b64 vcc, exec, s[4:5]
	s_cbranch_vccz .LBB56_1109
; %bb.558:
	buffer_load_dword v115, off, s[0:3], 0 offset:8
	buffer_load_dword v116, off, s[0:3], 0 offset:12
	v_cmp_eq_u32_e64 s[6:7], 0, v0
	s_waitcnt vmcnt(0)
	ds_write_b64 v118, v[115:116]
	s_waitcnt lgkmcnt(0)
	; wave barrier
	s_and_saveexec_b64 s[4:5], s[6:7]
	s_cbranch_execz .LBB56_564
; %bb.559:
	s_and_b64 vcc, exec, s[10:11]
	s_cbranch_vccz .LBB56_561
; %bb.560:
	buffer_load_dword v115, v119, s[0:3], 0 offen
	buffer_load_dword v116, v119, s[0:3], 0 offen offset:4
	ds_read_b64 v[120:121], v118
	s_waitcnt vmcnt(0) lgkmcnt(0)
	v_mul_f64 v[115:116], v[115:116], v[120:121]
	s_cbranch_execz .LBB56_562
	s_branch .LBB56_563
.LBB56_561:
                                        ; implicit-def: $vgpr115_vgpr116
.LBB56_562:
	ds_read_b64 v[115:116], v118
.LBB56_563:
	v_mov_b32_e32 v120, 0
	ds_read_b64 v[120:121], v120 offset:8
	s_waitcnt lgkmcnt(0)
	v_mul_f64 v[115:116], v[115:116], v[120:121]
	buffer_store_dword v116, off, s[0:3], 0 offset:12
	buffer_store_dword v115, off, s[0:3], 0 offset:8
.LBB56_564:
	s_or_b64 exec, exec, s[4:5]
	buffer_load_dword v115, off, s[0:3], 0 offset:16
	buffer_load_dword v116, off, s[0:3], 0 offset:20
	v_cndmask_b32_e64 v120, 0, 1, s[10:11]
	v_cmp_gt_u32_e32 vcc, 2, v0
	v_cmp_ne_u32_e64 s[4:5], 1, v120
	s_waitcnt vmcnt(0)
	ds_write_b64 v118, v[115:116]
	s_waitcnt lgkmcnt(0)
	; wave barrier
	s_and_saveexec_b64 s[8:9], vcc
	s_cbranch_execz .LBB56_570
; %bb.565:
	s_and_b64 vcc, exec, s[4:5]
	s_cbranch_vccnz .LBB56_567
; %bb.566:
	buffer_load_dword v115, v119, s[0:3], 0 offen
	buffer_load_dword v116, v119, s[0:3], 0 offen offset:4
	ds_read_b64 v[120:121], v118
	s_waitcnt vmcnt(0) lgkmcnt(0)
	v_mul_f64 v[115:116], v[115:116], v[120:121]
	s_cbranch_execz .LBB56_568
	s_branch .LBB56_569
.LBB56_567:
                                        ; implicit-def: $vgpr115_vgpr116
.LBB56_568:
	ds_read_b64 v[115:116], v118
.LBB56_569:
	buffer_load_dword v124, off, s[0:3], 0 offset:8
	buffer_load_dword v125, off, s[0:3], 0 offset:12
	v_mov_b32_e32 v120, 0
	ds_read2_b64 v[120:123], v120 offset0:2 offset1:59
	s_waitcnt vmcnt(0) lgkmcnt(0)
	v_fma_f64 v[122:123], v[124:125], v[122:123], v[115:116]
	v_cndmask_b32_e64 v116, v116, v123, s[6:7]
	v_cndmask_b32_e64 v115, v115, v122, s[6:7]
	v_mul_f64 v[115:116], v[115:116], v[120:121]
	buffer_store_dword v116, off, s[0:3], 0 offset:20
	buffer_store_dword v115, off, s[0:3], 0 offset:16
.LBB56_570:
	s_or_b64 exec, exec, s[8:9]
	buffer_load_dword v115, off, s[0:3], 0 offset:24
	buffer_load_dword v116, off, s[0:3], 0 offset:28
	v_cmp_gt_u32_e32 vcc, 3, v0
	s_waitcnt vmcnt(0)
	ds_write_b64 v118, v[115:116]
	s_waitcnt lgkmcnt(0)
	; wave barrier
	s_and_saveexec_b64 s[8:9], vcc
	s_cbranch_execz .LBB56_578
; %bb.571:
	s_and_b64 vcc, exec, s[4:5]
	s_cbranch_vccnz .LBB56_573
; %bb.572:
	buffer_load_dword v115, v119, s[0:3], 0 offen
	buffer_load_dword v116, v119, s[0:3], 0 offen offset:4
	ds_read_b64 v[120:121], v118
	s_waitcnt vmcnt(0) lgkmcnt(0)
	v_mul_f64 v[115:116], v[115:116], v[120:121]
	s_cbranch_execz .LBB56_574
	s_branch .LBB56_575
.LBB56_573:
                                        ; implicit-def: $vgpr115_vgpr116
.LBB56_574:
	ds_read_b64 v[115:116], v118
.LBB56_575:
	v_cmp_ne_u32_e32 vcc, 2, v0
	s_and_saveexec_b64 s[10:11], vcc
	s_cbranch_execz .LBB56_577
; %bb.576:
	buffer_load_dword v120, v119, s[0:3], 0 offen offset:8
	buffer_load_dword v121, v119, s[0:3], 0 offen offset:12
	buffer_load_dword v122, off, s[0:3], 0 offset:16
	buffer_load_dword v123, off, s[0:3], 0 offset:20
	ds_read_b64 v[124:125], v118 offset:8
	v_mov_b32_e32 v126, 0
	ds_read_b64 v[126:127], v126 offset:480
	s_waitcnt vmcnt(2) lgkmcnt(1)
	v_fma_f64 v[115:116], v[120:121], v[124:125], v[115:116]
	s_waitcnt vmcnt(0) lgkmcnt(0)
	v_fma_f64 v[120:121], v[122:123], v[126:127], v[115:116]
	v_cndmask_b32_e64 v116, v116, v121, s[6:7]
	v_cndmask_b32_e64 v115, v115, v120, s[6:7]
.LBB56_577:
	s_or_b64 exec, exec, s[10:11]
	v_mov_b32_e32 v120, 0
	ds_read_b64 v[120:121], v120 offset:24
	s_waitcnt lgkmcnt(0)
	v_mul_f64 v[115:116], v[115:116], v[120:121]
	buffer_store_dword v116, off, s[0:3], 0 offset:28
	buffer_store_dword v115, off, s[0:3], 0 offset:24
.LBB56_578:
	s_or_b64 exec, exec, s[8:9]
	buffer_load_dword v115, off, s[0:3], 0 offset:32
	buffer_load_dword v116, off, s[0:3], 0 offset:36
	v_cmp_gt_u32_e32 vcc, 4, v0
	s_waitcnt vmcnt(0)
	ds_write_b64 v118, v[115:116]
	s_waitcnt lgkmcnt(0)
	; wave barrier
	s_and_saveexec_b64 s[6:7], vcc
	s_cbranch_execz .LBB56_588
; %bb.579:
	s_and_b64 vcc, exec, s[4:5]
	s_cbranch_vccnz .LBB56_581
; %bb.580:
	buffer_load_dword v115, v119, s[0:3], 0 offen
	buffer_load_dword v116, v119, s[0:3], 0 offen offset:4
	ds_read_b64 v[120:121], v118
	s_waitcnt vmcnt(0) lgkmcnt(0)
	v_mul_f64 v[115:116], v[115:116], v[120:121]
	s_cbranch_execz .LBB56_582
	s_branch .LBB56_583
.LBB56_581:
                                        ; implicit-def: $vgpr115_vgpr116
.LBB56_582:
	ds_read_b64 v[115:116], v118
.LBB56_583:
	v_cmp_ne_u32_e32 vcc, 3, v0
	s_and_saveexec_b64 s[8:9], vcc
	s_cbranch_execz .LBB56_587
; %bb.584:
	s_mov_b32 s10, 0
	v_add_u32_e32 v120, 0x1d8, v117
	v_add3_u32 v121, v117, s10, 8
	s_mov_b64 s[10:11], 0
	v_mov_b32_e32 v122, v0
.LBB56_585:                             ; =>This Inner Loop Header: Depth=1
	buffer_load_dword v123, v121, s[0:3], 0 offen
	buffer_load_dword v124, v121, s[0:3], 0 offen offset:4
	ds_read_b64 v[125:126], v120
	v_add_u32_e32 v122, 1, v122
	v_cmp_lt_u32_e32 vcc, 2, v122
	v_add_u32_e32 v120, 8, v120
	s_or_b64 s[10:11], vcc, s[10:11]
	v_add_u32_e32 v121, 8, v121
	s_waitcnt vmcnt(0) lgkmcnt(0)
	v_fma_f64 v[115:116], v[123:124], v[125:126], v[115:116]
	s_andn2_b64 exec, exec, s[10:11]
	s_cbranch_execnz .LBB56_585
; %bb.586:
	s_or_b64 exec, exec, s[10:11]
.LBB56_587:
	s_or_b64 exec, exec, s[8:9]
	v_mov_b32_e32 v120, 0
	ds_read_b64 v[120:121], v120 offset:32
	s_waitcnt lgkmcnt(0)
	v_mul_f64 v[115:116], v[115:116], v[120:121]
	buffer_store_dword v116, off, s[0:3], 0 offset:36
	buffer_store_dword v115, off, s[0:3], 0 offset:32
.LBB56_588:
	s_or_b64 exec, exec, s[6:7]
	buffer_load_dword v115, off, s[0:3], 0 offset:40
	buffer_load_dword v116, off, s[0:3], 0 offset:44
	v_cmp_gt_u32_e32 vcc, 5, v0
	s_waitcnt vmcnt(0)
	ds_write_b64 v118, v[115:116]
	s_waitcnt lgkmcnt(0)
	; wave barrier
	s_and_saveexec_b64 s[6:7], vcc
	s_cbranch_execz .LBB56_598
; %bb.589:
	s_and_b64 vcc, exec, s[4:5]
	s_cbranch_vccnz .LBB56_591
; %bb.590:
	buffer_load_dword v115, v119, s[0:3], 0 offen
	buffer_load_dword v116, v119, s[0:3], 0 offen offset:4
	ds_read_b64 v[120:121], v118
	s_waitcnt vmcnt(0) lgkmcnt(0)
	v_mul_f64 v[115:116], v[115:116], v[120:121]
	s_cbranch_execz .LBB56_592
	s_branch .LBB56_593
.LBB56_591:
                                        ; implicit-def: $vgpr115_vgpr116
.LBB56_592:
	ds_read_b64 v[115:116], v118
.LBB56_593:
	v_cmp_ne_u32_e32 vcc, 4, v0
	s_and_saveexec_b64 s[8:9], vcc
	s_cbranch_execz .LBB56_597
; %bb.594:
	s_mov_b32 s10, 0
	v_add_u32_e32 v120, 0x1d8, v117
	v_add3_u32 v121, v117, s10, 8
	s_mov_b64 s[10:11], 0
	v_mov_b32_e32 v122, v0
.LBB56_595:                             ; =>This Inner Loop Header: Depth=1
	buffer_load_dword v123, v121, s[0:3], 0 offen
	buffer_load_dword v124, v121, s[0:3], 0 offen offset:4
	ds_read_b64 v[125:126], v120
	v_add_u32_e32 v122, 1, v122
	v_cmp_lt_u32_e32 vcc, 3, v122
	v_add_u32_e32 v120, 8, v120
	s_or_b64 s[10:11], vcc, s[10:11]
	v_add_u32_e32 v121, 8, v121
	s_waitcnt vmcnt(0) lgkmcnt(0)
	v_fma_f64 v[115:116], v[123:124], v[125:126], v[115:116]
	s_andn2_b64 exec, exec, s[10:11]
	s_cbranch_execnz .LBB56_595
; %bb.596:
	s_or_b64 exec, exec, s[10:11]
.LBB56_597:
	s_or_b64 exec, exec, s[8:9]
	v_mov_b32_e32 v120, 0
	ds_read_b64 v[120:121], v120 offset:40
	s_waitcnt lgkmcnt(0)
	v_mul_f64 v[115:116], v[115:116], v[120:121]
	buffer_store_dword v116, off, s[0:3], 0 offset:44
	buffer_store_dword v115, off, s[0:3], 0 offset:40
.LBB56_598:
	;; [unrolled: 59-line block ×42, first 2 shown]
	s_or_b64 exec, exec, s[6:7]
	buffer_load_dword v115, off, s[0:3], 0 offset:368
	buffer_load_dword v116, off, s[0:3], 0 offset:372
	v_cmp_gt_u32_e32 vcc, 46, v0
	s_waitcnt vmcnt(0)
	ds_write_b64 v118, v[115:116]
	s_waitcnt lgkmcnt(0)
	; wave barrier
	s_and_saveexec_b64 s[6:7], vcc
	s_cbranch_execz .LBB56_1008
; %bb.999:
	s_and_b64 vcc, exec, s[4:5]
	s_cbranch_vccnz .LBB56_1001
; %bb.1000:
	buffer_load_dword v115, v119, s[0:3], 0 offen
	buffer_load_dword v116, v119, s[0:3], 0 offen offset:4
	ds_read_b64 v[120:121], v118
	s_waitcnt vmcnt(0) lgkmcnt(0)
	v_mul_f64 v[115:116], v[115:116], v[120:121]
	s_cbranch_execz .LBB56_1002
	s_branch .LBB56_1003
.LBB56_1001:
                                        ; implicit-def: $vgpr115_vgpr116
.LBB56_1002:
	ds_read_b64 v[115:116], v118
.LBB56_1003:
	v_cmp_ne_u32_e32 vcc, 45, v0
	s_and_saveexec_b64 s[8:9], vcc
	s_cbranch_execz .LBB56_1007
; %bb.1004:
	s_mov_b32 s10, 0
	v_add_u32_e32 v120, 0x1d8, v117
	v_add3_u32 v121, v117, s10, 8
	s_mov_b64 s[10:11], 0
	v_mov_b32_e32 v122, v0
.LBB56_1005:                            ; =>This Inner Loop Header: Depth=1
	buffer_load_dword v123, v121, s[0:3], 0 offen
	buffer_load_dword v124, v121, s[0:3], 0 offen offset:4
	ds_read_b64 v[125:126], v120
	v_add_u32_e32 v122, 1, v122
	v_cmp_lt_u32_e32 vcc, 44, v122
	v_add_u32_e32 v120, 8, v120
	s_or_b64 s[10:11], vcc, s[10:11]
	v_add_u32_e32 v121, 8, v121
	s_waitcnt vmcnt(0) lgkmcnt(0)
	v_fma_f64 v[115:116], v[123:124], v[125:126], v[115:116]
	s_andn2_b64 exec, exec, s[10:11]
	s_cbranch_execnz .LBB56_1005
; %bb.1006:
	s_or_b64 exec, exec, s[10:11]
.LBB56_1007:
	s_or_b64 exec, exec, s[8:9]
	v_mov_b32_e32 v120, 0
	ds_read_b64 v[120:121], v120 offset:368
	s_waitcnt lgkmcnt(0)
	v_mul_f64 v[115:116], v[115:116], v[120:121]
	buffer_store_dword v116, off, s[0:3], 0 offset:372
	buffer_store_dword v115, off, s[0:3], 0 offset:368
.LBB56_1008:
	s_or_b64 exec, exec, s[6:7]
	buffer_load_dword v115, off, s[0:3], 0 offset:376
	buffer_load_dword v116, off, s[0:3], 0 offset:380
	v_cmp_gt_u32_e32 vcc, 47, v0
	s_waitcnt vmcnt(0)
	ds_write_b64 v118, v[115:116]
	s_waitcnt lgkmcnt(0)
	; wave barrier
	s_and_saveexec_b64 s[6:7], vcc
	s_cbranch_execz .LBB56_1018
; %bb.1009:
	s_and_b64 vcc, exec, s[4:5]
	s_cbranch_vccnz .LBB56_1011
; %bb.1010:
	buffer_load_dword v115, v119, s[0:3], 0 offen
	buffer_load_dword v116, v119, s[0:3], 0 offen offset:4
	ds_read_b64 v[120:121], v118
	s_waitcnt vmcnt(0) lgkmcnt(0)
	v_mul_f64 v[115:116], v[115:116], v[120:121]
	s_cbranch_execz .LBB56_1012
	s_branch .LBB56_1013
.LBB56_1011:
                                        ; implicit-def: $vgpr115_vgpr116
.LBB56_1012:
	ds_read_b64 v[115:116], v118
.LBB56_1013:
	v_cmp_ne_u32_e32 vcc, 46, v0
	s_and_saveexec_b64 s[8:9], vcc
	s_cbranch_execz .LBB56_1017
; %bb.1014:
	s_mov_b32 s10, 0
	v_add_u32_e32 v120, 0x1d8, v117
	v_add3_u32 v121, v117, s10, 8
	s_mov_b64 s[10:11], 0
	v_mov_b32_e32 v122, v0
.LBB56_1015:                            ; =>This Inner Loop Header: Depth=1
	buffer_load_dword v123, v121, s[0:3], 0 offen
	buffer_load_dword v124, v121, s[0:3], 0 offen offset:4
	ds_read_b64 v[125:126], v120
	v_add_u32_e32 v122, 1, v122
	v_cmp_lt_u32_e32 vcc, 45, v122
	v_add_u32_e32 v120, 8, v120
	s_or_b64 s[10:11], vcc, s[10:11]
	v_add_u32_e32 v121, 8, v121
	s_waitcnt vmcnt(0) lgkmcnt(0)
	v_fma_f64 v[115:116], v[123:124], v[125:126], v[115:116]
	s_andn2_b64 exec, exec, s[10:11]
	s_cbranch_execnz .LBB56_1015
; %bb.1016:
	s_or_b64 exec, exec, s[10:11]
.LBB56_1017:
	s_or_b64 exec, exec, s[8:9]
	v_mov_b32_e32 v120, 0
	ds_read_b64 v[120:121], v120 offset:376
	s_waitcnt lgkmcnt(0)
	v_mul_f64 v[115:116], v[115:116], v[120:121]
	buffer_store_dword v116, off, s[0:3], 0 offset:380
	buffer_store_dword v115, off, s[0:3], 0 offset:376
.LBB56_1018:
	;; [unrolled: 59-line block ×9, first 2 shown]
	s_or_b64 exec, exec, s[6:7]
	buffer_load_dword v115, off, s[0:3], 0 offset:440
	buffer_load_dword v116, off, s[0:3], 0 offset:444
	v_cmp_gt_u32_e64 s[6:7], 55, v0
	s_waitcnt vmcnt(0)
	ds_write_b64 v118, v[115:116]
	s_waitcnt lgkmcnt(0)
	; wave barrier
	s_and_saveexec_b64 s[8:9], s[6:7]
	s_cbranch_execz .LBB56_1098
; %bb.1089:
	s_and_b64 vcc, exec, s[4:5]
	s_cbranch_vccnz .LBB56_1091
; %bb.1090:
	buffer_load_dword v115, v119, s[0:3], 0 offen
	buffer_load_dword v116, v119, s[0:3], 0 offen offset:4
	ds_read_b64 v[120:121], v118
	s_waitcnt vmcnt(0) lgkmcnt(0)
	v_mul_f64 v[115:116], v[115:116], v[120:121]
	s_cbranch_execz .LBB56_1092
	s_branch .LBB56_1093
.LBB56_1091:
                                        ; implicit-def: $vgpr115_vgpr116
.LBB56_1092:
	ds_read_b64 v[115:116], v118
.LBB56_1093:
	v_cmp_ne_u32_e32 vcc, 54, v0
	s_and_saveexec_b64 s[10:11], vcc
	s_cbranch_execz .LBB56_1097
; %bb.1094:
	s_mov_b32 s12, 0
	v_add_u32_e32 v120, 0x1d8, v117
	v_add3_u32 v121, v117, s12, 8
	s_mov_b64 s[12:13], 0
	v_mov_b32_e32 v122, v0
.LBB56_1095:                            ; =>This Inner Loop Header: Depth=1
	buffer_load_dword v123, v121, s[0:3], 0 offen
	buffer_load_dword v124, v121, s[0:3], 0 offen offset:4
	ds_read_b64 v[125:126], v120
	v_add_u32_e32 v122, 1, v122
	v_cmp_lt_u32_e32 vcc, 53, v122
	v_add_u32_e32 v120, 8, v120
	s_or_b64 s[12:13], vcc, s[12:13]
	v_add_u32_e32 v121, 8, v121
	s_waitcnt vmcnt(0) lgkmcnt(0)
	v_fma_f64 v[115:116], v[123:124], v[125:126], v[115:116]
	s_andn2_b64 exec, exec, s[12:13]
	s_cbranch_execnz .LBB56_1095
; %bb.1096:
	s_or_b64 exec, exec, s[12:13]
.LBB56_1097:
	s_or_b64 exec, exec, s[10:11]
	v_mov_b32_e32 v120, 0
	ds_read_b64 v[120:121], v120 offset:440
	s_waitcnt lgkmcnt(0)
	v_mul_f64 v[115:116], v[115:116], v[120:121]
	buffer_store_dword v116, off, s[0:3], 0 offset:444
	buffer_store_dword v115, off, s[0:3], 0 offset:440
.LBB56_1098:
	s_or_b64 exec, exec, s[8:9]
	buffer_load_dword v115, off, s[0:3], 0 offset:448
	buffer_load_dword v116, off, s[0:3], 0 offset:452
	v_cmp_ne_u32_e32 vcc, 56, v0
	s_waitcnt vmcnt(0)
	ds_write_b64 v118, v[115:116]
	s_waitcnt lgkmcnt(0)
	; wave barrier
	s_and_saveexec_b64 s[8:9], vcc
	s_cbranch_execz .LBB56_1108
; %bb.1099:
	s_and_b64 vcc, exec, s[4:5]
	s_cbranch_vccnz .LBB56_1101
; %bb.1100:
	buffer_load_dword v115, v119, s[0:3], 0 offen
	buffer_load_dword v116, v119, s[0:3], 0 offen offset:4
	ds_read_b64 v[119:120], v118
	s_waitcnt vmcnt(0) lgkmcnt(0)
	v_mul_f64 v[115:116], v[115:116], v[119:120]
	s_cbranch_execz .LBB56_1102
	s_branch .LBB56_1103
.LBB56_1101:
                                        ; implicit-def: $vgpr115_vgpr116
.LBB56_1102:
	ds_read_b64 v[115:116], v118
.LBB56_1103:
	s_and_saveexec_b64 s[4:5], s[6:7]
	s_cbranch_execz .LBB56_1107
; %bb.1104:
	s_mov_b32 s6, 0
	v_add_u32_e32 v118, 0x1d8, v117
	v_add3_u32 v117, v117, s6, 8
	s_mov_b64 s[6:7], 0
.LBB56_1105:                            ; =>This Inner Loop Header: Depth=1
	buffer_load_dword v119, v117, s[0:3], 0 offen
	buffer_load_dword v120, v117, s[0:3], 0 offen offset:4
	ds_read_b64 v[121:122], v118
	v_add_u32_e32 v0, 1, v0
	v_cmp_lt_u32_e32 vcc, 54, v0
	v_add_u32_e32 v118, 8, v118
	s_or_b64 s[6:7], vcc, s[6:7]
	v_add_u32_e32 v117, 8, v117
	s_waitcnt vmcnt(0) lgkmcnt(0)
	v_fma_f64 v[115:116], v[119:120], v[121:122], v[115:116]
	s_andn2_b64 exec, exec, s[6:7]
	s_cbranch_execnz .LBB56_1105
; %bb.1106:
	s_or_b64 exec, exec, s[6:7]
.LBB56_1107:
	s_or_b64 exec, exec, s[4:5]
	v_mov_b32_e32 v0, 0
	ds_read_b64 v[117:118], v0 offset:448
	s_waitcnt lgkmcnt(0)
	v_mul_f64 v[115:116], v[115:116], v[117:118]
	buffer_store_dword v116, off, s[0:3], 0 offset:452
	buffer_store_dword v115, off, s[0:3], 0 offset:448
.LBB56_1108:
	s_or_b64 exec, exec, s[8:9]
.LBB56_1109:
	buffer_load_dword v115, off, s[0:3], 0
	buffer_load_dword v116, off, s[0:3], 0 offset:4
	buffer_load_dword v117, off, s[0:3], 0 offset:8
	;; [unrolled: 1-line block ×113, first 2 shown]
	s_waitcnt vmcnt(62)
	global_store_dwordx2 v[103:104], v[115:116], off
	global_store_dwordx2 v[107:108], v[117:118], off
	global_store_dwordx2 v[1:2], v[119:120], off
	global_store_dwordx2 v[3:4], v[121:122], off
	global_store_dwordx2 v[5:6], v[123:124], off
	global_store_dwordx2 v[7:8], v[125:126], off
	global_store_dwordx2 v[9:10], v[127:128], off
	global_store_dwordx2 v[11:12], v[129:130], off
	global_store_dwordx2 v[13:14], v[131:132], off
	global_store_dwordx2 v[15:16], v[133:134], off
	global_store_dwordx2 v[17:18], v[135:136], off
	global_store_dwordx2 v[19:20], v[137:138], off
	global_store_dwordx2 v[21:22], v[139:140], off
	global_store_dwordx2 v[23:24], v[141:142], off
	global_store_dwordx2 v[25:26], v[143:144], off
	global_store_dwordx2 v[27:28], v[145:146], off
	global_store_dwordx2 v[29:30], v[147:148], off
	global_store_dwordx2 v[31:32], v[149:150], off
	global_store_dwordx2 v[33:34], v[151:152], off
	global_store_dwordx2 v[35:36], v[153:154], off
	global_store_dwordx2 v[37:38], v[155:156], off
	global_store_dwordx2 v[39:40], v[157:158], off
	global_store_dwordx2 v[41:42], v[159:160], off
	global_store_dwordx2 v[43:44], v[161:162], off
	global_store_dwordx2 v[45:46], v[163:164], off
	global_store_dwordx2 v[47:48], v[165:166], off
	s_waitcnt vmcnt(62)
	global_store_dwordx2 v[49:50], v[167:168], off
	global_store_dwordx2 v[51:52], v[169:170], off
	;; [unrolled: 1-line block ×13, first 2 shown]
	s_waitcnt vmcnt(62)
	global_store_dwordx2 v[75:76], v[193:194], off
	global_store_dwordx2 v[77:78], v[195:196], off
	;; [unrolled: 1-line block ×6, first 2 shown]
	s_waitcnt vmcnt(62)
	global_store_dwordx2 v[87:88], v[205:206], off
	global_store_dwordx2 v[89:90], v[207:208], off
	;; [unrolled: 1-line block ×3, first 2 shown]
	s_waitcnt vmcnt(62)
	global_store_dwordx2 v[93:94], v[211:212], off
	global_store_dwordx2 v[95:96], v[213:214], off
	s_waitcnt vmcnt(62)
	global_store_dwordx2 v[97:98], v[215:216], off
	s_waitcnt vmcnt(61)
	;; [unrolled: 2-line block ×7, first 2 shown]
	global_store_dwordx2 v[113:114], v[227:228], off
.LBB56_1110:
	s_endpgm
	.section	.rodata,"a",@progbits
	.p2align	6, 0x0
	.amdhsa_kernel _ZN9rocsolver6v33100L18trti2_kernel_smallILi57EdPdEEv13rocblas_fill_17rocblas_diagonal_T1_iil
		.amdhsa_group_segment_fixed_size 920
		.amdhsa_private_segment_fixed_size 464
		.amdhsa_kernarg_size 32
		.amdhsa_user_sgpr_count 6
		.amdhsa_user_sgpr_private_segment_buffer 1
		.amdhsa_user_sgpr_dispatch_ptr 0
		.amdhsa_user_sgpr_queue_ptr 0
		.amdhsa_user_sgpr_kernarg_segment_ptr 1
		.amdhsa_user_sgpr_dispatch_id 0
		.amdhsa_user_sgpr_flat_scratch_init 0
		.amdhsa_user_sgpr_private_segment_size 0
		.amdhsa_uses_dynamic_stack 0
		.amdhsa_system_sgpr_private_segment_wavefront_offset 1
		.amdhsa_system_sgpr_workgroup_id_x 1
		.amdhsa_system_sgpr_workgroup_id_y 0
		.amdhsa_system_sgpr_workgroup_id_z 0
		.amdhsa_system_sgpr_workgroup_info 0
		.amdhsa_system_vgpr_workitem_id 0
		.amdhsa_next_free_vgpr 229
		.amdhsa_next_free_sgpr 70
		.amdhsa_reserve_vcc 1
		.amdhsa_reserve_flat_scratch 0
		.amdhsa_float_round_mode_32 0
		.amdhsa_float_round_mode_16_64 0
		.amdhsa_float_denorm_mode_32 3
		.amdhsa_float_denorm_mode_16_64 3
		.amdhsa_dx10_clamp 1
		.amdhsa_ieee_mode 1
		.amdhsa_fp16_overflow 0
		.amdhsa_exception_fp_ieee_invalid_op 0
		.amdhsa_exception_fp_denorm_src 0
		.amdhsa_exception_fp_ieee_div_zero 0
		.amdhsa_exception_fp_ieee_overflow 0
		.amdhsa_exception_fp_ieee_underflow 0
		.amdhsa_exception_fp_ieee_inexact 0
		.amdhsa_exception_int_div_zero 0
	.end_amdhsa_kernel
	.section	.text._ZN9rocsolver6v33100L18trti2_kernel_smallILi57EdPdEEv13rocblas_fill_17rocblas_diagonal_T1_iil,"axG",@progbits,_ZN9rocsolver6v33100L18trti2_kernel_smallILi57EdPdEEv13rocblas_fill_17rocblas_diagonal_T1_iil,comdat
.Lfunc_end56:
	.size	_ZN9rocsolver6v33100L18trti2_kernel_smallILi57EdPdEEv13rocblas_fill_17rocblas_diagonal_T1_iil, .Lfunc_end56-_ZN9rocsolver6v33100L18trti2_kernel_smallILi57EdPdEEv13rocblas_fill_17rocblas_diagonal_T1_iil
                                        ; -- End function
	.set _ZN9rocsolver6v33100L18trti2_kernel_smallILi57EdPdEEv13rocblas_fill_17rocblas_diagonal_T1_iil.num_vgpr, 229
	.set _ZN9rocsolver6v33100L18trti2_kernel_smallILi57EdPdEEv13rocblas_fill_17rocblas_diagonal_T1_iil.num_agpr, 0
	.set _ZN9rocsolver6v33100L18trti2_kernel_smallILi57EdPdEEv13rocblas_fill_17rocblas_diagonal_T1_iil.numbered_sgpr, 70
	.set _ZN9rocsolver6v33100L18trti2_kernel_smallILi57EdPdEEv13rocblas_fill_17rocblas_diagonal_T1_iil.num_named_barrier, 0
	.set _ZN9rocsolver6v33100L18trti2_kernel_smallILi57EdPdEEv13rocblas_fill_17rocblas_diagonal_T1_iil.private_seg_size, 464
	.set _ZN9rocsolver6v33100L18trti2_kernel_smallILi57EdPdEEv13rocblas_fill_17rocblas_diagonal_T1_iil.uses_vcc, 1
	.set _ZN9rocsolver6v33100L18trti2_kernel_smallILi57EdPdEEv13rocblas_fill_17rocblas_diagonal_T1_iil.uses_flat_scratch, 0
	.set _ZN9rocsolver6v33100L18trti2_kernel_smallILi57EdPdEEv13rocblas_fill_17rocblas_diagonal_T1_iil.has_dyn_sized_stack, 0
	.set _ZN9rocsolver6v33100L18trti2_kernel_smallILi57EdPdEEv13rocblas_fill_17rocblas_diagonal_T1_iil.has_recursion, 0
	.set _ZN9rocsolver6v33100L18trti2_kernel_smallILi57EdPdEEv13rocblas_fill_17rocblas_diagonal_T1_iil.has_indirect_call, 0
	.section	.AMDGPU.csdata,"",@progbits
; Kernel info:
; codeLenInByte = 33408
; TotalNumSgprs: 74
; NumVgprs: 229
; ScratchSize: 464
; MemoryBound: 0
; FloatMode: 240
; IeeeMode: 1
; LDSByteSize: 920 bytes/workgroup (compile time only)
; SGPRBlocks: 9
; VGPRBlocks: 57
; NumSGPRsForWavesPerEU: 74
; NumVGPRsForWavesPerEU: 229
; Occupancy: 1
; WaveLimiterHint : 0
; COMPUTE_PGM_RSRC2:SCRATCH_EN: 1
; COMPUTE_PGM_RSRC2:USER_SGPR: 6
; COMPUTE_PGM_RSRC2:TRAP_HANDLER: 0
; COMPUTE_PGM_RSRC2:TGID_X_EN: 1
; COMPUTE_PGM_RSRC2:TGID_Y_EN: 0
; COMPUTE_PGM_RSRC2:TGID_Z_EN: 0
; COMPUTE_PGM_RSRC2:TIDIG_COMP_CNT: 0
	.section	.text._ZN9rocsolver6v33100L18trti2_kernel_smallILi58EdPdEEv13rocblas_fill_17rocblas_diagonal_T1_iil,"axG",@progbits,_ZN9rocsolver6v33100L18trti2_kernel_smallILi58EdPdEEv13rocblas_fill_17rocblas_diagonal_T1_iil,comdat
	.globl	_ZN9rocsolver6v33100L18trti2_kernel_smallILi58EdPdEEv13rocblas_fill_17rocblas_diagonal_T1_iil ; -- Begin function _ZN9rocsolver6v33100L18trti2_kernel_smallILi58EdPdEEv13rocblas_fill_17rocblas_diagonal_T1_iil
	.p2align	8
	.type	_ZN9rocsolver6v33100L18trti2_kernel_smallILi58EdPdEEv13rocblas_fill_17rocblas_diagonal_T1_iil,@function
_ZN9rocsolver6v33100L18trti2_kernel_smallILi58EdPdEEv13rocblas_fill_17rocblas_diagonal_T1_iil: ; @_ZN9rocsolver6v33100L18trti2_kernel_smallILi58EdPdEEv13rocblas_fill_17rocblas_diagonal_T1_iil
; %bb.0:
	s_add_u32 s0, s0, s7
	s_addc_u32 s1, s1, 0
	v_cmp_gt_u32_e32 vcc, 58, v0
	s_and_saveexec_b64 s[8:9], vcc
	s_cbranch_execz .LBB57_1130
; %bb.1:
	s_load_dwordx8 s[8:15], s[4:5], 0x0
	s_ashr_i32 s7, s6, 31
	v_lshlrev_b32_e32 v119, 3, v0
	s_waitcnt lgkmcnt(0)
	s_ashr_i32 s5, s12, 31
	s_mov_b32 s4, s12
	s_mul_hi_u32 s12, s14, s6
	s_mul_i32 s7, s14, s7
	s_add_i32 s7, s12, s7
	s_mul_i32 s12, s15, s6
	s_add_i32 s7, s7, s12
	s_mul_i32 s6, s14, s6
	s_lshl_b64 s[6:7], s[6:7], 3
	s_add_u32 s6, s10, s6
	s_addc_u32 s7, s11, s7
	s_lshl_b64 s[4:5], s[4:5], 3
	s_add_u32 s4, s6, s4
	s_addc_u32 s5, s7, s5
	s_add_i32 s6, s13, s13
	v_add_u32_e32 v3, s6, v0
	v_ashrrev_i32_e32 v4, 31, v3
	v_lshlrev_b64 v[1:2], 3, v[3:4]
	v_add_u32_e32 v5, s13, v3
	v_mov_b32_e32 v4, s5
	v_add_co_u32_e32 v1, vcc, s4, v1
	v_ashrrev_i32_e32 v6, 31, v5
	v_addc_co_u32_e32 v2, vcc, v4, v2, vcc
	v_lshlrev_b64 v[3:4], 3, v[5:6]
	v_add_u32_e32 v7, s13, v5
	v_mov_b32_e32 v6, s5
	v_add_co_u32_e32 v3, vcc, s4, v3
	v_ashrrev_i32_e32 v8, 31, v7
	v_addc_co_u32_e32 v4, vcc, v6, v4, vcc
	;; [unrolled: 6-line block ×8, first 2 shown]
	v_lshlrev_b64 v[17:18], 3, v[19:20]
	v_mov_b32_e32 v21, s5
	v_add_co_u32_e32 v17, vcc, s4, v17
	v_addc_co_u32_e32 v18, vcc, v21, v18, vcc
	v_add_u32_e32 v21, s13, v19
	v_ashrrev_i32_e32 v22, 31, v21
	v_lshlrev_b64 v[19:20], 3, v[21:22]
	v_mov_b32_e32 v23, s5
	v_add_co_u32_e32 v19, vcc, s4, v19
	v_addc_co_u32_e32 v20, vcc, v23, v20, vcc
	v_add_u32_e32 v23, s13, v21
	v_ashrrev_i32_e32 v24, 31, v23
	;; [unrolled: 6-line block ×41, first 2 shown]
	global_load_dwordx2 v[117:118], v119, s[4:5]
	v_lshlrev_b64 v[99:100], 3, v[101:102]
	v_mov_b32_e32 v102, s5
	v_add_co_u32_e32 v107, vcc, s4, v119
	s_ashr_i32 s7, s13, 31
	s_mov_b32 s6, s13
	v_addc_co_u32_e32 v108, vcc, 0, v102, vcc
	s_lshl_b64 s[6:7], s[6:7], 3
	v_mov_b32_e32 v102, s7
	v_add_co_u32_e32 v109, vcc, s6, v107
	v_addc_co_u32_e32 v110, vcc, v108, v102, vcc
	global_load_dwordx2 v[120:121], v[109:110], off
	global_load_dwordx2 v[122:123], v[1:2], off
	;; [unrolled: 1-line block ×8, first 2 shown]
	v_mov_b32_e32 v103, s5
	v_add_co_u32_e32 v99, vcc, s4, v99
	v_addc_co_u32_e32 v100, vcc, v103, v100, vcc
	v_add_u32_e32 v103, s13, v101
	v_ashrrev_i32_e32 v104, 31, v103
	global_load_dwordx2 v[136:137], v[15:16], off
	global_load_dwordx2 v[138:139], v[17:18], off
	v_lshlrev_b64 v[101:102], 3, v[103:104]
	v_mov_b32_e32 v105, s5
	v_add_co_u32_e32 v101, vcc, s4, v101
	v_addc_co_u32_e32 v102, vcc, v105, v102, vcc
	v_add_u32_e32 v105, s13, v103
	v_ashrrev_i32_e32 v106, 31, v105
	v_lshlrev_b64 v[103:104], 3, v[105:106]
	global_load_dwordx2 v[140:141], v[19:20], off
	global_load_dwordx2 v[142:143], v[21:22], off
	;; [unrolled: 1-line block ×4, first 2 shown]
	v_mov_b32_e32 v111, s5
	v_add_co_u32_e32 v103, vcc, s4, v103
	v_addc_co_u32_e32 v104, vcc, v111, v104, vcc
	v_add_u32_e32 v111, s13, v105
	v_ashrrev_i32_e32 v112, 31, v111
	v_lshlrev_b64 v[105:106], 3, v[111:112]
	v_mov_b32_e32 v113, s5
	v_add_co_u32_e32 v105, vcc, s4, v105
	v_addc_co_u32_e32 v106, vcc, v113, v106, vcc
	v_add_u32_e32 v113, s13, v111
	v_ashrrev_i32_e32 v114, 31, v113
	v_lshlrev_b64 v[111:112], 3, v[113:114]
	;; [unrolled: 6-line block ×3, first 2 shown]
	v_add_u32_e32 v115, s13, v115
	v_ashrrev_i32_e32 v116, 31, v115
	v_mov_b32_e32 v150, s5
	global_load_dwordx2 v[148:149], v[27:28], off
	global_load_dwordx2 v[152:153], v[31:32], off
	v_add_co_u32_e32 v113, vcc, s4, v113
	v_lshlrev_b64 v[115:116], 3, v[115:116]
	v_addc_co_u32_e32 v114, vcc, v150, v114, vcc
	v_mov_b32_e32 v162, s5
	v_add_co_u32_e32 v115, vcc, s4, v115
	global_load_dwordx2 v[150:151], v[29:30], off
	global_load_dwordx2 v[154:155], v[33:34], off
	;; [unrolled: 1-line block ×5, first 2 shown]
	v_addc_co_u32_e32 v116, vcc, v162, v116, vcc
	global_load_dwordx2 v[162:163], v[41:42], off
	global_load_dwordx2 v[164:165], v[115:116], off
	;; [unrolled: 1-line block ×20, first 2 shown]
	s_cmpk_lg_i32 s9, 0x84
	s_waitcnt vmcnt(41)
	buffer_store_dword v118, off, s[0:3], 0 offset:4
	buffer_store_dword v117, off, s[0:3], 0
	global_load_dwordx2 v[117:118], v[47:48], off
	s_cselect_b64 s[10:11], -1, 0
	s_waitcnt vmcnt(43)
	buffer_store_dword v121, off, s[0:3], 0 offset:12
	buffer_store_dword v120, off, s[0:3], 0 offset:8
	global_load_dwordx2 v[120:121], v[51:52], off
	s_cmpk_eq_i32 s9, 0x84
	s_waitcnt vmcnt(45)
	buffer_store_dword v123, off, s[0:3], 0 offset:20
	buffer_store_dword v122, off, s[0:3], 0 offset:16
	global_load_dwordx2 v[122:123], v[55:56], off
	s_waitcnt vmcnt(47)
	buffer_store_dword v125, off, s[0:3], 0 offset:28
	buffer_store_dword v124, off, s[0:3], 0 offset:24
	global_load_dwordx2 v[124:125], v[59:60], off
	;; [unrolled: 4-line block ×10, first 2 shown]
	s_nop 0
	buffer_store_dword v142, off, s[0:3], 0 offset:96
	buffer_store_dword v143, off, s[0:3], 0 offset:100
	global_load_dwordx2 v[142:143], v[95:96], off
	s_waitcnt vmcnt(62)
	buffer_store_dword v144, off, s[0:3], 0 offset:104
	buffer_store_dword v145, off, s[0:3], 0 offset:108
	global_load_dwordx2 v[144:145], v[99:100], off
	s_nop 0
	buffer_store_dword v147, off, s[0:3], 0 offset:116
	buffer_store_dword v146, off, s[0:3], 0 offset:112
	global_load_dwordx2 v[146:147], v[103:104], off
	s_nop 0
	;; [unrolled: 4-line block ×3, first 2 shown]
	buffer_store_dword v150, off, s[0:3], 0 offset:128
	buffer_store_dword v151, off, s[0:3], 0 offset:132
	;; [unrolled: 1-line block ×6, first 2 shown]
	s_waitcnt vmcnt(62)
	buffer_store_dword v157, off, s[0:3], 0 offset:156
	buffer_store_dword v156, off, s[0:3], 0 offset:152
	buffer_store_dword v159, off, s[0:3], 0 offset:164
	buffer_store_dword v158, off, s[0:3], 0 offset:160
	buffer_store_dword v160, off, s[0:3], 0 offset:168
	buffer_store_dword v161, off, s[0:3], 0 offset:172
	buffer_store_dword v162, off, s[0:3], 0 offset:176
	buffer_store_dword v163, off, s[0:3], 0 offset:180
	buffer_store_dword v166, off, s[0:3], 0 offset:184
	buffer_store_dword v167, off, s[0:3], 0 offset:188
	buffer_store_dword v168, off, s[0:3], 0 offset:192
	buffer_store_dword v169, off, s[0:3], 0 offset:196
	s_waitcnt vmcnt(62)
	buffer_store_dword v118, off, s[0:3], 0 offset:204
	buffer_store_dword v117, off, s[0:3], 0 offset:200
	buffer_store_dword v171, off, s[0:3], 0 offset:212
	buffer_store_dword v170, off, s[0:3], 0 offset:208
	s_waitcnt vmcnt(62)
	buffer_store_dword v120, off, s[0:3], 0 offset:216
	buffer_store_dword v121, off, s[0:3], 0 offset:220
	buffer_store_dword v172, off, s[0:3], 0 offset:224
	buffer_store_dword v173, off, s[0:3], 0 offset:228
	;; [unrolled: 5-line block ×3, first 2 shown]
	buffer_store_dword v125, off, s[0:3], 0 offset:252
	buffer_store_dword v124, off, s[0:3], 0 offset:248
	;; [unrolled: 1-line block ×4, first 2 shown]
	s_waitcnt vmcnt(62)
	buffer_store_dword v126, off, s[0:3], 0 offset:264
	buffer_store_dword v127, off, s[0:3], 0 offset:268
	;; [unrolled: 1-line block ×8, first 2 shown]
	s_waitcnt vmcnt(62)
	buffer_store_dword v131, off, s[0:3], 0 offset:300
	buffer_store_dword v130, off, s[0:3], 0 offset:296
	buffer_store_dword v183, off, s[0:3], 0 offset:308
	buffer_store_dword v182, off, s[0:3], 0 offset:304
	buffer_store_dword v132, off, s[0:3], 0 offset:312
	buffer_store_dword v133, off, s[0:3], 0 offset:316
	buffer_store_dword v184, off, s[0:3], 0 offset:320
	buffer_store_dword v185, off, s[0:3], 0 offset:324
	buffer_store_dword v134, off, s[0:3], 0 offset:328
	buffer_store_dword v135, off, s[0:3], 0 offset:332
	buffer_store_dword v186, off, s[0:3], 0 offset:336
	buffer_store_dword v187, off, s[0:3], 0 offset:340
	s_waitcnt vmcnt(62)
	buffer_store_dword v137, off, s[0:3], 0 offset:348
	buffer_store_dword v136, off, s[0:3], 0 offset:344
	;; [unrolled: 1-line block ×16, first 2 shown]
	s_waitcnt vmcnt(62)
	buffer_store_dword v144, off, s[0:3], 0 offset:408
	buffer_store_dword v145, off, s[0:3], 0 offset:412
	;; [unrolled: 1-line block ×13, first 2 shown]
	v_mov_b32_e32 v117, 0
	v_mov_b32_e32 v118, 0xbff00000
	buffer_store_dword v165, off, s[0:3], 0 offset:460
	s_cbranch_scc1 .LBB57_3
; %bb.2:
	v_mov_b32_e32 v117, 0
	v_lshl_add_u32 v128, v0, 3, v117
	buffer_load_dword v117, v128, s[0:3], 0 offen
	buffer_load_dword v118, v128, s[0:3], 0 offen offset:4
	s_waitcnt vmcnt(0)
	v_div_scale_f64 v[120:121], s[4:5], v[117:118], v[117:118], 1.0
	v_rcp_f64_e32 v[122:123], v[120:121]
	v_fma_f64 v[124:125], -v[120:121], v[122:123], 1.0
	v_fma_f64 v[122:123], v[122:123], v[124:125], v[122:123]
	v_div_scale_f64 v[124:125], vcc, 1.0, v[117:118], 1.0
	v_fma_f64 v[126:127], -v[120:121], v[122:123], 1.0
	v_fma_f64 v[122:123], v[122:123], v[126:127], v[122:123]
	v_mul_f64 v[126:127], v[124:125], v[122:123]
	v_fma_f64 v[120:121], -v[120:121], v[126:127], v[124:125]
	v_div_fmas_f64 v[120:121], v[120:121], v[122:123], v[126:127]
	v_div_fixup_f64 v[117:118], v[120:121], v[117:118], 1.0
	buffer_store_dword v117, v128, s[0:3], 0 offen
	buffer_store_dword v118, v128, s[0:3], 0 offen offset:4
	v_xor_b32_e32 v118, 0x80000000, v118
.LBB57_3:
	s_cmpk_eq_i32 s8, 0x79
	v_add_u32_e32 v120, 0x1d0, v119
	v_mov_b32_e32 v121, v119
	s_mov_b64 s[4:5], -1
	ds_write_b64 v119, v[117:118]
	s_cbranch_scc1 .LBB57_567
; %bb.4:
	buffer_load_dword v117, off, s[0:3], 0 offset:448
	buffer_load_dword v118, off, s[0:3], 0 offset:452
	s_movk_i32 s12, 0x48
	s_movk_i32 s13, 0x50
	;; [unrolled: 1-line block ×47, first 2 shown]
	v_cmp_eq_u32_e64 s[4:5], 57, v0
	s_waitcnt vmcnt(0)
	ds_write_b64 v120, v[117:118]
	s_waitcnt lgkmcnt(0)
	; wave barrier
	s_and_saveexec_b64 s[6:7], s[4:5]
	s_cbranch_execz .LBB57_10
; %bb.5:
	s_and_b64 vcc, exec, s[10:11]
	s_cbranch_vccz .LBB57_7
; %bb.6:
	buffer_load_dword v117, v121, s[0:3], 0 offen
	buffer_load_dword v118, v121, s[0:3], 0 offen offset:4
	ds_read_b64 v[122:123], v120
	s_waitcnt vmcnt(0) lgkmcnt(0)
	v_mul_f64 v[117:118], v[117:118], v[122:123]
	s_cbranch_execz .LBB57_8
	s_branch .LBB57_9
.LBB57_7:
                                        ; implicit-def: $vgpr117_vgpr118
.LBB57_8:
	ds_read_b64 v[117:118], v120
.LBB57_9:
	v_mov_b32_e32 v122, 0
	ds_read_b64 v[122:123], v122 offset:448
	s_waitcnt lgkmcnt(0)
	v_mul_f64 v[117:118], v[117:118], v[122:123]
	buffer_store_dword v118, off, s[0:3], 0 offset:452
	buffer_store_dword v117, off, s[0:3], 0 offset:448
.LBB57_10:
	s_or_b64 exec, exec, s[6:7]
	buffer_load_dword v117, off, s[0:3], 0 offset:440
	buffer_load_dword v118, off, s[0:3], 0 offset:444
	s_or_b32 s14, 0, 8
	s_mov_b32 s15, 16
	s_mov_b32 s16, 24
	;; [unrolled: 1-line block ×9, first 2 shown]
	v_cmp_lt_u32_e64 s[6:7], 55, v0
	s_waitcnt vmcnt(0)
	ds_write_b64 v120, v[117:118]
	s_waitcnt lgkmcnt(0)
	; wave barrier
	s_and_saveexec_b64 s[8:9], s[6:7]
	s_cbranch_execz .LBB57_16
; %bb.11:
	s_andn2_b64 vcc, exec, s[10:11]
	s_cbranch_vccnz .LBB57_13
; %bb.12:
	buffer_load_dword v117, v121, s[0:3], 0 offen
	buffer_load_dword v118, v121, s[0:3], 0 offen offset:4
	ds_read_b64 v[122:123], v120
	s_waitcnt vmcnt(0) lgkmcnt(0)
	v_mul_f64 v[117:118], v[117:118], v[122:123]
	s_cbranch_execz .LBB57_14
	s_branch .LBB57_15
.LBB57_13:
                                        ; implicit-def: $vgpr117_vgpr118
.LBB57_14:
	ds_read_b64 v[117:118], v120
.LBB57_15:
	buffer_load_dword v126, off, s[0:3], 0 offset:448
	buffer_load_dword v127, off, s[0:3], 0 offset:452
	v_mov_b32_e32 v122, 0
	ds_read2_b64 v[122:125], v122 offset0:55 offset1:114
	s_waitcnt vmcnt(0) lgkmcnt(0)
	v_fma_f64 v[124:125], v[126:127], v[124:125], v[117:118]
	v_cndmask_b32_e64 v118, v118, v125, s[4:5]
	v_cndmask_b32_e64 v117, v117, v124, s[4:5]
	v_mul_f64 v[117:118], v[117:118], v[122:123]
	buffer_store_dword v118, off, s[0:3], 0 offset:444
	buffer_store_dword v117, off, s[0:3], 0 offset:440
.LBB57_16:
	s_or_b64 exec, exec, s[8:9]
	buffer_load_dword v117, off, s[0:3], 0 offset:432
	buffer_load_dword v118, off, s[0:3], 0 offset:436
	v_cmp_lt_u32_e64 s[4:5], 54, v0
	s_waitcnt vmcnt(0)
	ds_write_b64 v120, v[117:118]
	s_waitcnt lgkmcnt(0)
	; wave barrier
	s_and_saveexec_b64 s[8:9], s[4:5]
	s_cbranch_execz .LBB57_26
; %bb.17:
	s_andn2_b64 vcc, exec, s[10:11]
	s_cbranch_vccnz .LBB57_19
; %bb.18:
	buffer_load_dword v117, v121, s[0:3], 0 offen
	buffer_load_dword v118, v121, s[0:3], 0 offen offset:4
	ds_read_b64 v[122:123], v120
	s_waitcnt vmcnt(0) lgkmcnt(0)
	v_mul_f64 v[117:118], v[117:118], v[122:123]
	s_cbranch_execz .LBB57_20
	s_branch .LBB57_21
.LBB57_19:
                                        ; implicit-def: $vgpr117_vgpr118
.LBB57_20:
	ds_read_b64 v[117:118], v120
.LBB57_21:
	s_and_saveexec_b64 s[12:13], s[6:7]
	s_cbranch_execz .LBB57_25
; %bb.22:
	v_subrev_u32_e32 v122, 55, v0
	s_movk_i32 s70, 0x388
	s_mov_b64 s[6:7], 0
.LBB57_23:                              ; =>This Inner Loop Header: Depth=1
	v_mov_b32_e32 v124, s69
	buffer_load_dword v123, v124, s[0:3], 0 offen
	s_nop 0
	buffer_load_dword v124, v124, s[0:3], 0 offen offset:4
	v_mov_b32_e32 v125, s70
	ds_read_b64 v[125:126], v125
	v_add_u32_e32 v122, -1, v122
	s_add_i32 s70, s70, 8
	s_add_i32 s69, s69, 8
	v_cmp_eq_u32_e32 vcc, 0, v122
	s_or_b64 s[6:7], vcc, s[6:7]
	s_waitcnt vmcnt(0) lgkmcnt(0)
	v_fma_f64 v[117:118], v[123:124], v[125:126], v[117:118]
	s_andn2_b64 exec, exec, s[6:7]
	s_cbranch_execnz .LBB57_23
; %bb.24:
	s_or_b64 exec, exec, s[6:7]
.LBB57_25:
	s_or_b64 exec, exec, s[12:13]
	v_mov_b32_e32 v122, 0
	ds_read_b64 v[122:123], v122 offset:432
	s_waitcnt lgkmcnt(0)
	v_mul_f64 v[117:118], v[117:118], v[122:123]
	buffer_store_dword v118, off, s[0:3], 0 offset:436
	buffer_store_dword v117, off, s[0:3], 0 offset:432
.LBB57_26:
	s_or_b64 exec, exec, s[8:9]
	buffer_load_dword v117, off, s[0:3], 0 offset:424
	buffer_load_dword v118, off, s[0:3], 0 offset:428
	v_cmp_lt_u32_e64 s[6:7], 53, v0
	s_waitcnt vmcnt(0)
	ds_write_b64 v120, v[117:118]
	s_waitcnt lgkmcnt(0)
	; wave barrier
	s_and_saveexec_b64 s[8:9], s[6:7]
	s_cbranch_execz .LBB57_36
; %bb.27:
	s_andn2_b64 vcc, exec, s[10:11]
	s_cbranch_vccnz .LBB57_29
; %bb.28:
	buffer_load_dword v117, v121, s[0:3], 0 offen
	buffer_load_dword v118, v121, s[0:3], 0 offen offset:4
	ds_read_b64 v[122:123], v120
	s_waitcnt vmcnt(0) lgkmcnt(0)
	v_mul_f64 v[117:118], v[117:118], v[122:123]
	s_cbranch_execz .LBB57_30
	s_branch .LBB57_31
.LBB57_29:
                                        ; implicit-def: $vgpr117_vgpr118
.LBB57_30:
	ds_read_b64 v[117:118], v120
.LBB57_31:
	s_and_saveexec_b64 s[12:13], s[4:5]
	s_cbranch_execz .LBB57_35
; %bb.32:
	v_subrev_u32_e32 v122, 54, v0
	s_movk_i32 s69, 0x380
	s_mov_b64 s[4:5], 0
.LBB57_33:                              ; =>This Inner Loop Header: Depth=1
	v_mov_b32_e32 v124, s68
	buffer_load_dword v123, v124, s[0:3], 0 offen
	s_nop 0
	buffer_load_dword v124, v124, s[0:3], 0 offen offset:4
	v_mov_b32_e32 v125, s69
	ds_read_b64 v[125:126], v125
	v_add_u32_e32 v122, -1, v122
	s_add_i32 s69, s69, 8
	s_add_i32 s68, s68, 8
	v_cmp_eq_u32_e32 vcc, 0, v122
	s_or_b64 s[4:5], vcc, s[4:5]
	s_waitcnt vmcnt(0) lgkmcnt(0)
	v_fma_f64 v[117:118], v[123:124], v[125:126], v[117:118]
	s_andn2_b64 exec, exec, s[4:5]
	s_cbranch_execnz .LBB57_33
; %bb.34:
	s_or_b64 exec, exec, s[4:5]
.LBB57_35:
	s_or_b64 exec, exec, s[12:13]
	v_mov_b32_e32 v122, 0
	ds_read_b64 v[122:123], v122 offset:424
	s_waitcnt lgkmcnt(0)
	v_mul_f64 v[117:118], v[117:118], v[122:123]
	buffer_store_dword v118, off, s[0:3], 0 offset:428
	buffer_store_dword v117, off, s[0:3], 0 offset:424
.LBB57_36:
	;; [unrolled: 59-line block ×8, first 2 shown]
	s_or_b64 exec, exec, s[8:9]
	buffer_load_dword v117, off, s[0:3], 0 offset:368
	buffer_load_dword v118, off, s[0:3], 0 offset:372
	v_cmp_lt_u32_e64 s[4:5], 46, v0
	s_waitcnt vmcnt(0)
	ds_write_b64 v120, v[117:118]
	s_waitcnt lgkmcnt(0)
	; wave barrier
	s_and_saveexec_b64 s[8:9], s[4:5]
	s_cbranch_execz .LBB57_106
; %bb.97:
	s_andn2_b64 vcc, exec, s[10:11]
	s_cbranch_vccnz .LBB57_99
; %bb.98:
	buffer_load_dword v117, v121, s[0:3], 0 offen
	buffer_load_dword v118, v121, s[0:3], 0 offen offset:4
	ds_read_b64 v[122:123], v120
	s_waitcnt vmcnt(0) lgkmcnt(0)
	v_mul_f64 v[117:118], v[117:118], v[122:123]
	s_cbranch_execz .LBB57_100
	s_branch .LBB57_101
.LBB57_99:
                                        ; implicit-def: $vgpr117_vgpr118
.LBB57_100:
	ds_read_b64 v[117:118], v120
.LBB57_101:
	s_and_saveexec_b64 s[12:13], s[6:7]
	s_cbranch_execz .LBB57_105
; %bb.102:
	v_subrev_u32_e32 v122, 47, v0
	s_movk_i32 s62, 0x348
	s_mov_b64 s[6:7], 0
.LBB57_103:                             ; =>This Inner Loop Header: Depth=1
	v_mov_b32_e32 v124, s61
	buffer_load_dword v123, v124, s[0:3], 0 offen
	s_nop 0
	buffer_load_dword v124, v124, s[0:3], 0 offen offset:4
	v_mov_b32_e32 v125, s62
	ds_read_b64 v[125:126], v125
	v_add_u32_e32 v122, -1, v122
	s_add_i32 s62, s62, 8
	s_add_i32 s61, s61, 8
	v_cmp_eq_u32_e32 vcc, 0, v122
	s_or_b64 s[6:7], vcc, s[6:7]
	s_waitcnt vmcnt(0) lgkmcnt(0)
	v_fma_f64 v[117:118], v[123:124], v[125:126], v[117:118]
	s_andn2_b64 exec, exec, s[6:7]
	s_cbranch_execnz .LBB57_103
; %bb.104:
	s_or_b64 exec, exec, s[6:7]
.LBB57_105:
	s_or_b64 exec, exec, s[12:13]
	v_mov_b32_e32 v122, 0
	ds_read_b64 v[122:123], v122 offset:368
	s_waitcnt lgkmcnt(0)
	v_mul_f64 v[117:118], v[117:118], v[122:123]
	buffer_store_dword v118, off, s[0:3], 0 offset:372
	buffer_store_dword v117, off, s[0:3], 0 offset:368
.LBB57_106:
	s_or_b64 exec, exec, s[8:9]
	buffer_load_dword v117, off, s[0:3], 0 offset:360
	buffer_load_dword v118, off, s[0:3], 0 offset:364
	v_cmp_lt_u32_e64 s[6:7], 45, v0
	s_waitcnt vmcnt(0)
	ds_write_b64 v120, v[117:118]
	s_waitcnt lgkmcnt(0)
	; wave barrier
	s_and_saveexec_b64 s[8:9], s[6:7]
	s_cbranch_execz .LBB57_116
; %bb.107:
	s_andn2_b64 vcc, exec, s[10:11]
	s_cbranch_vccnz .LBB57_109
; %bb.108:
	buffer_load_dword v117, v121, s[0:3], 0 offen
	buffer_load_dword v118, v121, s[0:3], 0 offen offset:4
	ds_read_b64 v[122:123], v120
	s_waitcnt vmcnt(0) lgkmcnt(0)
	v_mul_f64 v[117:118], v[117:118], v[122:123]
	s_cbranch_execz .LBB57_110
	s_branch .LBB57_111
.LBB57_109:
                                        ; implicit-def: $vgpr117_vgpr118
.LBB57_110:
	ds_read_b64 v[117:118], v120
.LBB57_111:
	s_and_saveexec_b64 s[12:13], s[4:5]
	s_cbranch_execz .LBB57_115
; %bb.112:
	v_subrev_u32_e32 v122, 46, v0
	s_movk_i32 s61, 0x340
	s_mov_b64 s[4:5], 0
.LBB57_113:                             ; =>This Inner Loop Header: Depth=1
	v_mov_b32_e32 v124, s60
	buffer_load_dword v123, v124, s[0:3], 0 offen
	s_nop 0
	buffer_load_dword v124, v124, s[0:3], 0 offen offset:4
	v_mov_b32_e32 v125, s61
	ds_read_b64 v[125:126], v125
	v_add_u32_e32 v122, -1, v122
	s_add_i32 s61, s61, 8
	s_add_i32 s60, s60, 8
	v_cmp_eq_u32_e32 vcc, 0, v122
	s_or_b64 s[4:5], vcc, s[4:5]
	s_waitcnt vmcnt(0) lgkmcnt(0)
	v_fma_f64 v[117:118], v[123:124], v[125:126], v[117:118]
	s_andn2_b64 exec, exec, s[4:5]
	s_cbranch_execnz .LBB57_113
; %bb.114:
	s_or_b64 exec, exec, s[4:5]
.LBB57_115:
	s_or_b64 exec, exec, s[12:13]
	v_mov_b32_e32 v122, 0
	ds_read_b64 v[122:123], v122 offset:360
	s_waitcnt lgkmcnt(0)
	v_mul_f64 v[117:118], v[117:118], v[122:123]
	buffer_store_dword v118, off, s[0:3], 0 offset:364
	buffer_store_dword v117, off, s[0:3], 0 offset:360
.LBB57_116:
	;; [unrolled: 59-line block ×11, first 2 shown]
	s_or_b64 exec, exec, s[4:5]
	buffer_load_dword v117, off, s[0:3], 0 offset:280
	buffer_load_dword v118, off, s[0:3], 0 offset:284
	v_cmp_lt_u32_e64 s[4:5], 35, v0
	s_waitcnt vmcnt(0)
	ds_write_b64 v120, v[117:118]
	s_waitcnt lgkmcnt(0)
	; wave barrier
	s_and_saveexec_b64 s[6:7], s[4:5]
	s_cbranch_execz .LBB57_216
; %bb.207:
	s_andn2_b64 vcc, exec, s[10:11]
	s_cbranch_vccnz .LBB57_209
; %bb.208:
	buffer_load_dword v117, v121, s[0:3], 0 offen
	buffer_load_dword v118, v121, s[0:3], 0 offen offset:4
	ds_read_b64 v[122:123], v120
	s_waitcnt vmcnt(0) lgkmcnt(0)
	v_mul_f64 v[117:118], v[117:118], v[122:123]
	s_cbranch_execz .LBB57_210
	s_branch .LBB57_211
.LBB57_209:
                                        ; implicit-def: $vgpr117_vgpr118
.LBB57_210:
	ds_read_b64 v[117:118], v120
.LBB57_211:
	s_and_saveexec_b64 s[12:13], s[8:9]
	s_cbranch_execz .LBB57_215
; %bb.212:
	v_subrev_u32_e32 v122, 36, v0
	s_movk_i32 s51, 0x2f0
	s_mov_b64 s[8:9], 0
.LBB57_213:                             ; =>This Inner Loop Header: Depth=1
	v_mov_b32_e32 v125, s50
	buffer_load_dword v123, v125, s[0:3], 0 offen
	buffer_load_dword v124, v125, s[0:3], 0 offen offset:4
	v_mov_b32_e32 v125, s51
	ds_read_b64 v[125:126], v125
	v_add_u32_e32 v122, -1, v122
	s_add_i32 s51, s51, 8
	s_add_i32 s50, s50, 8
	v_cmp_eq_u32_e32 vcc, 0, v122
	s_or_b64 s[8:9], vcc, s[8:9]
	s_waitcnt vmcnt(0) lgkmcnt(0)
	v_fma_f64 v[117:118], v[123:124], v[125:126], v[117:118]
	s_andn2_b64 exec, exec, s[8:9]
	s_cbranch_execnz .LBB57_213
; %bb.214:
	s_or_b64 exec, exec, s[8:9]
.LBB57_215:
	s_or_b64 exec, exec, s[12:13]
	v_mov_b32_e32 v122, 0
	ds_read_b64 v[122:123], v122 offset:280
	s_waitcnt lgkmcnt(0)
	v_mul_f64 v[117:118], v[117:118], v[122:123]
	buffer_store_dword v118, off, s[0:3], 0 offset:284
	buffer_store_dword v117, off, s[0:3], 0 offset:280
.LBB57_216:
	s_or_b64 exec, exec, s[6:7]
	buffer_load_dword v117, off, s[0:3], 0 offset:272
	buffer_load_dword v118, off, s[0:3], 0 offset:276
	v_cmp_lt_u32_e64 s[6:7], 34, v0
	s_waitcnt vmcnt(0)
	ds_write_b64 v120, v[117:118]
	s_waitcnt lgkmcnt(0)
	; wave barrier
	s_and_saveexec_b64 s[8:9], s[6:7]
	s_cbranch_execz .LBB57_226
; %bb.217:
	s_andn2_b64 vcc, exec, s[10:11]
	s_cbranch_vccnz .LBB57_219
; %bb.218:
	buffer_load_dword v117, v121, s[0:3], 0 offen
	buffer_load_dword v118, v121, s[0:3], 0 offen offset:4
	ds_read_b64 v[122:123], v120
	s_waitcnt vmcnt(0) lgkmcnt(0)
	v_mul_f64 v[117:118], v[117:118], v[122:123]
	s_cbranch_execz .LBB57_220
	s_branch .LBB57_221
.LBB57_219:
                                        ; implicit-def: $vgpr117_vgpr118
.LBB57_220:
	ds_read_b64 v[117:118], v120
.LBB57_221:
	s_and_saveexec_b64 s[12:13], s[4:5]
	s_cbranch_execz .LBB57_225
; %bb.222:
	v_subrev_u32_e32 v122, 35, v0
	s_movk_i32 s50, 0x2e8
	s_mov_b64 s[4:5], 0
.LBB57_223:                             ; =>This Inner Loop Header: Depth=1
	v_mov_b32_e32 v125, s49
	buffer_load_dword v123, v125, s[0:3], 0 offen
	buffer_load_dword v124, v125, s[0:3], 0 offen offset:4
	v_mov_b32_e32 v125, s50
	ds_read_b64 v[125:126], v125
	v_add_u32_e32 v122, -1, v122
	s_add_i32 s50, s50, 8
	s_add_i32 s49, s49, 8
	v_cmp_eq_u32_e32 vcc, 0, v122
	s_or_b64 s[4:5], vcc, s[4:5]
	s_waitcnt vmcnt(0) lgkmcnt(0)
	v_fma_f64 v[117:118], v[123:124], v[125:126], v[117:118]
	s_andn2_b64 exec, exec, s[4:5]
	s_cbranch_execnz .LBB57_223
; %bb.224:
	s_or_b64 exec, exec, s[4:5]
.LBB57_225:
	s_or_b64 exec, exec, s[12:13]
	v_mov_b32_e32 v122, 0
	ds_read_b64 v[122:123], v122 offset:272
	s_waitcnt lgkmcnt(0)
	v_mul_f64 v[117:118], v[117:118], v[122:123]
	buffer_store_dword v118, off, s[0:3], 0 offset:276
	buffer_store_dword v117, off, s[0:3], 0 offset:272
.LBB57_226:
	;; [unrolled: 58-line block ×20, first 2 shown]
	s_or_b64 exec, exec, s[8:9]
	buffer_load_dword v117, off, s[0:3], 0 offset:120
	buffer_load_dword v118, off, s[0:3], 0 offset:124
	v_cmp_lt_u32_e64 s[4:5], 15, v0
	s_waitcnt vmcnt(0)
	ds_write_b64 v120, v[117:118]
	s_waitcnt lgkmcnt(0)
	; wave barrier
	s_and_saveexec_b64 s[8:9], s[4:5]
	s_cbranch_execz .LBB57_416
; %bb.407:
	s_andn2_b64 vcc, exec, s[10:11]
	s_cbranch_vccnz .LBB57_409
; %bb.408:
	buffer_load_dword v117, v121, s[0:3], 0 offen
	buffer_load_dword v118, v121, s[0:3], 0 offen offset:4
	ds_read_b64 v[122:123], v120
	s_waitcnt vmcnt(0) lgkmcnt(0)
	v_mul_f64 v[117:118], v[117:118], v[122:123]
	s_cbranch_execz .LBB57_410
	s_branch .LBB57_411
.LBB57_409:
                                        ; implicit-def: $vgpr117_vgpr118
.LBB57_410:
	ds_read_b64 v[117:118], v120
.LBB57_411:
	s_and_saveexec_b64 s[12:13], s[6:7]
	s_cbranch_execz .LBB57_415
; %bb.412:
	v_add_u32_e32 v122, -16, v0
	s_movk_i32 s30, 0x250
	s_mov_b64 s[6:7], 0
.LBB57_413:                             ; =>This Inner Loop Header: Depth=1
	v_mov_b32_e32 v125, s29
	buffer_load_dword v123, v125, s[0:3], 0 offen
	buffer_load_dword v124, v125, s[0:3], 0 offen offset:4
	v_mov_b32_e32 v125, s30
	ds_read_b64 v[125:126], v125
	v_add_u32_e32 v122, -1, v122
	s_add_i32 s30, s30, 8
	s_add_i32 s29, s29, 8
	v_cmp_eq_u32_e32 vcc, 0, v122
	s_or_b64 s[6:7], vcc, s[6:7]
	s_waitcnt vmcnt(0) lgkmcnt(0)
	v_fma_f64 v[117:118], v[123:124], v[125:126], v[117:118]
	s_andn2_b64 exec, exec, s[6:7]
	s_cbranch_execnz .LBB57_413
; %bb.414:
	s_or_b64 exec, exec, s[6:7]
.LBB57_415:
	s_or_b64 exec, exec, s[12:13]
	v_mov_b32_e32 v122, 0
	ds_read_b64 v[122:123], v122 offset:120
	s_waitcnt lgkmcnt(0)
	v_mul_f64 v[117:118], v[117:118], v[122:123]
	buffer_store_dword v118, off, s[0:3], 0 offset:124
	buffer_store_dword v117, off, s[0:3], 0 offset:120
.LBB57_416:
	s_or_b64 exec, exec, s[8:9]
	buffer_load_dword v117, off, s[0:3], 0 offset:112
	buffer_load_dword v118, off, s[0:3], 0 offset:116
	v_cmp_lt_u32_e64 s[6:7], 14, v0
	s_waitcnt vmcnt(0)
	ds_write_b64 v120, v[117:118]
	s_waitcnt lgkmcnt(0)
	; wave barrier
	s_and_saveexec_b64 s[8:9], s[6:7]
	s_cbranch_execz .LBB57_426
; %bb.417:
	s_andn2_b64 vcc, exec, s[10:11]
	s_cbranch_vccnz .LBB57_419
; %bb.418:
	buffer_load_dword v117, v121, s[0:3], 0 offen
	buffer_load_dword v118, v121, s[0:3], 0 offen offset:4
	ds_read_b64 v[122:123], v120
	s_waitcnt vmcnt(0) lgkmcnt(0)
	v_mul_f64 v[117:118], v[117:118], v[122:123]
	s_cbranch_execz .LBB57_420
	s_branch .LBB57_421
.LBB57_419:
                                        ; implicit-def: $vgpr117_vgpr118
.LBB57_420:
	ds_read_b64 v[117:118], v120
.LBB57_421:
	s_and_saveexec_b64 s[12:13], s[4:5]
	s_cbranch_execz .LBB57_425
; %bb.422:
	v_add_u32_e32 v122, -15, v0
	s_movk_i32 s29, 0x248
	s_mov_b64 s[4:5], 0
.LBB57_423:                             ; =>This Inner Loop Header: Depth=1
	v_mov_b32_e32 v125, s28
	buffer_load_dword v123, v125, s[0:3], 0 offen
	buffer_load_dword v124, v125, s[0:3], 0 offen offset:4
	v_mov_b32_e32 v125, s29
	ds_read_b64 v[125:126], v125
	v_add_u32_e32 v122, -1, v122
	s_add_i32 s29, s29, 8
	s_add_i32 s28, s28, 8
	v_cmp_eq_u32_e32 vcc, 0, v122
	s_or_b64 s[4:5], vcc, s[4:5]
	s_waitcnt vmcnt(0) lgkmcnt(0)
	v_fma_f64 v[117:118], v[123:124], v[125:126], v[117:118]
	s_andn2_b64 exec, exec, s[4:5]
	s_cbranch_execnz .LBB57_423
; %bb.424:
	s_or_b64 exec, exec, s[4:5]
.LBB57_425:
	s_or_b64 exec, exec, s[12:13]
	v_mov_b32_e32 v122, 0
	ds_read_b64 v[122:123], v122 offset:112
	s_waitcnt lgkmcnt(0)
	v_mul_f64 v[117:118], v[117:118], v[122:123]
	buffer_store_dword v118, off, s[0:3], 0 offset:116
	buffer_store_dword v117, off, s[0:3], 0 offset:112
.LBB57_426:
	;; [unrolled: 58-line block ×15, first 2 shown]
	s_or_b64 exec, exec, s[8:9]
	buffer_load_dword v117, off, s[0:3], 0
	buffer_load_dword v118, off, s[0:3], 0 offset:4
	v_cmp_ne_u32_e32 vcc, 0, v0
	s_waitcnt vmcnt(0)
	ds_write_b64 v120, v[117:118]
	s_waitcnt lgkmcnt(0)
	; wave barrier
	s_and_saveexec_b64 s[6:7], vcc
	s_cbranch_execz .LBB57_566
; %bb.557:
	s_andn2_b64 vcc, exec, s[10:11]
	s_cbranch_vccnz .LBB57_559
; %bb.558:
	buffer_load_dword v117, v121, s[0:3], 0 offen
	buffer_load_dword v118, v121, s[0:3], 0 offen offset:4
	ds_read_b64 v[122:123], v120
	s_waitcnt vmcnt(0) lgkmcnt(0)
	v_mul_f64 v[117:118], v[117:118], v[122:123]
	s_cbranch_execz .LBB57_560
	s_branch .LBB57_561
.LBB57_559:
                                        ; implicit-def: $vgpr117_vgpr118
.LBB57_560:
	ds_read_b64 v[117:118], v120
.LBB57_561:
	s_and_saveexec_b64 s[8:9], s[4:5]
	s_cbranch_execz .LBB57_565
; %bb.562:
	v_add_u32_e32 v122, -1, v0
	s_movk_i32 s12, 0x1d8
	s_mov_b64 s[4:5], 0
.LBB57_563:                             ; =>This Inner Loop Header: Depth=1
	v_mov_b32_e32 v125, s14
	buffer_load_dword v123, v125, s[0:3], 0 offen
	buffer_load_dword v124, v125, s[0:3], 0 offen offset:4
	v_mov_b32_e32 v125, s12
	ds_read_b64 v[125:126], v125
	v_add_u32_e32 v122, -1, v122
	s_add_i32 s12, s12, 8
	s_add_i32 s14, s14, 8
	v_cmp_eq_u32_e32 vcc, 0, v122
	s_or_b64 s[4:5], vcc, s[4:5]
	s_waitcnt vmcnt(0) lgkmcnt(0)
	v_fma_f64 v[117:118], v[123:124], v[125:126], v[117:118]
	s_andn2_b64 exec, exec, s[4:5]
	s_cbranch_execnz .LBB57_563
; %bb.564:
	s_or_b64 exec, exec, s[4:5]
.LBB57_565:
	s_or_b64 exec, exec, s[8:9]
	v_mov_b32_e32 v122, 0
	ds_read_b64 v[122:123], v122
	s_waitcnt lgkmcnt(0)
	v_mul_f64 v[117:118], v[117:118], v[122:123]
	buffer_store_dword v118, off, s[0:3], 0 offset:4
	buffer_store_dword v117, off, s[0:3], 0
.LBB57_566:
	s_or_b64 exec, exec, s[6:7]
	s_mov_b64 s[4:5], 0
.LBB57_567:
	s_and_b64 vcc, exec, s[4:5]
	s_cbranch_vccz .LBB57_1129
; %bb.568:
	buffer_load_dword v117, off, s[0:3], 0 offset:8
	buffer_load_dword v118, off, s[0:3], 0 offset:12
	v_cmp_eq_u32_e64 s[6:7], 0, v0
	s_waitcnt vmcnt(0)
	ds_write_b64 v120, v[117:118]
	s_waitcnt lgkmcnt(0)
	; wave barrier
	s_and_saveexec_b64 s[4:5], s[6:7]
	s_cbranch_execz .LBB57_574
; %bb.569:
	s_and_b64 vcc, exec, s[10:11]
	s_cbranch_vccz .LBB57_571
; %bb.570:
	buffer_load_dword v117, v121, s[0:3], 0 offen
	buffer_load_dword v118, v121, s[0:3], 0 offen offset:4
	ds_read_b64 v[122:123], v120
	s_waitcnt vmcnt(0) lgkmcnt(0)
	v_mul_f64 v[117:118], v[117:118], v[122:123]
	s_cbranch_execz .LBB57_572
	s_branch .LBB57_573
.LBB57_571:
                                        ; implicit-def: $vgpr117_vgpr118
.LBB57_572:
	ds_read_b64 v[117:118], v120
.LBB57_573:
	v_mov_b32_e32 v122, 0
	ds_read_b64 v[122:123], v122 offset:8
	s_waitcnt lgkmcnt(0)
	v_mul_f64 v[117:118], v[117:118], v[122:123]
	buffer_store_dword v118, off, s[0:3], 0 offset:12
	buffer_store_dword v117, off, s[0:3], 0 offset:8
.LBB57_574:
	s_or_b64 exec, exec, s[4:5]
	buffer_load_dword v117, off, s[0:3], 0 offset:16
	buffer_load_dword v118, off, s[0:3], 0 offset:20
	v_cndmask_b32_e64 v122, 0, 1, s[10:11]
	v_cmp_gt_u32_e32 vcc, 2, v0
	v_cmp_ne_u32_e64 s[4:5], 1, v122
	s_waitcnt vmcnt(0)
	ds_write_b64 v120, v[117:118]
	s_waitcnt lgkmcnt(0)
	; wave barrier
	s_and_saveexec_b64 s[8:9], vcc
	s_cbranch_execz .LBB57_580
; %bb.575:
	s_and_b64 vcc, exec, s[4:5]
	s_cbranch_vccnz .LBB57_577
; %bb.576:
	buffer_load_dword v117, v121, s[0:3], 0 offen
	buffer_load_dword v118, v121, s[0:3], 0 offen offset:4
	ds_read_b64 v[122:123], v120
	s_waitcnt vmcnt(0) lgkmcnt(0)
	v_mul_f64 v[117:118], v[117:118], v[122:123]
	s_cbranch_execz .LBB57_578
	s_branch .LBB57_579
.LBB57_577:
                                        ; implicit-def: $vgpr117_vgpr118
.LBB57_578:
	ds_read_b64 v[117:118], v120
.LBB57_579:
	buffer_load_dword v126, off, s[0:3], 0 offset:8
	buffer_load_dword v127, off, s[0:3], 0 offset:12
	v_mov_b32_e32 v122, 0
	ds_read2_b64 v[122:125], v122 offset0:2 offset1:59
	s_waitcnt vmcnt(0) lgkmcnt(0)
	v_fma_f64 v[124:125], v[126:127], v[124:125], v[117:118]
	v_cndmask_b32_e64 v118, v118, v125, s[6:7]
	v_cndmask_b32_e64 v117, v117, v124, s[6:7]
	v_mul_f64 v[117:118], v[117:118], v[122:123]
	buffer_store_dword v118, off, s[0:3], 0 offset:20
	buffer_store_dword v117, off, s[0:3], 0 offset:16
.LBB57_580:
	s_or_b64 exec, exec, s[8:9]
	buffer_load_dword v117, off, s[0:3], 0 offset:24
	buffer_load_dword v118, off, s[0:3], 0 offset:28
	v_cmp_gt_u32_e32 vcc, 3, v0
	s_waitcnt vmcnt(0)
	ds_write_b64 v120, v[117:118]
	s_waitcnt lgkmcnt(0)
	; wave barrier
	s_and_saveexec_b64 s[8:9], vcc
	s_cbranch_execz .LBB57_588
; %bb.581:
	s_and_b64 vcc, exec, s[4:5]
	s_cbranch_vccnz .LBB57_583
; %bb.582:
	buffer_load_dword v117, v121, s[0:3], 0 offen
	buffer_load_dword v118, v121, s[0:3], 0 offen offset:4
	ds_read_b64 v[122:123], v120
	s_waitcnt vmcnt(0) lgkmcnt(0)
	v_mul_f64 v[117:118], v[117:118], v[122:123]
	s_cbranch_execz .LBB57_584
	s_branch .LBB57_585
.LBB57_583:
                                        ; implicit-def: $vgpr117_vgpr118
.LBB57_584:
	ds_read_b64 v[117:118], v120
.LBB57_585:
	v_cmp_ne_u32_e32 vcc, 2, v0
	s_and_saveexec_b64 s[10:11], vcc
	s_cbranch_execz .LBB57_587
; %bb.586:
	buffer_load_dword v122, v121, s[0:3], 0 offen offset:8
	buffer_load_dword v123, v121, s[0:3], 0 offen offset:12
	buffer_load_dword v124, off, s[0:3], 0 offset:16
	buffer_load_dword v125, off, s[0:3], 0 offset:20
	ds_read_b64 v[126:127], v120 offset:8
	v_mov_b32_e32 v128, 0
	ds_read_b64 v[128:129], v128 offset:480
	s_waitcnt vmcnt(2) lgkmcnt(1)
	v_fma_f64 v[117:118], v[122:123], v[126:127], v[117:118]
	s_waitcnt vmcnt(0) lgkmcnt(0)
	v_fma_f64 v[122:123], v[124:125], v[128:129], v[117:118]
	v_cndmask_b32_e64 v118, v118, v123, s[6:7]
	v_cndmask_b32_e64 v117, v117, v122, s[6:7]
.LBB57_587:
	s_or_b64 exec, exec, s[10:11]
	v_mov_b32_e32 v122, 0
	ds_read_b64 v[122:123], v122 offset:24
	s_waitcnt lgkmcnt(0)
	v_mul_f64 v[117:118], v[117:118], v[122:123]
	buffer_store_dword v118, off, s[0:3], 0 offset:28
	buffer_store_dword v117, off, s[0:3], 0 offset:24
.LBB57_588:
	s_or_b64 exec, exec, s[8:9]
	buffer_load_dword v117, off, s[0:3], 0 offset:32
	buffer_load_dword v118, off, s[0:3], 0 offset:36
	v_cmp_gt_u32_e32 vcc, 4, v0
	s_waitcnt vmcnt(0)
	ds_write_b64 v120, v[117:118]
	s_waitcnt lgkmcnt(0)
	; wave barrier
	s_and_saveexec_b64 s[6:7], vcc
	s_cbranch_execz .LBB57_598
; %bb.589:
	s_and_b64 vcc, exec, s[4:5]
	s_cbranch_vccnz .LBB57_591
; %bb.590:
	buffer_load_dword v117, v121, s[0:3], 0 offen
	buffer_load_dword v118, v121, s[0:3], 0 offen offset:4
	ds_read_b64 v[122:123], v120
	s_waitcnt vmcnt(0) lgkmcnt(0)
	v_mul_f64 v[117:118], v[117:118], v[122:123]
	s_cbranch_execz .LBB57_592
	s_branch .LBB57_593
.LBB57_591:
                                        ; implicit-def: $vgpr117_vgpr118
.LBB57_592:
	ds_read_b64 v[117:118], v120
.LBB57_593:
	v_cmp_ne_u32_e32 vcc, 3, v0
	s_and_saveexec_b64 s[8:9], vcc
	s_cbranch_execz .LBB57_597
; %bb.594:
	s_mov_b32 s10, 0
	v_add_u32_e32 v122, 0x1d8, v119
	v_add3_u32 v123, v119, s10, 8
	s_mov_b64 s[10:11], 0
	v_mov_b32_e32 v124, v0
.LBB57_595:                             ; =>This Inner Loop Header: Depth=1
	buffer_load_dword v125, v123, s[0:3], 0 offen
	buffer_load_dword v126, v123, s[0:3], 0 offen offset:4
	ds_read_b64 v[127:128], v122
	v_add_u32_e32 v124, 1, v124
	v_cmp_lt_u32_e32 vcc, 2, v124
	v_add_u32_e32 v122, 8, v122
	s_or_b64 s[10:11], vcc, s[10:11]
	v_add_u32_e32 v123, 8, v123
	s_waitcnt vmcnt(0) lgkmcnt(0)
	v_fma_f64 v[117:118], v[125:126], v[127:128], v[117:118]
	s_andn2_b64 exec, exec, s[10:11]
	s_cbranch_execnz .LBB57_595
; %bb.596:
	s_or_b64 exec, exec, s[10:11]
.LBB57_597:
	s_or_b64 exec, exec, s[8:9]
	v_mov_b32_e32 v122, 0
	ds_read_b64 v[122:123], v122 offset:32
	s_waitcnt lgkmcnt(0)
	v_mul_f64 v[117:118], v[117:118], v[122:123]
	buffer_store_dword v118, off, s[0:3], 0 offset:36
	buffer_store_dword v117, off, s[0:3], 0 offset:32
.LBB57_598:
	s_or_b64 exec, exec, s[6:7]
	buffer_load_dword v117, off, s[0:3], 0 offset:40
	buffer_load_dword v118, off, s[0:3], 0 offset:44
	v_cmp_gt_u32_e32 vcc, 5, v0
	s_waitcnt vmcnt(0)
	ds_write_b64 v120, v[117:118]
	s_waitcnt lgkmcnt(0)
	; wave barrier
	s_and_saveexec_b64 s[6:7], vcc
	s_cbranch_execz .LBB57_608
; %bb.599:
	s_and_b64 vcc, exec, s[4:5]
	s_cbranch_vccnz .LBB57_601
; %bb.600:
	buffer_load_dword v117, v121, s[0:3], 0 offen
	buffer_load_dword v118, v121, s[0:3], 0 offen offset:4
	ds_read_b64 v[122:123], v120
	s_waitcnt vmcnt(0) lgkmcnt(0)
	v_mul_f64 v[117:118], v[117:118], v[122:123]
	s_cbranch_execz .LBB57_602
	s_branch .LBB57_603
.LBB57_601:
                                        ; implicit-def: $vgpr117_vgpr118
.LBB57_602:
	ds_read_b64 v[117:118], v120
.LBB57_603:
	v_cmp_ne_u32_e32 vcc, 4, v0
	s_and_saveexec_b64 s[8:9], vcc
	s_cbranch_execz .LBB57_607
; %bb.604:
	s_mov_b32 s10, 0
	v_add_u32_e32 v122, 0x1d8, v119
	v_add3_u32 v123, v119, s10, 8
	s_mov_b64 s[10:11], 0
	v_mov_b32_e32 v124, v0
.LBB57_605:                             ; =>This Inner Loop Header: Depth=1
	buffer_load_dword v125, v123, s[0:3], 0 offen
	buffer_load_dword v126, v123, s[0:3], 0 offen offset:4
	ds_read_b64 v[127:128], v122
	v_add_u32_e32 v124, 1, v124
	v_cmp_lt_u32_e32 vcc, 3, v124
	v_add_u32_e32 v122, 8, v122
	s_or_b64 s[10:11], vcc, s[10:11]
	v_add_u32_e32 v123, 8, v123
	s_waitcnt vmcnt(0) lgkmcnt(0)
	v_fma_f64 v[117:118], v[125:126], v[127:128], v[117:118]
	s_andn2_b64 exec, exec, s[10:11]
	s_cbranch_execnz .LBB57_605
; %bb.606:
	s_or_b64 exec, exec, s[10:11]
.LBB57_607:
	s_or_b64 exec, exec, s[8:9]
	v_mov_b32_e32 v122, 0
	ds_read_b64 v[122:123], v122 offset:40
	s_waitcnt lgkmcnt(0)
	v_mul_f64 v[117:118], v[117:118], v[122:123]
	buffer_store_dword v118, off, s[0:3], 0 offset:44
	buffer_store_dword v117, off, s[0:3], 0 offset:40
.LBB57_608:
	;; [unrolled: 59-line block ×41, first 2 shown]
	s_or_b64 exec, exec, s[6:7]
	buffer_load_dword v117, off, s[0:3], 0 offset:360
	buffer_load_dword v118, off, s[0:3], 0 offset:364
	v_cmp_gt_u32_e32 vcc, 45, v0
	s_waitcnt vmcnt(0)
	ds_write_b64 v120, v[117:118]
	s_waitcnt lgkmcnt(0)
	; wave barrier
	s_and_saveexec_b64 s[6:7], vcc
	s_cbranch_execz .LBB57_1008
; %bb.999:
	s_and_b64 vcc, exec, s[4:5]
	s_cbranch_vccnz .LBB57_1001
; %bb.1000:
	buffer_load_dword v117, v121, s[0:3], 0 offen
	buffer_load_dword v118, v121, s[0:3], 0 offen offset:4
	ds_read_b64 v[122:123], v120
	s_waitcnt vmcnt(0) lgkmcnt(0)
	v_mul_f64 v[117:118], v[117:118], v[122:123]
	s_cbranch_execz .LBB57_1002
	s_branch .LBB57_1003
.LBB57_1001:
                                        ; implicit-def: $vgpr117_vgpr118
.LBB57_1002:
	ds_read_b64 v[117:118], v120
.LBB57_1003:
	v_cmp_ne_u32_e32 vcc, 44, v0
	s_and_saveexec_b64 s[8:9], vcc
	s_cbranch_execz .LBB57_1007
; %bb.1004:
	s_mov_b32 s10, 0
	v_add_u32_e32 v122, 0x1d8, v119
	v_add3_u32 v123, v119, s10, 8
	s_mov_b64 s[10:11], 0
	v_mov_b32_e32 v124, v0
.LBB57_1005:                            ; =>This Inner Loop Header: Depth=1
	buffer_load_dword v125, v123, s[0:3], 0 offen
	buffer_load_dword v126, v123, s[0:3], 0 offen offset:4
	ds_read_b64 v[127:128], v122
	v_add_u32_e32 v124, 1, v124
	v_cmp_lt_u32_e32 vcc, 43, v124
	v_add_u32_e32 v122, 8, v122
	s_or_b64 s[10:11], vcc, s[10:11]
	v_add_u32_e32 v123, 8, v123
	s_waitcnt vmcnt(0) lgkmcnt(0)
	v_fma_f64 v[117:118], v[125:126], v[127:128], v[117:118]
	s_andn2_b64 exec, exec, s[10:11]
	s_cbranch_execnz .LBB57_1005
; %bb.1006:
	s_or_b64 exec, exec, s[10:11]
.LBB57_1007:
	s_or_b64 exec, exec, s[8:9]
	v_mov_b32_e32 v122, 0
	ds_read_b64 v[122:123], v122 offset:360
	s_waitcnt lgkmcnt(0)
	v_mul_f64 v[117:118], v[117:118], v[122:123]
	buffer_store_dword v118, off, s[0:3], 0 offset:364
	buffer_store_dword v117, off, s[0:3], 0 offset:360
.LBB57_1008:
	s_or_b64 exec, exec, s[6:7]
	buffer_load_dword v117, off, s[0:3], 0 offset:368
	buffer_load_dword v118, off, s[0:3], 0 offset:372
	v_cmp_gt_u32_e32 vcc, 46, v0
	s_waitcnt vmcnt(0)
	ds_write_b64 v120, v[117:118]
	s_waitcnt lgkmcnt(0)
	; wave barrier
	s_and_saveexec_b64 s[6:7], vcc
	s_cbranch_execz .LBB57_1018
; %bb.1009:
	s_and_b64 vcc, exec, s[4:5]
	s_cbranch_vccnz .LBB57_1011
; %bb.1010:
	buffer_load_dword v117, v121, s[0:3], 0 offen
	buffer_load_dword v118, v121, s[0:3], 0 offen offset:4
	ds_read_b64 v[122:123], v120
	s_waitcnt vmcnt(0) lgkmcnt(0)
	v_mul_f64 v[117:118], v[117:118], v[122:123]
	s_cbranch_execz .LBB57_1012
	s_branch .LBB57_1013
.LBB57_1011:
                                        ; implicit-def: $vgpr117_vgpr118
.LBB57_1012:
	ds_read_b64 v[117:118], v120
.LBB57_1013:
	v_cmp_ne_u32_e32 vcc, 45, v0
	s_and_saveexec_b64 s[8:9], vcc
	s_cbranch_execz .LBB57_1017
; %bb.1014:
	s_mov_b32 s10, 0
	v_add_u32_e32 v122, 0x1d8, v119
	v_add3_u32 v123, v119, s10, 8
	s_mov_b64 s[10:11], 0
	v_mov_b32_e32 v124, v0
.LBB57_1015:                            ; =>This Inner Loop Header: Depth=1
	buffer_load_dword v125, v123, s[0:3], 0 offen
	buffer_load_dword v126, v123, s[0:3], 0 offen offset:4
	ds_read_b64 v[127:128], v122
	v_add_u32_e32 v124, 1, v124
	v_cmp_lt_u32_e32 vcc, 44, v124
	v_add_u32_e32 v122, 8, v122
	s_or_b64 s[10:11], vcc, s[10:11]
	v_add_u32_e32 v123, 8, v123
	s_waitcnt vmcnt(0) lgkmcnt(0)
	v_fma_f64 v[117:118], v[125:126], v[127:128], v[117:118]
	s_andn2_b64 exec, exec, s[10:11]
	s_cbranch_execnz .LBB57_1015
; %bb.1016:
	s_or_b64 exec, exec, s[10:11]
.LBB57_1017:
	s_or_b64 exec, exec, s[8:9]
	v_mov_b32_e32 v122, 0
	ds_read_b64 v[122:123], v122 offset:368
	s_waitcnt lgkmcnt(0)
	v_mul_f64 v[117:118], v[117:118], v[122:123]
	buffer_store_dword v118, off, s[0:3], 0 offset:372
	buffer_store_dword v117, off, s[0:3], 0 offset:368
.LBB57_1018:
	;; [unrolled: 59-line block ×11, first 2 shown]
	s_or_b64 exec, exec, s[6:7]
	buffer_load_dword v117, off, s[0:3], 0 offset:448
	buffer_load_dword v118, off, s[0:3], 0 offset:452
	v_cmp_gt_u32_e64 s[6:7], 56, v0
	s_waitcnt vmcnt(0)
	ds_write_b64 v120, v[117:118]
	s_waitcnt lgkmcnt(0)
	; wave barrier
	s_and_saveexec_b64 s[8:9], s[6:7]
	s_cbranch_execz .LBB57_1118
; %bb.1109:
	s_and_b64 vcc, exec, s[4:5]
	s_cbranch_vccnz .LBB57_1111
; %bb.1110:
	buffer_load_dword v117, v121, s[0:3], 0 offen
	buffer_load_dword v118, v121, s[0:3], 0 offen offset:4
	ds_read_b64 v[122:123], v120
	s_waitcnt vmcnt(0) lgkmcnt(0)
	v_mul_f64 v[117:118], v[117:118], v[122:123]
	s_cbranch_execz .LBB57_1112
	s_branch .LBB57_1113
.LBB57_1111:
                                        ; implicit-def: $vgpr117_vgpr118
.LBB57_1112:
	ds_read_b64 v[117:118], v120
.LBB57_1113:
	v_cmp_ne_u32_e32 vcc, 55, v0
	s_and_saveexec_b64 s[10:11], vcc
	s_cbranch_execz .LBB57_1117
; %bb.1114:
	s_mov_b32 s12, 0
	v_add_u32_e32 v122, 0x1d8, v119
	v_add3_u32 v123, v119, s12, 8
	s_mov_b64 s[12:13], 0
	v_mov_b32_e32 v124, v0
.LBB57_1115:                            ; =>This Inner Loop Header: Depth=1
	buffer_load_dword v125, v123, s[0:3], 0 offen
	buffer_load_dword v126, v123, s[0:3], 0 offen offset:4
	ds_read_b64 v[127:128], v122
	v_add_u32_e32 v124, 1, v124
	v_cmp_lt_u32_e32 vcc, 54, v124
	v_add_u32_e32 v122, 8, v122
	s_or_b64 s[12:13], vcc, s[12:13]
	v_add_u32_e32 v123, 8, v123
	s_waitcnt vmcnt(0) lgkmcnt(0)
	v_fma_f64 v[117:118], v[125:126], v[127:128], v[117:118]
	s_andn2_b64 exec, exec, s[12:13]
	s_cbranch_execnz .LBB57_1115
; %bb.1116:
	s_or_b64 exec, exec, s[12:13]
.LBB57_1117:
	s_or_b64 exec, exec, s[10:11]
	v_mov_b32_e32 v122, 0
	ds_read_b64 v[122:123], v122 offset:448
	s_waitcnt lgkmcnt(0)
	v_mul_f64 v[117:118], v[117:118], v[122:123]
	buffer_store_dword v118, off, s[0:3], 0 offset:452
	buffer_store_dword v117, off, s[0:3], 0 offset:448
.LBB57_1118:
	s_or_b64 exec, exec, s[8:9]
	buffer_load_dword v117, off, s[0:3], 0 offset:456
	buffer_load_dword v118, off, s[0:3], 0 offset:460
	v_cmp_ne_u32_e32 vcc, 57, v0
	s_waitcnt vmcnt(0)
	ds_write_b64 v120, v[117:118]
	s_waitcnt lgkmcnt(0)
	; wave barrier
	s_and_saveexec_b64 s[8:9], vcc
	s_cbranch_execz .LBB57_1128
; %bb.1119:
	s_and_b64 vcc, exec, s[4:5]
	s_cbranch_vccnz .LBB57_1121
; %bb.1120:
	buffer_load_dword v117, v121, s[0:3], 0 offen
	buffer_load_dword v118, v121, s[0:3], 0 offen offset:4
	ds_read_b64 v[121:122], v120
	s_waitcnt vmcnt(0) lgkmcnt(0)
	v_mul_f64 v[117:118], v[117:118], v[121:122]
	s_cbranch_execz .LBB57_1122
	s_branch .LBB57_1123
.LBB57_1121:
                                        ; implicit-def: $vgpr117_vgpr118
.LBB57_1122:
	ds_read_b64 v[117:118], v120
.LBB57_1123:
	s_and_saveexec_b64 s[4:5], s[6:7]
	s_cbranch_execz .LBB57_1127
; %bb.1124:
	s_mov_b32 s6, 0
	v_add_u32_e32 v120, 0x1d8, v119
	v_add3_u32 v119, v119, s6, 8
	s_mov_b64 s[6:7], 0
.LBB57_1125:                            ; =>This Inner Loop Header: Depth=1
	buffer_load_dword v121, v119, s[0:3], 0 offen
	buffer_load_dword v122, v119, s[0:3], 0 offen offset:4
	ds_read_b64 v[123:124], v120
	v_add_u32_e32 v0, 1, v0
	v_cmp_lt_u32_e32 vcc, 55, v0
	v_add_u32_e32 v120, 8, v120
	s_or_b64 s[6:7], vcc, s[6:7]
	v_add_u32_e32 v119, 8, v119
	s_waitcnt vmcnt(0) lgkmcnt(0)
	v_fma_f64 v[117:118], v[121:122], v[123:124], v[117:118]
	s_andn2_b64 exec, exec, s[6:7]
	s_cbranch_execnz .LBB57_1125
; %bb.1126:
	s_or_b64 exec, exec, s[6:7]
.LBB57_1127:
	s_or_b64 exec, exec, s[4:5]
	v_mov_b32_e32 v0, 0
	ds_read_b64 v[119:120], v0 offset:456
	s_waitcnt lgkmcnt(0)
	v_mul_f64 v[117:118], v[117:118], v[119:120]
	buffer_store_dword v118, off, s[0:3], 0 offset:460
	buffer_store_dword v117, off, s[0:3], 0 offset:456
.LBB57_1128:
	s_or_b64 exec, exec, s[8:9]
.LBB57_1129:
	buffer_load_dword v117, off, s[0:3], 0
	buffer_load_dword v118, off, s[0:3], 0 offset:4
	buffer_load_dword v119, off, s[0:3], 0 offset:8
	;; [unrolled: 1-line block ×115, first 2 shown]
	s_waitcnt vmcnt(62)
	global_store_dwordx2 v[107:108], v[117:118], off
	global_store_dwordx2 v[109:110], v[119:120], off
	;; [unrolled: 1-line block ×27, first 2 shown]
	s_waitcnt vmcnt(62)
	global_store_dwordx2 v[51:52], v[171:172], off
	global_store_dwordx2 v[53:54], v[173:174], off
	;; [unrolled: 1-line block ×13, first 2 shown]
	s_waitcnt vmcnt(62)
	global_store_dwordx2 v[77:78], v[197:198], off
	global_store_dwordx2 v[79:80], v[199:200], off
	;; [unrolled: 1-line block ×7, first 2 shown]
	s_waitcnt vmcnt(62)
	global_store_dwordx2 v[91:92], v[211:212], off
	global_store_dwordx2 v[93:94], v[213:214], off
	;; [unrolled: 1-line block ×3, first 2 shown]
	s_waitcnt vmcnt(62)
	global_store_dwordx2 v[97:98], v[217:218], off
	global_store_dwordx2 v[99:100], v[219:220], off
	s_waitcnt vmcnt(62)
	global_store_dwordx2 v[101:102], v[221:222], off
	s_waitcnt vmcnt(61)
	;; [unrolled: 2-line block ×6, first 2 shown]
	global_store_dwordx2 v[115:116], v[231:232], off
.LBB57_1130:
	s_endpgm
	.section	.rodata,"a",@progbits
	.p2align	6, 0x0
	.amdhsa_kernel _ZN9rocsolver6v33100L18trti2_kernel_smallILi58EdPdEEv13rocblas_fill_17rocblas_diagonal_T1_iil
		.amdhsa_group_segment_fixed_size 928
		.amdhsa_private_segment_fixed_size 480
		.amdhsa_kernarg_size 32
		.amdhsa_user_sgpr_count 6
		.amdhsa_user_sgpr_private_segment_buffer 1
		.amdhsa_user_sgpr_dispatch_ptr 0
		.amdhsa_user_sgpr_queue_ptr 0
		.amdhsa_user_sgpr_kernarg_segment_ptr 1
		.amdhsa_user_sgpr_dispatch_id 0
		.amdhsa_user_sgpr_flat_scratch_init 0
		.amdhsa_user_sgpr_private_segment_size 0
		.amdhsa_uses_dynamic_stack 0
		.amdhsa_system_sgpr_private_segment_wavefront_offset 1
		.amdhsa_system_sgpr_workgroup_id_x 1
		.amdhsa_system_sgpr_workgroup_id_y 0
		.amdhsa_system_sgpr_workgroup_id_z 0
		.amdhsa_system_sgpr_workgroup_info 0
		.amdhsa_system_vgpr_workitem_id 0
		.amdhsa_next_free_vgpr 233
		.amdhsa_next_free_sgpr 71
		.amdhsa_reserve_vcc 1
		.amdhsa_reserve_flat_scratch 0
		.amdhsa_float_round_mode_32 0
		.amdhsa_float_round_mode_16_64 0
		.amdhsa_float_denorm_mode_32 3
		.amdhsa_float_denorm_mode_16_64 3
		.amdhsa_dx10_clamp 1
		.amdhsa_ieee_mode 1
		.amdhsa_fp16_overflow 0
		.amdhsa_exception_fp_ieee_invalid_op 0
		.amdhsa_exception_fp_denorm_src 0
		.amdhsa_exception_fp_ieee_div_zero 0
		.amdhsa_exception_fp_ieee_overflow 0
		.amdhsa_exception_fp_ieee_underflow 0
		.amdhsa_exception_fp_ieee_inexact 0
		.amdhsa_exception_int_div_zero 0
	.end_amdhsa_kernel
	.section	.text._ZN9rocsolver6v33100L18trti2_kernel_smallILi58EdPdEEv13rocblas_fill_17rocblas_diagonal_T1_iil,"axG",@progbits,_ZN9rocsolver6v33100L18trti2_kernel_smallILi58EdPdEEv13rocblas_fill_17rocblas_diagonal_T1_iil,comdat
.Lfunc_end57:
	.size	_ZN9rocsolver6v33100L18trti2_kernel_smallILi58EdPdEEv13rocblas_fill_17rocblas_diagonal_T1_iil, .Lfunc_end57-_ZN9rocsolver6v33100L18trti2_kernel_smallILi58EdPdEEv13rocblas_fill_17rocblas_diagonal_T1_iil
                                        ; -- End function
	.set _ZN9rocsolver6v33100L18trti2_kernel_smallILi58EdPdEEv13rocblas_fill_17rocblas_diagonal_T1_iil.num_vgpr, 233
	.set _ZN9rocsolver6v33100L18trti2_kernel_smallILi58EdPdEEv13rocblas_fill_17rocblas_diagonal_T1_iil.num_agpr, 0
	.set _ZN9rocsolver6v33100L18trti2_kernel_smallILi58EdPdEEv13rocblas_fill_17rocblas_diagonal_T1_iil.numbered_sgpr, 71
	.set _ZN9rocsolver6v33100L18trti2_kernel_smallILi58EdPdEEv13rocblas_fill_17rocblas_diagonal_T1_iil.num_named_barrier, 0
	.set _ZN9rocsolver6v33100L18trti2_kernel_smallILi58EdPdEEv13rocblas_fill_17rocblas_diagonal_T1_iil.private_seg_size, 480
	.set _ZN9rocsolver6v33100L18trti2_kernel_smallILi58EdPdEEv13rocblas_fill_17rocblas_diagonal_T1_iil.uses_vcc, 1
	.set _ZN9rocsolver6v33100L18trti2_kernel_smallILi58EdPdEEv13rocblas_fill_17rocblas_diagonal_T1_iil.uses_flat_scratch, 0
	.set _ZN9rocsolver6v33100L18trti2_kernel_smallILi58EdPdEEv13rocblas_fill_17rocblas_diagonal_T1_iil.has_dyn_sized_stack, 0
	.set _ZN9rocsolver6v33100L18trti2_kernel_smallILi58EdPdEEv13rocblas_fill_17rocblas_diagonal_T1_iil.has_recursion, 0
	.set _ZN9rocsolver6v33100L18trti2_kernel_smallILi58EdPdEEv13rocblas_fill_17rocblas_diagonal_T1_iil.has_indirect_call, 0
	.section	.AMDGPU.csdata,"",@progbits
; Kernel info:
; codeLenInByte = 34000
; TotalNumSgprs: 75
; NumVgprs: 233
; ScratchSize: 480
; MemoryBound: 0
; FloatMode: 240
; IeeeMode: 1
; LDSByteSize: 928 bytes/workgroup (compile time only)
; SGPRBlocks: 9
; VGPRBlocks: 58
; NumSGPRsForWavesPerEU: 75
; NumVGPRsForWavesPerEU: 233
; Occupancy: 1
; WaveLimiterHint : 0
; COMPUTE_PGM_RSRC2:SCRATCH_EN: 1
; COMPUTE_PGM_RSRC2:USER_SGPR: 6
; COMPUTE_PGM_RSRC2:TRAP_HANDLER: 0
; COMPUTE_PGM_RSRC2:TGID_X_EN: 1
; COMPUTE_PGM_RSRC2:TGID_Y_EN: 0
; COMPUTE_PGM_RSRC2:TGID_Z_EN: 0
; COMPUTE_PGM_RSRC2:TIDIG_COMP_CNT: 0
	.section	.text._ZN9rocsolver6v33100L18trti2_kernel_smallILi59EdPdEEv13rocblas_fill_17rocblas_diagonal_T1_iil,"axG",@progbits,_ZN9rocsolver6v33100L18trti2_kernel_smallILi59EdPdEEv13rocblas_fill_17rocblas_diagonal_T1_iil,comdat
	.globl	_ZN9rocsolver6v33100L18trti2_kernel_smallILi59EdPdEEv13rocblas_fill_17rocblas_diagonal_T1_iil ; -- Begin function _ZN9rocsolver6v33100L18trti2_kernel_smallILi59EdPdEEv13rocblas_fill_17rocblas_diagonal_T1_iil
	.p2align	8
	.type	_ZN9rocsolver6v33100L18trti2_kernel_smallILi59EdPdEEv13rocblas_fill_17rocblas_diagonal_T1_iil,@function
_ZN9rocsolver6v33100L18trti2_kernel_smallILi59EdPdEEv13rocblas_fill_17rocblas_diagonal_T1_iil: ; @_ZN9rocsolver6v33100L18trti2_kernel_smallILi59EdPdEEv13rocblas_fill_17rocblas_diagonal_T1_iil
; %bb.0:
	s_add_u32 s0, s0, s7
	s_addc_u32 s1, s1, 0
	v_cmp_gt_u32_e32 vcc, 59, v0
	s_and_saveexec_b64 s[8:9], vcc
	s_cbranch_execz .LBB58_1150
; %bb.1:
	s_load_dwordx8 s[8:15], s[4:5], 0x0
	s_ashr_i32 s7, s6, 31
	v_lshlrev_b32_e32 v126, 3, v0
	s_waitcnt lgkmcnt(0)
	s_ashr_i32 s5, s12, 31
	s_mov_b32 s4, s12
	s_mul_hi_u32 s12, s14, s6
	s_mul_i32 s7, s14, s7
	s_add_i32 s7, s12, s7
	s_mul_i32 s12, s15, s6
	s_add_i32 s7, s7, s12
	s_mul_i32 s6, s14, s6
	s_lshl_b64 s[6:7], s[6:7], 3
	s_add_u32 s6, s10, s6
	s_addc_u32 s7, s11, s7
	s_lshl_b64 s[4:5], s[4:5], 3
	s_add_u32 s4, s6, s4
	s_addc_u32 s5, s7, s5
	v_mov_b32_e32 v2, s5
	v_add_co_u32_e32 v1, vcc, s4, v126
	s_ashr_i32 s7, s13, 31
	s_mov_b32 s6, s13
	v_addc_co_u32_e32 v2, vcc, 0, v2, vcc
	s_lshl_b64 s[6:7], s[6:7], 3
	v_add_co_u32_e32 v3, vcc, s6, v1
	s_add_i32 s6, s13, s13
	v_add_u32_e32 v7, s6, v0
	v_ashrrev_i32_e32 v8, 31, v7
	v_mov_b32_e32 v4, s7
	v_lshlrev_b64 v[5:6], 3, v[7:8]
	v_addc_co_u32_e32 v4, vcc, v2, v4, vcc
	v_add_u32_e32 v9, s13, v7
	v_mov_b32_e32 v8, s5
	v_add_co_u32_e32 v5, vcc, s4, v5
	v_ashrrev_i32_e32 v10, 31, v9
	v_addc_co_u32_e32 v6, vcc, v8, v6, vcc
	v_lshlrev_b64 v[7:8], 3, v[9:10]
	v_add_u32_e32 v11, s13, v9
	v_mov_b32_e32 v10, s5
	v_add_co_u32_e32 v7, vcc, s4, v7
	v_ashrrev_i32_e32 v12, 31, v11
	v_addc_co_u32_e32 v8, vcc, v10, v8, vcc
	v_lshlrev_b64 v[9:10], 3, v[11:12]
	;; [unrolled: 6-line block ×14, first 2 shown]
	v_mov_b32_e32 v36, s5
	v_add_co_u32_e32 v33, vcc, s4, v33
	global_load_dwordx2 v[39:40], v126, s[4:5]
	global_load_dwordx2 v[47:48], v[3:4], off
	global_load_dwordx2 v[45:46], v[5:6], off
	global_load_dwordx2 v[43:44], v[7:8], off
	global_load_dwordx2 v[41:42], v[9:10], off
	global_load_dwordx2 v[55:56], v[11:12], off
	global_load_dwordx2 v[53:54], v[13:14], off
	global_load_dwordx2 v[51:52], v[15:16], off
	global_load_dwordx2 v[49:50], v[17:18], off
	global_load_dwordx2 v[63:64], v[19:20], off
	global_load_dwordx2 v[61:62], v[21:22], off
	global_load_dwordx2 v[59:60], v[23:24], off
	global_load_dwordx2 v[57:58], v[25:26], off
	v_addc_co_u32_e32 v34, vcc, v36, v34, vcc
	global_load_dwordx2 v[69:70], v[27:28], off
	global_load_dwordx2 v[67:68], v[29:30], off
	;; [unrolled: 1-line block ×4, first 2 shown]
	v_add_u32_e32 v71, s13, v35
	v_add_u32_e32 v73, s13, v71
	;; [unrolled: 1-line block ×41, first 2 shown]
	v_ashrrev_i32_e32 v38, 31, v37
	v_lshlrev_b64 v[35:36], 3, v[37:38]
	v_mov_b32_e32 v38, s5
	v_add_co_u32_e32 v35, vcc, s4, v35
	v_add_u32_e32 v37, s13, v37
	v_addc_co_u32_e32 v36, vcc, v38, v36, vcc
	v_ashrrev_i32_e32 v38, 31, v37
	v_lshlrev_b64 v[37:38], 3, v[37:38]
	v_mov_b32_e32 v72, s5
	v_add_co_u32_e32 v37, vcc, s4, v37
	v_addc_co_u32_e32 v38, vcc, v72, v38, vcc
	v_ashrrev_i32_e32 v72, 31, v71
	global_load_dwordx2 v[155:156], v[35:36], off
	global_load_dwordx2 v[120:121], v[37:38], off
	s_waitcnt vmcnt(18)
	buffer_store_dword v40, off, s[0:3], 0 offset:4
	buffer_store_dword v39, off, s[0:3], 0
	s_waitcnt vmcnt(19)
	buffer_store_dword v48, off, s[0:3], 0 offset:12
	buffer_store_dword v47, off, s[0:3], 0 offset:8
	s_waitcnt vmcnt(20)
	buffer_store_dword v46, off, s[0:3], 0 offset:20
	buffer_store_dword v45, off, s[0:3], 0 offset:16
	;; [unrolled: 3-line block ×15, first 2 shown]
	s_waitcnt vmcnt(34)
	buffer_store_dword v118, off, s[0:3], 0 offset:128
	v_lshlrev_b64 v[39:40], 3, v[71:72]
	v_mov_b32_e32 v41, s5
	v_add_co_u32_e32 v39, vcc, s4, v39
	v_ashrrev_i32_e32 v74, 31, v73
	v_addc_co_u32_e32 v40, vcc, v41, v40, vcc
	v_lshlrev_b64 v[41:42], 3, v[73:74]
	v_mov_b32_e32 v43, s5
	v_add_co_u32_e32 v41, vcc, s4, v41
	v_ashrrev_i32_e32 v76, 31, v75
	v_addc_co_u32_e32 v42, vcc, v43, v42, vcc
	;; [unrolled: 5-line block ×38, first 2 shown]
	v_lshlrev_b64 v[115:116], 3, v[151:152]
	v_mov_b32_e32 v117, s5
	v_add_co_u32_e32 v115, vcc, s4, v115
	global_load_dwordx2 v[157:158], v[39:40], off
	global_load_dwordx2 v[159:160], v[41:42], off
	;; [unrolled: 1-line block ×36, first 2 shown]
	v_addc_co_u32_e32 v116, vcc, v117, v116, vcc
	global_load_dwordx2 v[147:148], v[111:112], off
	global_load_dwordx2 v[149:150], v[113:114], off
	;; [unrolled: 1-line block ×3, first 2 shown]
	v_ashrrev_i32_e32 v154, 31, v153
	v_lshlrev_b64 v[117:118], 3, v[153:154]
	v_mov_b32_e32 v153, s5
	v_add_co_u32_e32 v117, vcc, s4, v117
	v_addc_co_u32_e32 v118, vcc, v153, v118, vcc
	global_load_dwordx2 v[153:154], v[117:118], off
	s_nop 0
	buffer_store_dword v119, off, s[0:3], 0 offset:132
	s_waitcnt vmcnt(40)
	buffer_store_dword v157, off, s[0:3], 0 offset:136
	buffer_store_dword v158, off, s[0:3], 0 offset:140
	s_waitcnt vmcnt(41)
	buffer_store_dword v159, off, s[0:3], 0 offset:144
	;; [unrolled: 3-line block ×24, first 2 shown]
	buffer_store_dword v204, off, s[0:3], 0 offset:324
	buffer_store_dword v122, off, s[0:3], 0 offset:328
	buffer_store_dword v123, off, s[0:3], 0 offset:332
	s_waitcnt vmcnt(62)
	buffer_store_dword v124, off, s[0:3], 0 offset:336
	buffer_store_dword v125, off, s[0:3], 0 offset:340
	;; [unrolled: 1-line block ×8, first 2 shown]
	s_waitcnt vmcnt(62)
	buffer_store_dword v133, off, s[0:3], 0 offset:368
	buffer_store_dword v134, off, s[0:3], 0 offset:372
	;; [unrolled: 1-line block ×16, first 2 shown]
	s_waitcnt vmcnt(62)
	buffer_store_dword v149, off, s[0:3], 0 offset:432
	buffer_store_dword v150, off, s[0:3], 0 offset:436
	;; [unrolled: 1-line block ×9, first 2 shown]
	v_mov_b32_e32 v119, 0
	s_cmpk_lg_i32 s9, 0x84
	v_mov_b32_e32 v120, 0xbff00000
	s_cselect_b64 s[10:11], -1, 0
	s_cmpk_eq_i32 s9, 0x84
	buffer_store_dword v121, off, s[0:3], 0 offset:468
	s_cbranch_scc1 .LBB58_3
; %bb.2:
	v_mov_b32_e32 v119, 0
	v_lshl_add_u32 v125, v0, 3, v119
	buffer_load_dword v119, v125, s[0:3], 0 offen
	buffer_load_dword v120, v125, s[0:3], 0 offen offset:4
	s_waitcnt vmcnt(0)
	v_div_scale_f64 v[121:122], s[4:5], v[119:120], v[119:120], 1.0
	v_rcp_f64_e32 v[123:124], v[121:122]
	v_fma_f64 v[127:128], -v[121:122], v[123:124], 1.0
	v_fma_f64 v[123:124], v[123:124], v[127:128], v[123:124]
	v_div_scale_f64 v[127:128], vcc, 1.0, v[119:120], 1.0
	v_fma_f64 v[129:130], -v[121:122], v[123:124], 1.0
	v_fma_f64 v[123:124], v[123:124], v[129:130], v[123:124]
	v_mul_f64 v[129:130], v[127:128], v[123:124]
	v_fma_f64 v[121:122], -v[121:122], v[129:130], v[127:128]
	v_div_fmas_f64 v[121:122], v[121:122], v[123:124], v[129:130]
	v_div_fixup_f64 v[119:120], v[121:122], v[119:120], 1.0
	buffer_store_dword v119, v125, s[0:3], 0 offen
	buffer_store_dword v120, v125, s[0:3], 0 offen offset:4
	v_xor_b32_e32 v120, 0x80000000, v120
.LBB58_3:
	s_cmpk_eq_i32 s8, 0x79
	v_add_u32_e32 v121, 0x1e0, v126
	v_mov_b32_e32 v122, v126
	s_mov_b64 s[4:5], -1
	ds_write_b64 v126, v[119:120]
	s_cbranch_scc1 .LBB58_577
; %bb.4:
	buffer_load_dword v119, off, s[0:3], 0 offset:456
	buffer_load_dword v120, off, s[0:3], 0 offset:460
	s_movk_i32 s12, 0x48
	s_movk_i32 s13, 0x50
	;; [unrolled: 1-line block ×48, first 2 shown]
	v_cmp_eq_u32_e64 s[4:5], 58, v0
	s_waitcnt vmcnt(0)
	ds_write_b64 v121, v[119:120]
	s_waitcnt lgkmcnt(0)
	; wave barrier
	s_and_saveexec_b64 s[6:7], s[4:5]
	s_cbranch_execz .LBB58_10
; %bb.5:
	s_and_b64 vcc, exec, s[10:11]
	s_cbranch_vccz .LBB58_7
; %bb.6:
	buffer_load_dword v119, v122, s[0:3], 0 offen
	buffer_load_dword v120, v122, s[0:3], 0 offen offset:4
	ds_read_b64 v[123:124], v121
	s_waitcnt vmcnt(0) lgkmcnt(0)
	v_mul_f64 v[119:120], v[119:120], v[123:124]
	s_cbranch_execz .LBB58_8
	s_branch .LBB58_9
.LBB58_7:
                                        ; implicit-def: $vgpr119_vgpr120
.LBB58_8:
	ds_read_b64 v[119:120], v121
.LBB58_9:
	v_mov_b32_e32 v123, 0
	ds_read_b64 v[123:124], v123 offset:456
	s_waitcnt lgkmcnt(0)
	v_mul_f64 v[119:120], v[119:120], v[123:124]
	buffer_store_dword v120, off, s[0:3], 0 offset:460
	buffer_store_dword v119, off, s[0:3], 0 offset:456
.LBB58_10:
	s_or_b64 exec, exec, s[6:7]
	buffer_load_dword v119, off, s[0:3], 0 offset:448
	buffer_load_dword v120, off, s[0:3], 0 offset:452
	s_or_b32 s14, 0, 8
	s_mov_b32 s15, 16
	s_mov_b32 s16, 24
	;; [unrolled: 1-line block ×9, first 2 shown]
	v_cmp_lt_u32_e64 s[6:7], 56, v0
	s_waitcnt vmcnt(0)
	ds_write_b64 v121, v[119:120]
	s_waitcnt lgkmcnt(0)
	; wave barrier
	s_and_saveexec_b64 s[8:9], s[6:7]
	s_cbranch_execz .LBB58_16
; %bb.11:
	s_andn2_b64 vcc, exec, s[10:11]
	s_cbranch_vccnz .LBB58_13
; %bb.12:
	buffer_load_dword v119, v122, s[0:3], 0 offen
	buffer_load_dword v120, v122, s[0:3], 0 offen offset:4
	ds_read_b64 v[123:124], v121
	s_waitcnt vmcnt(0) lgkmcnt(0)
	v_mul_f64 v[119:120], v[119:120], v[123:124]
	s_cbranch_execz .LBB58_14
	s_branch .LBB58_15
.LBB58_13:
                                        ; implicit-def: $vgpr119_vgpr120
.LBB58_14:
	ds_read_b64 v[119:120], v121
.LBB58_15:
	buffer_load_dword v123, off, s[0:3], 0 offset:456
	buffer_load_dword v124, off, s[0:3], 0 offset:460
	v_mov_b32_e32 v125, 0
	ds_read2_b64 v[127:130], v125 offset0:56 offset1:117
	s_waitcnt vmcnt(0) lgkmcnt(0)
	v_fma_f64 v[123:124], v[123:124], v[129:130], v[119:120]
	v_cndmask_b32_e64 v120, v120, v124, s[4:5]
	v_cndmask_b32_e64 v119, v119, v123, s[4:5]
	v_mul_f64 v[119:120], v[119:120], v[127:128]
	buffer_store_dword v120, off, s[0:3], 0 offset:452
	buffer_store_dword v119, off, s[0:3], 0 offset:448
.LBB58_16:
	s_or_b64 exec, exec, s[8:9]
	buffer_load_dword v119, off, s[0:3], 0 offset:440
	buffer_load_dword v120, off, s[0:3], 0 offset:444
	v_cmp_lt_u32_e64 s[4:5], 55, v0
	s_waitcnt vmcnt(0)
	ds_write_b64 v121, v[119:120]
	s_waitcnt lgkmcnt(0)
	; wave barrier
	s_and_saveexec_b64 s[8:9], s[4:5]
	s_cbranch_execz .LBB58_26
; %bb.17:
	s_andn2_b64 vcc, exec, s[10:11]
	s_cbranch_vccnz .LBB58_19
; %bb.18:
	buffer_load_dword v119, v122, s[0:3], 0 offen
	buffer_load_dword v120, v122, s[0:3], 0 offen offset:4
	ds_read_b64 v[123:124], v121
	s_waitcnt vmcnt(0) lgkmcnt(0)
	v_mul_f64 v[119:120], v[119:120], v[123:124]
	s_cbranch_execz .LBB58_20
	s_branch .LBB58_21
.LBB58_19:
                                        ; implicit-def: $vgpr119_vgpr120
.LBB58_20:
	ds_read_b64 v[119:120], v121
.LBB58_21:
	s_and_saveexec_b64 s[12:13], s[6:7]
	s_cbranch_execz .LBB58_25
; %bb.22:
	v_subrev_u32_e32 v123, 56, v0
	s_movk_i32 s71, 0x3a0
	s_mov_b64 s[6:7], 0
.LBB58_23:                              ; =>This Inner Loop Header: Depth=1
	v_mov_b32_e32 v125, s70
	buffer_load_dword v124, v125, s[0:3], 0 offen
	s_nop 0
	buffer_load_dword v125, v125, s[0:3], 0 offen offset:4
	v_mov_b32_e32 v127, s71
	ds_read_b64 v[127:128], v127
	v_add_u32_e32 v123, -1, v123
	s_add_i32 s71, s71, 8
	s_add_i32 s70, s70, 8
	v_cmp_eq_u32_e32 vcc, 0, v123
	s_or_b64 s[6:7], vcc, s[6:7]
	s_waitcnt vmcnt(0) lgkmcnt(0)
	v_fma_f64 v[119:120], v[124:125], v[127:128], v[119:120]
	s_andn2_b64 exec, exec, s[6:7]
	s_cbranch_execnz .LBB58_23
; %bb.24:
	s_or_b64 exec, exec, s[6:7]
.LBB58_25:
	s_or_b64 exec, exec, s[12:13]
	v_mov_b32_e32 v123, 0
	ds_read_b64 v[123:124], v123 offset:440
	s_waitcnt lgkmcnt(0)
	v_mul_f64 v[119:120], v[119:120], v[123:124]
	buffer_store_dword v120, off, s[0:3], 0 offset:444
	buffer_store_dword v119, off, s[0:3], 0 offset:440
.LBB58_26:
	s_or_b64 exec, exec, s[8:9]
	buffer_load_dword v119, off, s[0:3], 0 offset:432
	buffer_load_dword v120, off, s[0:3], 0 offset:436
	v_cmp_lt_u32_e64 s[6:7], 54, v0
	s_waitcnt vmcnt(0)
	ds_write_b64 v121, v[119:120]
	s_waitcnt lgkmcnt(0)
	; wave barrier
	s_and_saveexec_b64 s[8:9], s[6:7]
	s_cbranch_execz .LBB58_36
; %bb.27:
	s_andn2_b64 vcc, exec, s[10:11]
	s_cbranch_vccnz .LBB58_29
; %bb.28:
	buffer_load_dword v119, v122, s[0:3], 0 offen
	buffer_load_dword v120, v122, s[0:3], 0 offen offset:4
	ds_read_b64 v[123:124], v121
	s_waitcnt vmcnt(0) lgkmcnt(0)
	v_mul_f64 v[119:120], v[119:120], v[123:124]
	s_cbranch_execz .LBB58_30
	s_branch .LBB58_31
.LBB58_29:
                                        ; implicit-def: $vgpr119_vgpr120
.LBB58_30:
	ds_read_b64 v[119:120], v121
.LBB58_31:
	s_and_saveexec_b64 s[12:13], s[4:5]
	s_cbranch_execz .LBB58_35
; %bb.32:
	v_subrev_u32_e32 v123, 55, v0
	s_movk_i32 s70, 0x398
	s_mov_b64 s[4:5], 0
.LBB58_33:                              ; =>This Inner Loop Header: Depth=1
	v_mov_b32_e32 v125, s69
	buffer_load_dword v124, v125, s[0:3], 0 offen
	s_nop 0
	buffer_load_dword v125, v125, s[0:3], 0 offen offset:4
	v_mov_b32_e32 v127, s70
	ds_read_b64 v[127:128], v127
	v_add_u32_e32 v123, -1, v123
	s_add_i32 s70, s70, 8
	s_add_i32 s69, s69, 8
	v_cmp_eq_u32_e32 vcc, 0, v123
	s_or_b64 s[4:5], vcc, s[4:5]
	s_waitcnt vmcnt(0) lgkmcnt(0)
	v_fma_f64 v[119:120], v[124:125], v[127:128], v[119:120]
	s_andn2_b64 exec, exec, s[4:5]
	s_cbranch_execnz .LBB58_33
; %bb.34:
	s_or_b64 exec, exec, s[4:5]
.LBB58_35:
	s_or_b64 exec, exec, s[12:13]
	v_mov_b32_e32 v123, 0
	ds_read_b64 v[123:124], v123 offset:432
	s_waitcnt lgkmcnt(0)
	v_mul_f64 v[119:120], v[119:120], v[123:124]
	buffer_store_dword v120, off, s[0:3], 0 offset:436
	buffer_store_dword v119, off, s[0:3], 0 offset:432
.LBB58_36:
	;; [unrolled: 59-line block ×8, first 2 shown]
	s_or_b64 exec, exec, s[8:9]
	buffer_load_dword v119, off, s[0:3], 0 offset:376
	buffer_load_dword v120, off, s[0:3], 0 offset:380
	v_cmp_lt_u32_e64 s[4:5], 47, v0
	s_waitcnt vmcnt(0)
	ds_write_b64 v121, v[119:120]
	s_waitcnt lgkmcnt(0)
	; wave barrier
	s_and_saveexec_b64 s[8:9], s[4:5]
	s_cbranch_execz .LBB58_106
; %bb.97:
	s_andn2_b64 vcc, exec, s[10:11]
	s_cbranch_vccnz .LBB58_99
; %bb.98:
	buffer_load_dword v119, v122, s[0:3], 0 offen
	buffer_load_dword v120, v122, s[0:3], 0 offen offset:4
	ds_read_b64 v[123:124], v121
	s_waitcnt vmcnt(0) lgkmcnt(0)
	v_mul_f64 v[119:120], v[119:120], v[123:124]
	s_cbranch_execz .LBB58_100
	s_branch .LBB58_101
.LBB58_99:
                                        ; implicit-def: $vgpr119_vgpr120
.LBB58_100:
	ds_read_b64 v[119:120], v121
.LBB58_101:
	s_and_saveexec_b64 s[12:13], s[6:7]
	s_cbranch_execz .LBB58_105
; %bb.102:
	v_subrev_u32_e32 v123, 48, v0
	s_movk_i32 s63, 0x360
	s_mov_b64 s[6:7], 0
.LBB58_103:                             ; =>This Inner Loop Header: Depth=1
	v_mov_b32_e32 v125, s62
	buffer_load_dword v124, v125, s[0:3], 0 offen
	s_nop 0
	buffer_load_dword v125, v125, s[0:3], 0 offen offset:4
	v_mov_b32_e32 v127, s63
	ds_read_b64 v[127:128], v127
	v_add_u32_e32 v123, -1, v123
	s_add_i32 s63, s63, 8
	s_add_i32 s62, s62, 8
	v_cmp_eq_u32_e32 vcc, 0, v123
	s_or_b64 s[6:7], vcc, s[6:7]
	s_waitcnt vmcnt(0) lgkmcnt(0)
	v_fma_f64 v[119:120], v[124:125], v[127:128], v[119:120]
	s_andn2_b64 exec, exec, s[6:7]
	s_cbranch_execnz .LBB58_103
; %bb.104:
	s_or_b64 exec, exec, s[6:7]
.LBB58_105:
	s_or_b64 exec, exec, s[12:13]
	v_mov_b32_e32 v123, 0
	ds_read_b64 v[123:124], v123 offset:376
	s_waitcnt lgkmcnt(0)
	v_mul_f64 v[119:120], v[119:120], v[123:124]
	buffer_store_dword v120, off, s[0:3], 0 offset:380
	buffer_store_dword v119, off, s[0:3], 0 offset:376
.LBB58_106:
	s_or_b64 exec, exec, s[8:9]
	buffer_load_dword v119, off, s[0:3], 0 offset:368
	buffer_load_dword v120, off, s[0:3], 0 offset:372
	v_cmp_lt_u32_e64 s[6:7], 46, v0
	s_waitcnt vmcnt(0)
	ds_write_b64 v121, v[119:120]
	s_waitcnt lgkmcnt(0)
	; wave barrier
	s_and_saveexec_b64 s[8:9], s[6:7]
	s_cbranch_execz .LBB58_116
; %bb.107:
	s_andn2_b64 vcc, exec, s[10:11]
	s_cbranch_vccnz .LBB58_109
; %bb.108:
	buffer_load_dword v119, v122, s[0:3], 0 offen
	buffer_load_dword v120, v122, s[0:3], 0 offen offset:4
	ds_read_b64 v[123:124], v121
	s_waitcnt vmcnt(0) lgkmcnt(0)
	v_mul_f64 v[119:120], v[119:120], v[123:124]
	s_cbranch_execz .LBB58_110
	s_branch .LBB58_111
.LBB58_109:
                                        ; implicit-def: $vgpr119_vgpr120
.LBB58_110:
	ds_read_b64 v[119:120], v121
.LBB58_111:
	s_and_saveexec_b64 s[12:13], s[4:5]
	s_cbranch_execz .LBB58_115
; %bb.112:
	v_subrev_u32_e32 v123, 47, v0
	s_movk_i32 s62, 0x358
	s_mov_b64 s[4:5], 0
.LBB58_113:                             ; =>This Inner Loop Header: Depth=1
	v_mov_b32_e32 v125, s61
	buffer_load_dword v124, v125, s[0:3], 0 offen
	s_nop 0
	buffer_load_dword v125, v125, s[0:3], 0 offen offset:4
	v_mov_b32_e32 v127, s62
	ds_read_b64 v[127:128], v127
	v_add_u32_e32 v123, -1, v123
	s_add_i32 s62, s62, 8
	s_add_i32 s61, s61, 8
	v_cmp_eq_u32_e32 vcc, 0, v123
	s_or_b64 s[4:5], vcc, s[4:5]
	s_waitcnt vmcnt(0) lgkmcnt(0)
	v_fma_f64 v[119:120], v[124:125], v[127:128], v[119:120]
	s_andn2_b64 exec, exec, s[4:5]
	s_cbranch_execnz .LBB58_113
; %bb.114:
	s_or_b64 exec, exec, s[4:5]
.LBB58_115:
	s_or_b64 exec, exec, s[12:13]
	v_mov_b32_e32 v123, 0
	ds_read_b64 v[123:124], v123 offset:368
	s_waitcnt lgkmcnt(0)
	v_mul_f64 v[119:120], v[119:120], v[123:124]
	buffer_store_dword v120, off, s[0:3], 0 offset:372
	buffer_store_dword v119, off, s[0:3], 0 offset:368
.LBB58_116:
	;; [unrolled: 59-line block ×12, first 2 shown]
	s_or_b64 exec, exec, s[8:9]
	buffer_load_dword v119, off, s[0:3], 0 offset:280
	buffer_load_dword v120, off, s[0:3], 0 offset:284
	v_cmp_lt_u32_e64 s[4:5], 35, v0
	s_waitcnt vmcnt(0)
	ds_write_b64 v121, v[119:120]
	s_waitcnt lgkmcnt(0)
	; wave barrier
	s_and_saveexec_b64 s[8:9], s[4:5]
	s_cbranch_execz .LBB58_226
; %bb.217:
	s_andn2_b64 vcc, exec, s[10:11]
	s_cbranch_vccnz .LBB58_219
; %bb.218:
	buffer_load_dword v119, v122, s[0:3], 0 offen
	buffer_load_dword v120, v122, s[0:3], 0 offen offset:4
	ds_read_b64 v[123:124], v121
	s_waitcnt vmcnt(0) lgkmcnt(0)
	v_mul_f64 v[119:120], v[119:120], v[123:124]
	s_cbranch_execz .LBB58_220
	s_branch .LBB58_221
.LBB58_219:
                                        ; implicit-def: $vgpr119_vgpr120
.LBB58_220:
	ds_read_b64 v[119:120], v121
.LBB58_221:
	s_and_saveexec_b64 s[12:13], s[6:7]
	s_cbranch_execz .LBB58_225
; %bb.222:
	v_subrev_u32_e32 v123, 36, v0
	s_movk_i32 s51, 0x300
	s_mov_b64 s[6:7], 0
.LBB58_223:                             ; =>This Inner Loop Header: Depth=1
	v_mov_b32_e32 v127, s50
	buffer_load_dword v124, v127, s[0:3], 0 offen
	buffer_load_dword v125, v127, s[0:3], 0 offen offset:4
	v_mov_b32_e32 v127, s51
	ds_read_b64 v[127:128], v127
	v_add_u32_e32 v123, -1, v123
	s_add_i32 s51, s51, 8
	s_add_i32 s50, s50, 8
	v_cmp_eq_u32_e32 vcc, 0, v123
	s_or_b64 s[6:7], vcc, s[6:7]
	s_waitcnt vmcnt(0) lgkmcnt(0)
	v_fma_f64 v[119:120], v[124:125], v[127:128], v[119:120]
	s_andn2_b64 exec, exec, s[6:7]
	s_cbranch_execnz .LBB58_223
; %bb.224:
	s_or_b64 exec, exec, s[6:7]
.LBB58_225:
	s_or_b64 exec, exec, s[12:13]
	v_mov_b32_e32 v123, 0
	ds_read_b64 v[123:124], v123 offset:280
	s_waitcnt lgkmcnt(0)
	v_mul_f64 v[119:120], v[119:120], v[123:124]
	buffer_store_dword v120, off, s[0:3], 0 offset:284
	buffer_store_dword v119, off, s[0:3], 0 offset:280
.LBB58_226:
	s_or_b64 exec, exec, s[8:9]
	buffer_load_dword v119, off, s[0:3], 0 offset:272
	buffer_load_dword v120, off, s[0:3], 0 offset:276
	v_cmp_lt_u32_e64 s[6:7], 34, v0
	s_waitcnt vmcnt(0)
	ds_write_b64 v121, v[119:120]
	s_waitcnt lgkmcnt(0)
	; wave barrier
	s_and_saveexec_b64 s[8:9], s[6:7]
	s_cbranch_execz .LBB58_236
; %bb.227:
	s_andn2_b64 vcc, exec, s[10:11]
	s_cbranch_vccnz .LBB58_229
; %bb.228:
	buffer_load_dword v119, v122, s[0:3], 0 offen
	buffer_load_dword v120, v122, s[0:3], 0 offen offset:4
	ds_read_b64 v[123:124], v121
	s_waitcnt vmcnt(0) lgkmcnt(0)
	v_mul_f64 v[119:120], v[119:120], v[123:124]
	s_cbranch_execz .LBB58_230
	s_branch .LBB58_231
.LBB58_229:
                                        ; implicit-def: $vgpr119_vgpr120
.LBB58_230:
	ds_read_b64 v[119:120], v121
.LBB58_231:
	s_and_saveexec_b64 s[12:13], s[4:5]
	s_cbranch_execz .LBB58_235
; %bb.232:
	v_subrev_u32_e32 v123, 35, v0
	s_movk_i32 s50, 0x2f8
	s_mov_b64 s[4:5], 0
.LBB58_233:                             ; =>This Inner Loop Header: Depth=1
	v_mov_b32_e32 v127, s49
	buffer_load_dword v124, v127, s[0:3], 0 offen
	buffer_load_dword v125, v127, s[0:3], 0 offen offset:4
	v_mov_b32_e32 v127, s50
	ds_read_b64 v[127:128], v127
	v_add_u32_e32 v123, -1, v123
	s_add_i32 s50, s50, 8
	s_add_i32 s49, s49, 8
	v_cmp_eq_u32_e32 vcc, 0, v123
	s_or_b64 s[4:5], vcc, s[4:5]
	s_waitcnt vmcnt(0) lgkmcnt(0)
	v_fma_f64 v[119:120], v[124:125], v[127:128], v[119:120]
	s_andn2_b64 exec, exec, s[4:5]
	s_cbranch_execnz .LBB58_233
; %bb.234:
	s_or_b64 exec, exec, s[4:5]
.LBB58_235:
	s_or_b64 exec, exec, s[12:13]
	v_mov_b32_e32 v123, 0
	ds_read_b64 v[123:124], v123 offset:272
	s_waitcnt lgkmcnt(0)
	v_mul_f64 v[119:120], v[119:120], v[123:124]
	buffer_store_dword v120, off, s[0:3], 0 offset:276
	buffer_store_dword v119, off, s[0:3], 0 offset:272
.LBB58_236:
	s_or_b64 exec, exec, s[8:9]
	buffer_load_dword v119, off, s[0:3], 0 offset:264
	buffer_load_dword v120, off, s[0:3], 0 offset:268
	v_cmp_lt_u32_e64 s[4:5], 33, v0
	s_waitcnt vmcnt(0)
	ds_write_b64 v121, v[119:120]
	s_waitcnt lgkmcnt(0)
	; wave barrier
	s_and_saveexec_b64 s[8:9], s[4:5]
	s_cbranch_execz .LBB58_246
; %bb.237:
	s_andn2_b64 vcc, exec, s[10:11]
	s_cbranch_vccnz .LBB58_239
; %bb.238:
	buffer_load_dword v119, v122, s[0:3], 0 offen
	buffer_load_dword v120, v122, s[0:3], 0 offen offset:4
	ds_read_b64 v[123:124], v121
	s_waitcnt vmcnt(0) lgkmcnt(0)
	v_mul_f64 v[119:120], v[119:120], v[123:124]
	s_cbranch_execz .LBB58_240
	s_branch .LBB58_241
.LBB58_239:
                                        ; implicit-def: $vgpr119_vgpr120
.LBB58_240:
	ds_read_b64 v[119:120], v121
.LBB58_241:
	s_and_saveexec_b64 s[12:13], s[6:7]
	s_cbranch_execz .LBB58_245
; %bb.242:
	v_subrev_u32_e32 v123, 34, v0
	s_movk_i32 s49, 0x2f0
	s_mov_b64 s[6:7], 0
.LBB58_243:                             ; =>This Inner Loop Header: Depth=1
	v_mov_b32_e32 v127, s48
	buffer_load_dword v124, v127, s[0:3], 0 offen
	buffer_load_dword v125, v127, s[0:3], 0 offen offset:4
	v_mov_b32_e32 v127, s49
	ds_read_b64 v[127:128], v127
	v_add_u32_e32 v123, -1, v123
	s_add_i32 s49, s49, 8
	s_add_i32 s48, s48, 8
	v_cmp_eq_u32_e32 vcc, 0, v123
	s_or_b64 s[6:7], vcc, s[6:7]
	s_waitcnt vmcnt(0) lgkmcnt(0)
	v_fma_f64 v[119:120], v[124:125], v[127:128], v[119:120]
	s_andn2_b64 exec, exec, s[6:7]
	s_cbranch_execnz .LBB58_243
; %bb.244:
	s_or_b64 exec, exec, s[6:7]
.LBB58_245:
	s_or_b64 exec, exec, s[12:13]
	v_mov_b32_e32 v123, 0
	ds_read_b64 v[123:124], v123 offset:264
	s_waitcnt lgkmcnt(0)
	v_mul_f64 v[119:120], v[119:120], v[123:124]
	buffer_store_dword v120, off, s[0:3], 0 offset:268
	buffer_store_dword v119, off, s[0:3], 0 offset:264
.LBB58_246:
	s_or_b64 exec, exec, s[8:9]
	buffer_load_dword v119, off, s[0:3], 0 offset:256
	buffer_load_dword v120, off, s[0:3], 0 offset:260
	v_cmp_lt_u32_e64 s[6:7], 32, v0
	s_waitcnt vmcnt(0)
	ds_write_b64 v121, v[119:120]
	s_waitcnt lgkmcnt(0)
	; wave barrier
	s_and_saveexec_b64 s[8:9], s[6:7]
	s_cbranch_execz .LBB58_256
; %bb.247:
	s_andn2_b64 vcc, exec, s[10:11]
	s_cbranch_vccnz .LBB58_249
; %bb.248:
	buffer_load_dword v119, v122, s[0:3], 0 offen
	buffer_load_dword v120, v122, s[0:3], 0 offen offset:4
	ds_read_b64 v[123:124], v121
	s_waitcnt vmcnt(0) lgkmcnt(0)
	v_mul_f64 v[119:120], v[119:120], v[123:124]
	s_cbranch_execz .LBB58_250
	s_branch .LBB58_251
.LBB58_249:
                                        ; implicit-def: $vgpr119_vgpr120
.LBB58_250:
	ds_read_b64 v[119:120], v121
.LBB58_251:
	s_and_saveexec_b64 s[12:13], s[4:5]
	s_cbranch_execz .LBB58_255
; %bb.252:
	v_subrev_u32_e32 v123, 33, v0
	s_movk_i32 s48, 0x2e8
	s_mov_b64 s[4:5], 0
.LBB58_253:                             ; =>This Inner Loop Header: Depth=1
	v_mov_b32_e32 v127, s47
	buffer_load_dword v124, v127, s[0:3], 0 offen
	buffer_load_dword v125, v127, s[0:3], 0 offen offset:4
	v_mov_b32_e32 v127, s48
	ds_read_b64 v[127:128], v127
	v_add_u32_e32 v123, -1, v123
	s_add_i32 s48, s48, 8
	s_add_i32 s47, s47, 8
	v_cmp_eq_u32_e32 vcc, 0, v123
	s_or_b64 s[4:5], vcc, s[4:5]
	s_waitcnt vmcnt(0) lgkmcnt(0)
	v_fma_f64 v[119:120], v[124:125], v[127:128], v[119:120]
	s_andn2_b64 exec, exec, s[4:5]
	s_cbranch_execnz .LBB58_253
; %bb.254:
	s_or_b64 exec, exec, s[4:5]
.LBB58_255:
	s_or_b64 exec, exec, s[12:13]
	v_mov_b32_e32 v123, 0
	ds_read_b64 v[123:124], v123 offset:256
	s_waitcnt lgkmcnt(0)
	v_mul_f64 v[119:120], v[119:120], v[123:124]
	buffer_store_dword v120, off, s[0:3], 0 offset:260
	buffer_store_dword v119, off, s[0:3], 0 offset:256
.LBB58_256:
	s_or_b64 exec, exec, s[8:9]
	buffer_load_dword v119, off, s[0:3], 0 offset:248
	buffer_load_dword v120, off, s[0:3], 0 offset:252
	v_cmp_lt_u32_e64 s[4:5], 31, v0
	s_waitcnt vmcnt(0)
	ds_write_b64 v121, v[119:120]
	s_waitcnt lgkmcnt(0)
	; wave barrier
	s_and_saveexec_b64 s[8:9], s[4:5]
	s_cbranch_execz .LBB58_266
; %bb.257:
	s_andn2_b64 vcc, exec, s[10:11]
	s_cbranch_vccnz .LBB58_259
; %bb.258:
	buffer_load_dword v119, v122, s[0:3], 0 offen
	buffer_load_dword v120, v122, s[0:3], 0 offen offset:4
	ds_read_b64 v[123:124], v121
	s_waitcnt vmcnt(0) lgkmcnt(0)
	v_mul_f64 v[119:120], v[119:120], v[123:124]
	s_cbranch_execz .LBB58_260
	s_branch .LBB58_261
.LBB58_259:
                                        ; implicit-def: $vgpr119_vgpr120
.LBB58_260:
	ds_read_b64 v[119:120], v121
.LBB58_261:
	s_and_saveexec_b64 s[12:13], s[6:7]
	s_cbranch_execz .LBB58_265
; %bb.262:
	v_subrev_u32_e32 v123, 32, v0
	s_movk_i32 s47, 0x2e0
	s_mov_b64 s[6:7], 0
.LBB58_263:                             ; =>This Inner Loop Header: Depth=1
	v_mov_b32_e32 v127, s46
	buffer_load_dword v124, v127, s[0:3], 0 offen
	buffer_load_dword v125, v127, s[0:3], 0 offen offset:4
	v_mov_b32_e32 v127, s47
	ds_read_b64 v[127:128], v127
	v_add_u32_e32 v123, -1, v123
	s_add_i32 s47, s47, 8
	s_add_i32 s46, s46, 8
	v_cmp_eq_u32_e32 vcc, 0, v123
	s_or_b64 s[6:7], vcc, s[6:7]
	s_waitcnt vmcnt(0) lgkmcnt(0)
	v_fma_f64 v[119:120], v[124:125], v[127:128], v[119:120]
	s_andn2_b64 exec, exec, s[6:7]
	s_cbranch_execnz .LBB58_263
; %bb.264:
	s_or_b64 exec, exec, s[6:7]
.LBB58_265:
	s_or_b64 exec, exec, s[12:13]
	v_mov_b32_e32 v123, 0
	ds_read_b64 v[123:124], v123 offset:248
	s_waitcnt lgkmcnt(0)
	v_mul_f64 v[119:120], v[119:120], v[123:124]
	buffer_store_dword v120, off, s[0:3], 0 offset:252
	buffer_store_dword v119, off, s[0:3], 0 offset:248
.LBB58_266:
	s_or_b64 exec, exec, s[8:9]
	buffer_load_dword v119, off, s[0:3], 0 offset:240
	buffer_load_dword v120, off, s[0:3], 0 offset:244
	v_cmp_lt_u32_e64 s[6:7], 30, v0
	s_waitcnt vmcnt(0)
	ds_write_b64 v121, v[119:120]
	s_waitcnt lgkmcnt(0)
	; wave barrier
	s_and_saveexec_b64 s[8:9], s[6:7]
	s_cbranch_execz .LBB58_276
; %bb.267:
	s_andn2_b64 vcc, exec, s[10:11]
	s_cbranch_vccnz .LBB58_269
; %bb.268:
	buffer_load_dword v119, v122, s[0:3], 0 offen
	buffer_load_dword v120, v122, s[0:3], 0 offen offset:4
	ds_read_b64 v[123:124], v121
	s_waitcnt vmcnt(0) lgkmcnt(0)
	v_mul_f64 v[119:120], v[119:120], v[123:124]
	s_cbranch_execz .LBB58_270
	s_branch .LBB58_271
.LBB58_269:
                                        ; implicit-def: $vgpr119_vgpr120
.LBB58_270:
	ds_read_b64 v[119:120], v121
.LBB58_271:
	s_and_saveexec_b64 s[12:13], s[4:5]
	s_cbranch_execz .LBB58_275
; %bb.272:
	v_subrev_u32_e32 v123, 31, v0
	s_movk_i32 s46, 0x2d8
	s_mov_b64 s[4:5], 0
.LBB58_273:                             ; =>This Inner Loop Header: Depth=1
	v_mov_b32_e32 v127, s45
	buffer_load_dword v124, v127, s[0:3], 0 offen
	buffer_load_dword v125, v127, s[0:3], 0 offen offset:4
	v_mov_b32_e32 v127, s46
	ds_read_b64 v[127:128], v127
	v_add_u32_e32 v123, -1, v123
	s_add_i32 s46, s46, 8
	s_add_i32 s45, s45, 8
	v_cmp_eq_u32_e32 vcc, 0, v123
	s_or_b64 s[4:5], vcc, s[4:5]
	s_waitcnt vmcnt(0) lgkmcnt(0)
	v_fma_f64 v[119:120], v[124:125], v[127:128], v[119:120]
	s_andn2_b64 exec, exec, s[4:5]
	s_cbranch_execnz .LBB58_273
; %bb.274:
	s_or_b64 exec, exec, s[4:5]
.LBB58_275:
	s_or_b64 exec, exec, s[12:13]
	v_mov_b32_e32 v123, 0
	ds_read_b64 v[123:124], v123 offset:240
	s_waitcnt lgkmcnt(0)
	v_mul_f64 v[119:120], v[119:120], v[123:124]
	buffer_store_dword v120, off, s[0:3], 0 offset:244
	buffer_store_dword v119, off, s[0:3], 0 offset:240
.LBB58_276:
	s_or_b64 exec, exec, s[8:9]
	buffer_load_dword v119, off, s[0:3], 0 offset:232
	buffer_load_dword v120, off, s[0:3], 0 offset:236
	v_cmp_lt_u32_e64 s[4:5], 29, v0
	s_waitcnt vmcnt(0)
	ds_write_b64 v121, v[119:120]
	s_waitcnt lgkmcnt(0)
	; wave barrier
	s_and_saveexec_b64 s[8:9], s[4:5]
	s_cbranch_execz .LBB58_286
; %bb.277:
	s_andn2_b64 vcc, exec, s[10:11]
	s_cbranch_vccnz .LBB58_279
; %bb.278:
	buffer_load_dword v119, v122, s[0:3], 0 offen
	buffer_load_dword v120, v122, s[0:3], 0 offen offset:4
	ds_read_b64 v[123:124], v121
	s_waitcnt vmcnt(0) lgkmcnt(0)
	v_mul_f64 v[119:120], v[119:120], v[123:124]
	s_cbranch_execz .LBB58_280
	s_branch .LBB58_281
.LBB58_279:
                                        ; implicit-def: $vgpr119_vgpr120
.LBB58_280:
	ds_read_b64 v[119:120], v121
.LBB58_281:
	s_and_saveexec_b64 s[12:13], s[6:7]
	s_cbranch_execz .LBB58_285
; %bb.282:
	v_subrev_u32_e32 v123, 30, v0
	s_movk_i32 s45, 0x2d0
	s_mov_b64 s[6:7], 0
.LBB58_283:                             ; =>This Inner Loop Header: Depth=1
	v_mov_b32_e32 v127, s44
	buffer_load_dword v124, v127, s[0:3], 0 offen
	buffer_load_dword v125, v127, s[0:3], 0 offen offset:4
	v_mov_b32_e32 v127, s45
	ds_read_b64 v[127:128], v127
	v_add_u32_e32 v123, -1, v123
	s_add_i32 s45, s45, 8
	s_add_i32 s44, s44, 8
	v_cmp_eq_u32_e32 vcc, 0, v123
	s_or_b64 s[6:7], vcc, s[6:7]
	s_waitcnt vmcnt(0) lgkmcnt(0)
	v_fma_f64 v[119:120], v[124:125], v[127:128], v[119:120]
	s_andn2_b64 exec, exec, s[6:7]
	s_cbranch_execnz .LBB58_283
; %bb.284:
	s_or_b64 exec, exec, s[6:7]
.LBB58_285:
	s_or_b64 exec, exec, s[12:13]
	v_mov_b32_e32 v123, 0
	ds_read_b64 v[123:124], v123 offset:232
	s_waitcnt lgkmcnt(0)
	v_mul_f64 v[119:120], v[119:120], v[123:124]
	buffer_store_dword v120, off, s[0:3], 0 offset:236
	buffer_store_dword v119, off, s[0:3], 0 offset:232
.LBB58_286:
	s_or_b64 exec, exec, s[8:9]
	buffer_load_dword v119, off, s[0:3], 0 offset:224
	buffer_load_dword v120, off, s[0:3], 0 offset:228
	v_cmp_lt_u32_e64 s[6:7], 28, v0
	s_waitcnt vmcnt(0)
	ds_write_b64 v121, v[119:120]
	s_waitcnt lgkmcnt(0)
	; wave barrier
	s_and_saveexec_b64 s[8:9], s[6:7]
	s_cbranch_execz .LBB58_296
; %bb.287:
	s_andn2_b64 vcc, exec, s[10:11]
	s_cbranch_vccnz .LBB58_289
; %bb.288:
	buffer_load_dword v119, v122, s[0:3], 0 offen
	buffer_load_dword v120, v122, s[0:3], 0 offen offset:4
	ds_read_b64 v[123:124], v121
	s_waitcnt vmcnt(0) lgkmcnt(0)
	v_mul_f64 v[119:120], v[119:120], v[123:124]
	s_cbranch_execz .LBB58_290
	s_branch .LBB58_291
.LBB58_289:
                                        ; implicit-def: $vgpr119_vgpr120
.LBB58_290:
	ds_read_b64 v[119:120], v121
.LBB58_291:
	s_and_saveexec_b64 s[12:13], s[4:5]
	s_cbranch_execz .LBB58_295
; %bb.292:
	v_subrev_u32_e32 v123, 29, v0
	s_movk_i32 s44, 0x2c8
	s_mov_b64 s[4:5], 0
.LBB58_293:                             ; =>This Inner Loop Header: Depth=1
	v_mov_b32_e32 v127, s43
	buffer_load_dword v124, v127, s[0:3], 0 offen
	buffer_load_dword v125, v127, s[0:3], 0 offen offset:4
	v_mov_b32_e32 v127, s44
	ds_read_b64 v[127:128], v127
	v_add_u32_e32 v123, -1, v123
	s_add_i32 s44, s44, 8
	s_add_i32 s43, s43, 8
	v_cmp_eq_u32_e32 vcc, 0, v123
	s_or_b64 s[4:5], vcc, s[4:5]
	s_waitcnt vmcnt(0) lgkmcnt(0)
	v_fma_f64 v[119:120], v[124:125], v[127:128], v[119:120]
	s_andn2_b64 exec, exec, s[4:5]
	s_cbranch_execnz .LBB58_293
; %bb.294:
	s_or_b64 exec, exec, s[4:5]
.LBB58_295:
	s_or_b64 exec, exec, s[12:13]
	v_mov_b32_e32 v123, 0
	ds_read_b64 v[123:124], v123 offset:224
	s_waitcnt lgkmcnt(0)
	v_mul_f64 v[119:120], v[119:120], v[123:124]
	buffer_store_dword v120, off, s[0:3], 0 offset:228
	buffer_store_dword v119, off, s[0:3], 0 offset:224
.LBB58_296:
	s_or_b64 exec, exec, s[8:9]
	buffer_load_dword v119, off, s[0:3], 0 offset:216
	buffer_load_dword v120, off, s[0:3], 0 offset:220
	v_cmp_lt_u32_e64 s[4:5], 27, v0
	s_waitcnt vmcnt(0)
	ds_write_b64 v121, v[119:120]
	s_waitcnt lgkmcnt(0)
	; wave barrier
	s_and_saveexec_b64 s[8:9], s[4:5]
	s_cbranch_execz .LBB58_306
; %bb.297:
	s_andn2_b64 vcc, exec, s[10:11]
	s_cbranch_vccnz .LBB58_299
; %bb.298:
	buffer_load_dword v119, v122, s[0:3], 0 offen
	buffer_load_dword v120, v122, s[0:3], 0 offen offset:4
	ds_read_b64 v[123:124], v121
	s_waitcnt vmcnt(0) lgkmcnt(0)
	v_mul_f64 v[119:120], v[119:120], v[123:124]
	s_cbranch_execz .LBB58_300
	s_branch .LBB58_301
.LBB58_299:
                                        ; implicit-def: $vgpr119_vgpr120
.LBB58_300:
	ds_read_b64 v[119:120], v121
.LBB58_301:
	s_and_saveexec_b64 s[12:13], s[6:7]
	s_cbranch_execz .LBB58_305
; %bb.302:
	v_subrev_u32_e32 v123, 28, v0
	s_movk_i32 s43, 0x2c0
	s_mov_b64 s[6:7], 0
.LBB58_303:                             ; =>This Inner Loop Header: Depth=1
	v_mov_b32_e32 v127, s42
	buffer_load_dword v124, v127, s[0:3], 0 offen
	buffer_load_dword v125, v127, s[0:3], 0 offen offset:4
	v_mov_b32_e32 v127, s43
	ds_read_b64 v[127:128], v127
	v_add_u32_e32 v123, -1, v123
	s_add_i32 s43, s43, 8
	s_add_i32 s42, s42, 8
	v_cmp_eq_u32_e32 vcc, 0, v123
	s_or_b64 s[6:7], vcc, s[6:7]
	s_waitcnt vmcnt(0) lgkmcnt(0)
	v_fma_f64 v[119:120], v[124:125], v[127:128], v[119:120]
	s_andn2_b64 exec, exec, s[6:7]
	s_cbranch_execnz .LBB58_303
; %bb.304:
	s_or_b64 exec, exec, s[6:7]
.LBB58_305:
	s_or_b64 exec, exec, s[12:13]
	v_mov_b32_e32 v123, 0
	ds_read_b64 v[123:124], v123 offset:216
	s_waitcnt lgkmcnt(0)
	v_mul_f64 v[119:120], v[119:120], v[123:124]
	buffer_store_dword v120, off, s[0:3], 0 offset:220
	buffer_store_dword v119, off, s[0:3], 0 offset:216
.LBB58_306:
	s_or_b64 exec, exec, s[8:9]
	buffer_load_dword v119, off, s[0:3], 0 offset:208
	buffer_load_dword v120, off, s[0:3], 0 offset:212
	v_cmp_lt_u32_e64 s[6:7], 26, v0
	s_waitcnt vmcnt(0)
	ds_write_b64 v121, v[119:120]
	s_waitcnt lgkmcnt(0)
	; wave barrier
	s_and_saveexec_b64 s[8:9], s[6:7]
	s_cbranch_execz .LBB58_316
; %bb.307:
	s_andn2_b64 vcc, exec, s[10:11]
	s_cbranch_vccnz .LBB58_309
; %bb.308:
	buffer_load_dword v119, v122, s[0:3], 0 offen
	buffer_load_dword v120, v122, s[0:3], 0 offen offset:4
	ds_read_b64 v[123:124], v121
	s_waitcnt vmcnt(0) lgkmcnt(0)
	v_mul_f64 v[119:120], v[119:120], v[123:124]
	s_cbranch_execz .LBB58_310
	s_branch .LBB58_311
.LBB58_309:
                                        ; implicit-def: $vgpr119_vgpr120
.LBB58_310:
	ds_read_b64 v[119:120], v121
.LBB58_311:
	s_and_saveexec_b64 s[12:13], s[4:5]
	s_cbranch_execz .LBB58_315
; %bb.312:
	v_subrev_u32_e32 v123, 27, v0
	s_movk_i32 s42, 0x2b8
	s_mov_b64 s[4:5], 0
.LBB58_313:                             ; =>This Inner Loop Header: Depth=1
	v_mov_b32_e32 v127, s41
	buffer_load_dword v124, v127, s[0:3], 0 offen
	buffer_load_dword v125, v127, s[0:3], 0 offen offset:4
	v_mov_b32_e32 v127, s42
	ds_read_b64 v[127:128], v127
	v_add_u32_e32 v123, -1, v123
	s_add_i32 s42, s42, 8
	s_add_i32 s41, s41, 8
	v_cmp_eq_u32_e32 vcc, 0, v123
	s_or_b64 s[4:5], vcc, s[4:5]
	s_waitcnt vmcnt(0) lgkmcnt(0)
	v_fma_f64 v[119:120], v[124:125], v[127:128], v[119:120]
	s_andn2_b64 exec, exec, s[4:5]
	s_cbranch_execnz .LBB58_313
; %bb.314:
	s_or_b64 exec, exec, s[4:5]
.LBB58_315:
	s_or_b64 exec, exec, s[12:13]
	v_mov_b32_e32 v123, 0
	ds_read_b64 v[123:124], v123 offset:208
	s_waitcnt lgkmcnt(0)
	v_mul_f64 v[119:120], v[119:120], v[123:124]
	buffer_store_dword v120, off, s[0:3], 0 offset:212
	buffer_store_dword v119, off, s[0:3], 0 offset:208
.LBB58_316:
	s_or_b64 exec, exec, s[8:9]
	buffer_load_dword v119, off, s[0:3], 0 offset:200
	buffer_load_dword v120, off, s[0:3], 0 offset:204
	v_cmp_lt_u32_e64 s[4:5], 25, v0
	s_waitcnt vmcnt(0)
	ds_write_b64 v121, v[119:120]
	s_waitcnt lgkmcnt(0)
	; wave barrier
	s_and_saveexec_b64 s[8:9], s[4:5]
	s_cbranch_execz .LBB58_326
; %bb.317:
	s_andn2_b64 vcc, exec, s[10:11]
	s_cbranch_vccnz .LBB58_319
; %bb.318:
	buffer_load_dword v119, v122, s[0:3], 0 offen
	buffer_load_dword v120, v122, s[0:3], 0 offen offset:4
	ds_read_b64 v[123:124], v121
	s_waitcnt vmcnt(0) lgkmcnt(0)
	v_mul_f64 v[119:120], v[119:120], v[123:124]
	s_cbranch_execz .LBB58_320
	s_branch .LBB58_321
.LBB58_319:
                                        ; implicit-def: $vgpr119_vgpr120
.LBB58_320:
	ds_read_b64 v[119:120], v121
.LBB58_321:
	s_and_saveexec_b64 s[12:13], s[6:7]
	s_cbranch_execz .LBB58_325
; %bb.322:
	v_subrev_u32_e32 v123, 26, v0
	s_movk_i32 s41, 0x2b0
	s_mov_b64 s[6:7], 0
.LBB58_323:                             ; =>This Inner Loop Header: Depth=1
	v_mov_b32_e32 v127, s40
	buffer_load_dword v124, v127, s[0:3], 0 offen
	buffer_load_dword v125, v127, s[0:3], 0 offen offset:4
	v_mov_b32_e32 v127, s41
	ds_read_b64 v[127:128], v127
	v_add_u32_e32 v123, -1, v123
	s_add_i32 s41, s41, 8
	s_add_i32 s40, s40, 8
	v_cmp_eq_u32_e32 vcc, 0, v123
	s_or_b64 s[6:7], vcc, s[6:7]
	s_waitcnt vmcnt(0) lgkmcnt(0)
	v_fma_f64 v[119:120], v[124:125], v[127:128], v[119:120]
	s_andn2_b64 exec, exec, s[6:7]
	s_cbranch_execnz .LBB58_323
; %bb.324:
	s_or_b64 exec, exec, s[6:7]
.LBB58_325:
	s_or_b64 exec, exec, s[12:13]
	v_mov_b32_e32 v123, 0
	ds_read_b64 v[123:124], v123 offset:200
	s_waitcnt lgkmcnt(0)
	v_mul_f64 v[119:120], v[119:120], v[123:124]
	buffer_store_dword v120, off, s[0:3], 0 offset:204
	buffer_store_dword v119, off, s[0:3], 0 offset:200
.LBB58_326:
	s_or_b64 exec, exec, s[8:9]
	buffer_load_dword v119, off, s[0:3], 0 offset:192
	buffer_load_dword v120, off, s[0:3], 0 offset:196
	v_cmp_lt_u32_e64 s[6:7], 24, v0
	s_waitcnt vmcnt(0)
	ds_write_b64 v121, v[119:120]
	s_waitcnt lgkmcnt(0)
	; wave barrier
	s_and_saveexec_b64 s[8:9], s[6:7]
	s_cbranch_execz .LBB58_336
; %bb.327:
	s_andn2_b64 vcc, exec, s[10:11]
	s_cbranch_vccnz .LBB58_329
; %bb.328:
	buffer_load_dword v119, v122, s[0:3], 0 offen
	buffer_load_dword v120, v122, s[0:3], 0 offen offset:4
	ds_read_b64 v[123:124], v121
	s_waitcnt vmcnt(0) lgkmcnt(0)
	v_mul_f64 v[119:120], v[119:120], v[123:124]
	s_cbranch_execz .LBB58_330
	s_branch .LBB58_331
.LBB58_329:
                                        ; implicit-def: $vgpr119_vgpr120
.LBB58_330:
	ds_read_b64 v[119:120], v121
.LBB58_331:
	s_and_saveexec_b64 s[12:13], s[4:5]
	s_cbranch_execz .LBB58_335
; %bb.332:
	v_subrev_u32_e32 v123, 25, v0
	s_movk_i32 s40, 0x2a8
	s_mov_b64 s[4:5], 0
.LBB58_333:                             ; =>This Inner Loop Header: Depth=1
	v_mov_b32_e32 v127, s39
	buffer_load_dword v124, v127, s[0:3], 0 offen
	buffer_load_dword v125, v127, s[0:3], 0 offen offset:4
	v_mov_b32_e32 v127, s40
	ds_read_b64 v[127:128], v127
	v_add_u32_e32 v123, -1, v123
	s_add_i32 s40, s40, 8
	s_add_i32 s39, s39, 8
	v_cmp_eq_u32_e32 vcc, 0, v123
	s_or_b64 s[4:5], vcc, s[4:5]
	s_waitcnt vmcnt(0) lgkmcnt(0)
	v_fma_f64 v[119:120], v[124:125], v[127:128], v[119:120]
	s_andn2_b64 exec, exec, s[4:5]
	s_cbranch_execnz .LBB58_333
; %bb.334:
	s_or_b64 exec, exec, s[4:5]
.LBB58_335:
	s_or_b64 exec, exec, s[12:13]
	v_mov_b32_e32 v123, 0
	ds_read_b64 v[123:124], v123 offset:192
	s_waitcnt lgkmcnt(0)
	v_mul_f64 v[119:120], v[119:120], v[123:124]
	buffer_store_dword v120, off, s[0:3], 0 offset:196
	buffer_store_dword v119, off, s[0:3], 0 offset:192
.LBB58_336:
	s_or_b64 exec, exec, s[8:9]
	buffer_load_dword v119, off, s[0:3], 0 offset:184
	buffer_load_dword v120, off, s[0:3], 0 offset:188
	v_cmp_lt_u32_e64 s[4:5], 23, v0
	s_waitcnt vmcnt(0)
	ds_write_b64 v121, v[119:120]
	s_waitcnt lgkmcnt(0)
	; wave barrier
	s_and_saveexec_b64 s[8:9], s[4:5]
	s_cbranch_execz .LBB58_346
; %bb.337:
	s_andn2_b64 vcc, exec, s[10:11]
	s_cbranch_vccnz .LBB58_339
; %bb.338:
	buffer_load_dword v119, v122, s[0:3], 0 offen
	buffer_load_dword v120, v122, s[0:3], 0 offen offset:4
	ds_read_b64 v[123:124], v121
	s_waitcnt vmcnt(0) lgkmcnt(0)
	v_mul_f64 v[119:120], v[119:120], v[123:124]
	s_cbranch_execz .LBB58_340
	s_branch .LBB58_341
.LBB58_339:
                                        ; implicit-def: $vgpr119_vgpr120
.LBB58_340:
	ds_read_b64 v[119:120], v121
.LBB58_341:
	s_and_saveexec_b64 s[12:13], s[6:7]
	s_cbranch_execz .LBB58_345
; %bb.342:
	v_subrev_u32_e32 v123, 24, v0
	s_movk_i32 s39, 0x2a0
	s_mov_b64 s[6:7], 0
.LBB58_343:                             ; =>This Inner Loop Header: Depth=1
	v_mov_b32_e32 v127, s38
	buffer_load_dword v124, v127, s[0:3], 0 offen
	buffer_load_dword v125, v127, s[0:3], 0 offen offset:4
	v_mov_b32_e32 v127, s39
	ds_read_b64 v[127:128], v127
	v_add_u32_e32 v123, -1, v123
	s_add_i32 s39, s39, 8
	s_add_i32 s38, s38, 8
	v_cmp_eq_u32_e32 vcc, 0, v123
	s_or_b64 s[6:7], vcc, s[6:7]
	s_waitcnt vmcnt(0) lgkmcnt(0)
	v_fma_f64 v[119:120], v[124:125], v[127:128], v[119:120]
	s_andn2_b64 exec, exec, s[6:7]
	s_cbranch_execnz .LBB58_343
; %bb.344:
	s_or_b64 exec, exec, s[6:7]
.LBB58_345:
	s_or_b64 exec, exec, s[12:13]
	v_mov_b32_e32 v123, 0
	ds_read_b64 v[123:124], v123 offset:184
	s_waitcnt lgkmcnt(0)
	v_mul_f64 v[119:120], v[119:120], v[123:124]
	buffer_store_dword v120, off, s[0:3], 0 offset:188
	buffer_store_dword v119, off, s[0:3], 0 offset:184
.LBB58_346:
	s_or_b64 exec, exec, s[8:9]
	buffer_load_dword v119, off, s[0:3], 0 offset:176
	buffer_load_dword v120, off, s[0:3], 0 offset:180
	v_cmp_lt_u32_e64 s[6:7], 22, v0
	s_waitcnt vmcnt(0)
	ds_write_b64 v121, v[119:120]
	s_waitcnt lgkmcnt(0)
	; wave barrier
	s_and_saveexec_b64 s[8:9], s[6:7]
	s_cbranch_execz .LBB58_356
; %bb.347:
	s_andn2_b64 vcc, exec, s[10:11]
	s_cbranch_vccnz .LBB58_349
; %bb.348:
	buffer_load_dword v119, v122, s[0:3], 0 offen
	buffer_load_dword v120, v122, s[0:3], 0 offen offset:4
	ds_read_b64 v[123:124], v121
	s_waitcnt vmcnt(0) lgkmcnt(0)
	v_mul_f64 v[119:120], v[119:120], v[123:124]
	s_cbranch_execz .LBB58_350
	s_branch .LBB58_351
.LBB58_349:
                                        ; implicit-def: $vgpr119_vgpr120
.LBB58_350:
	ds_read_b64 v[119:120], v121
.LBB58_351:
	s_and_saveexec_b64 s[12:13], s[4:5]
	s_cbranch_execz .LBB58_355
; %bb.352:
	v_subrev_u32_e32 v123, 23, v0
	s_movk_i32 s38, 0x298
	s_mov_b64 s[4:5], 0
.LBB58_353:                             ; =>This Inner Loop Header: Depth=1
	v_mov_b32_e32 v127, s37
	buffer_load_dword v124, v127, s[0:3], 0 offen
	buffer_load_dword v125, v127, s[0:3], 0 offen offset:4
	v_mov_b32_e32 v127, s38
	ds_read_b64 v[127:128], v127
	v_add_u32_e32 v123, -1, v123
	s_add_i32 s38, s38, 8
	s_add_i32 s37, s37, 8
	v_cmp_eq_u32_e32 vcc, 0, v123
	s_or_b64 s[4:5], vcc, s[4:5]
	s_waitcnt vmcnt(0) lgkmcnt(0)
	v_fma_f64 v[119:120], v[124:125], v[127:128], v[119:120]
	s_andn2_b64 exec, exec, s[4:5]
	s_cbranch_execnz .LBB58_353
; %bb.354:
	s_or_b64 exec, exec, s[4:5]
.LBB58_355:
	s_or_b64 exec, exec, s[12:13]
	v_mov_b32_e32 v123, 0
	ds_read_b64 v[123:124], v123 offset:176
	s_waitcnt lgkmcnt(0)
	v_mul_f64 v[119:120], v[119:120], v[123:124]
	buffer_store_dword v120, off, s[0:3], 0 offset:180
	buffer_store_dword v119, off, s[0:3], 0 offset:176
.LBB58_356:
	s_or_b64 exec, exec, s[8:9]
	buffer_load_dword v119, off, s[0:3], 0 offset:168
	buffer_load_dword v120, off, s[0:3], 0 offset:172
	v_cmp_lt_u32_e64 s[4:5], 21, v0
	s_waitcnt vmcnt(0)
	ds_write_b64 v121, v[119:120]
	s_waitcnt lgkmcnt(0)
	; wave barrier
	s_and_saveexec_b64 s[8:9], s[4:5]
	s_cbranch_execz .LBB58_366
; %bb.357:
	s_andn2_b64 vcc, exec, s[10:11]
	s_cbranch_vccnz .LBB58_359
; %bb.358:
	buffer_load_dword v119, v122, s[0:3], 0 offen
	buffer_load_dword v120, v122, s[0:3], 0 offen offset:4
	ds_read_b64 v[123:124], v121
	s_waitcnt vmcnt(0) lgkmcnt(0)
	v_mul_f64 v[119:120], v[119:120], v[123:124]
	s_cbranch_execz .LBB58_360
	s_branch .LBB58_361
.LBB58_359:
                                        ; implicit-def: $vgpr119_vgpr120
.LBB58_360:
	ds_read_b64 v[119:120], v121
.LBB58_361:
	s_and_saveexec_b64 s[12:13], s[6:7]
	s_cbranch_execz .LBB58_365
; %bb.362:
	v_subrev_u32_e32 v123, 22, v0
	s_movk_i32 s37, 0x290
	s_mov_b64 s[6:7], 0
.LBB58_363:                             ; =>This Inner Loop Header: Depth=1
	v_mov_b32_e32 v127, s36
	buffer_load_dword v124, v127, s[0:3], 0 offen
	buffer_load_dword v125, v127, s[0:3], 0 offen offset:4
	v_mov_b32_e32 v127, s37
	ds_read_b64 v[127:128], v127
	v_add_u32_e32 v123, -1, v123
	s_add_i32 s37, s37, 8
	s_add_i32 s36, s36, 8
	v_cmp_eq_u32_e32 vcc, 0, v123
	s_or_b64 s[6:7], vcc, s[6:7]
	s_waitcnt vmcnt(0) lgkmcnt(0)
	v_fma_f64 v[119:120], v[124:125], v[127:128], v[119:120]
	s_andn2_b64 exec, exec, s[6:7]
	s_cbranch_execnz .LBB58_363
; %bb.364:
	s_or_b64 exec, exec, s[6:7]
.LBB58_365:
	s_or_b64 exec, exec, s[12:13]
	v_mov_b32_e32 v123, 0
	ds_read_b64 v[123:124], v123 offset:168
	s_waitcnt lgkmcnt(0)
	v_mul_f64 v[119:120], v[119:120], v[123:124]
	buffer_store_dword v120, off, s[0:3], 0 offset:172
	buffer_store_dword v119, off, s[0:3], 0 offset:168
.LBB58_366:
	s_or_b64 exec, exec, s[8:9]
	buffer_load_dword v119, off, s[0:3], 0 offset:160
	buffer_load_dword v120, off, s[0:3], 0 offset:164
	v_cmp_lt_u32_e64 s[6:7], 20, v0
	s_waitcnt vmcnt(0)
	ds_write_b64 v121, v[119:120]
	s_waitcnt lgkmcnt(0)
	; wave barrier
	s_and_saveexec_b64 s[8:9], s[6:7]
	s_cbranch_execz .LBB58_376
; %bb.367:
	s_andn2_b64 vcc, exec, s[10:11]
	s_cbranch_vccnz .LBB58_369
; %bb.368:
	buffer_load_dword v119, v122, s[0:3], 0 offen
	buffer_load_dword v120, v122, s[0:3], 0 offen offset:4
	ds_read_b64 v[123:124], v121
	s_waitcnt vmcnt(0) lgkmcnt(0)
	v_mul_f64 v[119:120], v[119:120], v[123:124]
	s_cbranch_execz .LBB58_370
	s_branch .LBB58_371
.LBB58_369:
                                        ; implicit-def: $vgpr119_vgpr120
.LBB58_370:
	ds_read_b64 v[119:120], v121
.LBB58_371:
	s_and_saveexec_b64 s[12:13], s[4:5]
	s_cbranch_execz .LBB58_375
; %bb.372:
	v_subrev_u32_e32 v123, 21, v0
	s_movk_i32 s36, 0x288
	s_mov_b64 s[4:5], 0
.LBB58_373:                             ; =>This Inner Loop Header: Depth=1
	v_mov_b32_e32 v127, s35
	buffer_load_dword v124, v127, s[0:3], 0 offen
	buffer_load_dword v125, v127, s[0:3], 0 offen offset:4
	v_mov_b32_e32 v127, s36
	ds_read_b64 v[127:128], v127
	v_add_u32_e32 v123, -1, v123
	s_add_i32 s36, s36, 8
	s_add_i32 s35, s35, 8
	v_cmp_eq_u32_e32 vcc, 0, v123
	s_or_b64 s[4:5], vcc, s[4:5]
	s_waitcnt vmcnt(0) lgkmcnt(0)
	v_fma_f64 v[119:120], v[124:125], v[127:128], v[119:120]
	s_andn2_b64 exec, exec, s[4:5]
	s_cbranch_execnz .LBB58_373
; %bb.374:
	s_or_b64 exec, exec, s[4:5]
.LBB58_375:
	s_or_b64 exec, exec, s[12:13]
	v_mov_b32_e32 v123, 0
	ds_read_b64 v[123:124], v123 offset:160
	s_waitcnt lgkmcnt(0)
	v_mul_f64 v[119:120], v[119:120], v[123:124]
	buffer_store_dword v120, off, s[0:3], 0 offset:164
	buffer_store_dword v119, off, s[0:3], 0 offset:160
.LBB58_376:
	s_or_b64 exec, exec, s[8:9]
	buffer_load_dword v119, off, s[0:3], 0 offset:152
	buffer_load_dword v120, off, s[0:3], 0 offset:156
	v_cmp_lt_u32_e64 s[4:5], 19, v0
	s_waitcnt vmcnt(0)
	ds_write_b64 v121, v[119:120]
	s_waitcnt lgkmcnt(0)
	; wave barrier
	s_and_saveexec_b64 s[8:9], s[4:5]
	s_cbranch_execz .LBB58_386
; %bb.377:
	s_andn2_b64 vcc, exec, s[10:11]
	s_cbranch_vccnz .LBB58_379
; %bb.378:
	buffer_load_dword v119, v122, s[0:3], 0 offen
	buffer_load_dword v120, v122, s[0:3], 0 offen offset:4
	ds_read_b64 v[123:124], v121
	s_waitcnt vmcnt(0) lgkmcnt(0)
	v_mul_f64 v[119:120], v[119:120], v[123:124]
	s_cbranch_execz .LBB58_380
	s_branch .LBB58_381
.LBB58_379:
                                        ; implicit-def: $vgpr119_vgpr120
.LBB58_380:
	ds_read_b64 v[119:120], v121
.LBB58_381:
	s_and_saveexec_b64 s[12:13], s[6:7]
	s_cbranch_execz .LBB58_385
; %bb.382:
	v_subrev_u32_e32 v123, 20, v0
	s_movk_i32 s35, 0x280
	s_mov_b64 s[6:7], 0
.LBB58_383:                             ; =>This Inner Loop Header: Depth=1
	v_mov_b32_e32 v127, s34
	buffer_load_dword v124, v127, s[0:3], 0 offen
	buffer_load_dword v125, v127, s[0:3], 0 offen offset:4
	v_mov_b32_e32 v127, s35
	ds_read_b64 v[127:128], v127
	v_add_u32_e32 v123, -1, v123
	s_add_i32 s35, s35, 8
	s_add_i32 s34, s34, 8
	v_cmp_eq_u32_e32 vcc, 0, v123
	s_or_b64 s[6:7], vcc, s[6:7]
	s_waitcnt vmcnt(0) lgkmcnt(0)
	v_fma_f64 v[119:120], v[124:125], v[127:128], v[119:120]
	s_andn2_b64 exec, exec, s[6:7]
	s_cbranch_execnz .LBB58_383
; %bb.384:
	s_or_b64 exec, exec, s[6:7]
.LBB58_385:
	s_or_b64 exec, exec, s[12:13]
	v_mov_b32_e32 v123, 0
	ds_read_b64 v[123:124], v123 offset:152
	s_waitcnt lgkmcnt(0)
	v_mul_f64 v[119:120], v[119:120], v[123:124]
	buffer_store_dword v120, off, s[0:3], 0 offset:156
	buffer_store_dword v119, off, s[0:3], 0 offset:152
.LBB58_386:
	s_or_b64 exec, exec, s[8:9]
	buffer_load_dword v119, off, s[0:3], 0 offset:144
	buffer_load_dword v120, off, s[0:3], 0 offset:148
	v_cmp_lt_u32_e64 s[6:7], 18, v0
	s_waitcnt vmcnt(0)
	ds_write_b64 v121, v[119:120]
	s_waitcnt lgkmcnt(0)
	; wave barrier
	s_and_saveexec_b64 s[8:9], s[6:7]
	s_cbranch_execz .LBB58_396
; %bb.387:
	s_andn2_b64 vcc, exec, s[10:11]
	s_cbranch_vccnz .LBB58_389
; %bb.388:
	buffer_load_dword v119, v122, s[0:3], 0 offen
	buffer_load_dword v120, v122, s[0:3], 0 offen offset:4
	ds_read_b64 v[123:124], v121
	s_waitcnt vmcnt(0) lgkmcnt(0)
	v_mul_f64 v[119:120], v[119:120], v[123:124]
	s_cbranch_execz .LBB58_390
	s_branch .LBB58_391
.LBB58_389:
                                        ; implicit-def: $vgpr119_vgpr120
.LBB58_390:
	ds_read_b64 v[119:120], v121
.LBB58_391:
	s_and_saveexec_b64 s[12:13], s[4:5]
	s_cbranch_execz .LBB58_395
; %bb.392:
	v_subrev_u32_e32 v123, 19, v0
	s_movk_i32 s34, 0x278
	s_mov_b64 s[4:5], 0
.LBB58_393:                             ; =>This Inner Loop Header: Depth=1
	v_mov_b32_e32 v127, s33
	buffer_load_dword v124, v127, s[0:3], 0 offen
	buffer_load_dword v125, v127, s[0:3], 0 offen offset:4
	v_mov_b32_e32 v127, s34
	ds_read_b64 v[127:128], v127
	v_add_u32_e32 v123, -1, v123
	s_add_i32 s34, s34, 8
	s_add_i32 s33, s33, 8
	v_cmp_eq_u32_e32 vcc, 0, v123
	s_or_b64 s[4:5], vcc, s[4:5]
	s_waitcnt vmcnt(0) lgkmcnt(0)
	v_fma_f64 v[119:120], v[124:125], v[127:128], v[119:120]
	s_andn2_b64 exec, exec, s[4:5]
	s_cbranch_execnz .LBB58_393
; %bb.394:
	s_or_b64 exec, exec, s[4:5]
.LBB58_395:
	s_or_b64 exec, exec, s[12:13]
	v_mov_b32_e32 v123, 0
	ds_read_b64 v[123:124], v123 offset:144
	s_waitcnt lgkmcnt(0)
	v_mul_f64 v[119:120], v[119:120], v[123:124]
	buffer_store_dword v120, off, s[0:3], 0 offset:148
	buffer_store_dword v119, off, s[0:3], 0 offset:144
.LBB58_396:
	s_or_b64 exec, exec, s[8:9]
	buffer_load_dword v119, off, s[0:3], 0 offset:136
	buffer_load_dword v120, off, s[0:3], 0 offset:140
	v_cmp_lt_u32_e64 s[4:5], 17, v0
	s_waitcnt vmcnt(0)
	ds_write_b64 v121, v[119:120]
	s_waitcnt lgkmcnt(0)
	; wave barrier
	s_and_saveexec_b64 s[8:9], s[4:5]
	s_cbranch_execz .LBB58_406
; %bb.397:
	s_andn2_b64 vcc, exec, s[10:11]
	s_cbranch_vccnz .LBB58_399
; %bb.398:
	buffer_load_dword v119, v122, s[0:3], 0 offen
	buffer_load_dword v120, v122, s[0:3], 0 offen offset:4
	ds_read_b64 v[123:124], v121
	s_waitcnt vmcnt(0) lgkmcnt(0)
	v_mul_f64 v[119:120], v[119:120], v[123:124]
	s_cbranch_execz .LBB58_400
	s_branch .LBB58_401
.LBB58_399:
                                        ; implicit-def: $vgpr119_vgpr120
.LBB58_400:
	ds_read_b64 v[119:120], v121
.LBB58_401:
	s_and_saveexec_b64 s[12:13], s[6:7]
	s_cbranch_execz .LBB58_405
; %bb.402:
	v_subrev_u32_e32 v123, 18, v0
	s_movk_i32 s33, 0x270
	s_mov_b64 s[6:7], 0
.LBB58_403:                             ; =>This Inner Loop Header: Depth=1
	v_mov_b32_e32 v127, s31
	buffer_load_dword v124, v127, s[0:3], 0 offen
	buffer_load_dword v125, v127, s[0:3], 0 offen offset:4
	v_mov_b32_e32 v127, s33
	ds_read_b64 v[127:128], v127
	v_add_u32_e32 v123, -1, v123
	s_add_i32 s33, s33, 8
	s_add_i32 s31, s31, 8
	v_cmp_eq_u32_e32 vcc, 0, v123
	s_or_b64 s[6:7], vcc, s[6:7]
	s_waitcnt vmcnt(0) lgkmcnt(0)
	v_fma_f64 v[119:120], v[124:125], v[127:128], v[119:120]
	s_andn2_b64 exec, exec, s[6:7]
	s_cbranch_execnz .LBB58_403
; %bb.404:
	s_or_b64 exec, exec, s[6:7]
.LBB58_405:
	s_or_b64 exec, exec, s[12:13]
	v_mov_b32_e32 v123, 0
	ds_read_b64 v[123:124], v123 offset:136
	s_waitcnt lgkmcnt(0)
	v_mul_f64 v[119:120], v[119:120], v[123:124]
	buffer_store_dword v120, off, s[0:3], 0 offset:140
	buffer_store_dword v119, off, s[0:3], 0 offset:136
.LBB58_406:
	s_or_b64 exec, exec, s[8:9]
	buffer_load_dword v119, off, s[0:3], 0 offset:128
	buffer_load_dword v120, off, s[0:3], 0 offset:132
	v_cmp_lt_u32_e64 s[6:7], 16, v0
	s_waitcnt vmcnt(0)
	ds_write_b64 v121, v[119:120]
	s_waitcnt lgkmcnt(0)
	; wave barrier
	s_and_saveexec_b64 s[8:9], s[6:7]
	s_cbranch_execz .LBB58_416
; %bb.407:
	s_andn2_b64 vcc, exec, s[10:11]
	s_cbranch_vccnz .LBB58_409
; %bb.408:
	buffer_load_dword v119, v122, s[0:3], 0 offen
	buffer_load_dword v120, v122, s[0:3], 0 offen offset:4
	ds_read_b64 v[123:124], v121
	s_waitcnt vmcnt(0) lgkmcnt(0)
	v_mul_f64 v[119:120], v[119:120], v[123:124]
	s_cbranch_execz .LBB58_410
	s_branch .LBB58_411
.LBB58_409:
                                        ; implicit-def: $vgpr119_vgpr120
.LBB58_410:
	ds_read_b64 v[119:120], v121
.LBB58_411:
	s_and_saveexec_b64 s[12:13], s[4:5]
	s_cbranch_execz .LBB58_415
; %bb.412:
	v_subrev_u32_e32 v123, 17, v0
	s_movk_i32 s31, 0x268
	s_mov_b64 s[4:5], 0
.LBB58_413:                             ; =>This Inner Loop Header: Depth=1
	v_mov_b32_e32 v127, s30
	buffer_load_dword v124, v127, s[0:3], 0 offen
	buffer_load_dword v125, v127, s[0:3], 0 offen offset:4
	v_mov_b32_e32 v127, s31
	ds_read_b64 v[127:128], v127
	v_add_u32_e32 v123, -1, v123
	s_add_i32 s31, s31, 8
	s_add_i32 s30, s30, 8
	v_cmp_eq_u32_e32 vcc, 0, v123
	s_or_b64 s[4:5], vcc, s[4:5]
	s_waitcnt vmcnt(0) lgkmcnt(0)
	v_fma_f64 v[119:120], v[124:125], v[127:128], v[119:120]
	s_andn2_b64 exec, exec, s[4:5]
	s_cbranch_execnz .LBB58_413
; %bb.414:
	s_or_b64 exec, exec, s[4:5]
.LBB58_415:
	s_or_b64 exec, exec, s[12:13]
	v_mov_b32_e32 v123, 0
	ds_read_b64 v[123:124], v123 offset:128
	s_waitcnt lgkmcnt(0)
	v_mul_f64 v[119:120], v[119:120], v[123:124]
	buffer_store_dword v120, off, s[0:3], 0 offset:132
	buffer_store_dword v119, off, s[0:3], 0 offset:128
.LBB58_416:
	s_or_b64 exec, exec, s[8:9]
	buffer_load_dword v119, off, s[0:3], 0 offset:120
	buffer_load_dword v120, off, s[0:3], 0 offset:124
	v_cmp_lt_u32_e64 s[4:5], 15, v0
	s_waitcnt vmcnt(0)
	ds_write_b64 v121, v[119:120]
	s_waitcnt lgkmcnt(0)
	; wave barrier
	s_and_saveexec_b64 s[8:9], s[4:5]
	s_cbranch_execz .LBB58_426
; %bb.417:
	s_andn2_b64 vcc, exec, s[10:11]
	s_cbranch_vccnz .LBB58_419
; %bb.418:
	buffer_load_dword v119, v122, s[0:3], 0 offen
	buffer_load_dword v120, v122, s[0:3], 0 offen offset:4
	ds_read_b64 v[123:124], v121
	s_waitcnt vmcnt(0) lgkmcnt(0)
	v_mul_f64 v[119:120], v[119:120], v[123:124]
	s_cbranch_execz .LBB58_420
	s_branch .LBB58_421
.LBB58_419:
                                        ; implicit-def: $vgpr119_vgpr120
.LBB58_420:
	ds_read_b64 v[119:120], v121
.LBB58_421:
	s_and_saveexec_b64 s[12:13], s[6:7]
	s_cbranch_execz .LBB58_425
; %bb.422:
	v_add_u32_e32 v123, -16, v0
	s_movk_i32 s30, 0x260
	s_mov_b64 s[6:7], 0
.LBB58_423:                             ; =>This Inner Loop Header: Depth=1
	v_mov_b32_e32 v127, s29
	buffer_load_dword v124, v127, s[0:3], 0 offen
	buffer_load_dword v125, v127, s[0:3], 0 offen offset:4
	v_mov_b32_e32 v127, s30
	ds_read_b64 v[127:128], v127
	v_add_u32_e32 v123, -1, v123
	s_add_i32 s30, s30, 8
	s_add_i32 s29, s29, 8
	v_cmp_eq_u32_e32 vcc, 0, v123
	s_or_b64 s[6:7], vcc, s[6:7]
	s_waitcnt vmcnt(0) lgkmcnt(0)
	v_fma_f64 v[119:120], v[124:125], v[127:128], v[119:120]
	s_andn2_b64 exec, exec, s[6:7]
	s_cbranch_execnz .LBB58_423
; %bb.424:
	s_or_b64 exec, exec, s[6:7]
.LBB58_425:
	s_or_b64 exec, exec, s[12:13]
	v_mov_b32_e32 v123, 0
	ds_read_b64 v[123:124], v123 offset:120
	s_waitcnt lgkmcnt(0)
	v_mul_f64 v[119:120], v[119:120], v[123:124]
	buffer_store_dword v120, off, s[0:3], 0 offset:124
	buffer_store_dword v119, off, s[0:3], 0 offset:120
.LBB58_426:
	s_or_b64 exec, exec, s[8:9]
	buffer_load_dword v119, off, s[0:3], 0 offset:112
	buffer_load_dword v120, off, s[0:3], 0 offset:116
	v_cmp_lt_u32_e64 s[6:7], 14, v0
	s_waitcnt vmcnt(0)
	ds_write_b64 v121, v[119:120]
	s_waitcnt lgkmcnt(0)
	; wave barrier
	s_and_saveexec_b64 s[8:9], s[6:7]
	s_cbranch_execz .LBB58_436
; %bb.427:
	s_andn2_b64 vcc, exec, s[10:11]
	s_cbranch_vccnz .LBB58_429
; %bb.428:
	buffer_load_dword v119, v122, s[0:3], 0 offen
	buffer_load_dword v120, v122, s[0:3], 0 offen offset:4
	ds_read_b64 v[123:124], v121
	s_waitcnt vmcnt(0) lgkmcnt(0)
	v_mul_f64 v[119:120], v[119:120], v[123:124]
	s_cbranch_execz .LBB58_430
	s_branch .LBB58_431
.LBB58_429:
                                        ; implicit-def: $vgpr119_vgpr120
.LBB58_430:
	ds_read_b64 v[119:120], v121
.LBB58_431:
	s_and_saveexec_b64 s[12:13], s[4:5]
	s_cbranch_execz .LBB58_435
; %bb.432:
	v_add_u32_e32 v123, -15, v0
	s_movk_i32 s29, 0x258
	s_mov_b64 s[4:5], 0
.LBB58_433:                             ; =>This Inner Loop Header: Depth=1
	v_mov_b32_e32 v127, s28
	buffer_load_dword v124, v127, s[0:3], 0 offen
	buffer_load_dword v125, v127, s[0:3], 0 offen offset:4
	v_mov_b32_e32 v127, s29
	ds_read_b64 v[127:128], v127
	v_add_u32_e32 v123, -1, v123
	s_add_i32 s29, s29, 8
	s_add_i32 s28, s28, 8
	v_cmp_eq_u32_e32 vcc, 0, v123
	s_or_b64 s[4:5], vcc, s[4:5]
	s_waitcnt vmcnt(0) lgkmcnt(0)
	v_fma_f64 v[119:120], v[124:125], v[127:128], v[119:120]
	s_andn2_b64 exec, exec, s[4:5]
	s_cbranch_execnz .LBB58_433
; %bb.434:
	s_or_b64 exec, exec, s[4:5]
.LBB58_435:
	s_or_b64 exec, exec, s[12:13]
	v_mov_b32_e32 v123, 0
	ds_read_b64 v[123:124], v123 offset:112
	s_waitcnt lgkmcnt(0)
	v_mul_f64 v[119:120], v[119:120], v[123:124]
	buffer_store_dword v120, off, s[0:3], 0 offset:116
	buffer_store_dword v119, off, s[0:3], 0 offset:112
.LBB58_436:
	;; [unrolled: 58-line block ×15, first 2 shown]
	s_or_b64 exec, exec, s[8:9]
	buffer_load_dword v119, off, s[0:3], 0
	buffer_load_dword v120, off, s[0:3], 0 offset:4
	v_cmp_ne_u32_e32 vcc, 0, v0
	s_waitcnt vmcnt(0)
	ds_write_b64 v121, v[119:120]
	s_waitcnt lgkmcnt(0)
	; wave barrier
	s_and_saveexec_b64 s[6:7], vcc
	s_cbranch_execz .LBB58_576
; %bb.567:
	s_andn2_b64 vcc, exec, s[10:11]
	s_cbranch_vccnz .LBB58_569
; %bb.568:
	buffer_load_dword v119, v122, s[0:3], 0 offen
	buffer_load_dword v120, v122, s[0:3], 0 offen offset:4
	ds_read_b64 v[123:124], v121
	s_waitcnt vmcnt(0) lgkmcnt(0)
	v_mul_f64 v[119:120], v[119:120], v[123:124]
	s_cbranch_execz .LBB58_570
	s_branch .LBB58_571
.LBB58_569:
                                        ; implicit-def: $vgpr119_vgpr120
.LBB58_570:
	ds_read_b64 v[119:120], v121
.LBB58_571:
	s_and_saveexec_b64 s[8:9], s[4:5]
	s_cbranch_execz .LBB58_575
; %bb.572:
	v_add_u32_e32 v123, -1, v0
	s_movk_i32 s12, 0x1e8
	s_mov_b64 s[4:5], 0
.LBB58_573:                             ; =>This Inner Loop Header: Depth=1
	v_mov_b32_e32 v127, s14
	buffer_load_dword v124, v127, s[0:3], 0 offen
	buffer_load_dword v125, v127, s[0:3], 0 offen offset:4
	v_mov_b32_e32 v127, s12
	ds_read_b64 v[127:128], v127
	v_add_u32_e32 v123, -1, v123
	s_add_i32 s12, s12, 8
	s_add_i32 s14, s14, 8
	v_cmp_eq_u32_e32 vcc, 0, v123
	s_or_b64 s[4:5], vcc, s[4:5]
	s_waitcnt vmcnt(0) lgkmcnt(0)
	v_fma_f64 v[119:120], v[124:125], v[127:128], v[119:120]
	s_andn2_b64 exec, exec, s[4:5]
	s_cbranch_execnz .LBB58_573
; %bb.574:
	s_or_b64 exec, exec, s[4:5]
.LBB58_575:
	s_or_b64 exec, exec, s[8:9]
	v_mov_b32_e32 v123, 0
	ds_read_b64 v[123:124], v123
	s_waitcnt lgkmcnt(0)
	v_mul_f64 v[119:120], v[119:120], v[123:124]
	buffer_store_dword v120, off, s[0:3], 0 offset:4
	buffer_store_dword v119, off, s[0:3], 0
.LBB58_576:
	s_or_b64 exec, exec, s[6:7]
	s_mov_b64 s[4:5], 0
.LBB58_577:
	s_and_b64 vcc, exec, s[4:5]
	s_cbranch_vccz .LBB58_1149
; %bb.578:
	buffer_load_dword v119, off, s[0:3], 0 offset:8
	buffer_load_dword v120, off, s[0:3], 0 offset:12
	v_cmp_eq_u32_e64 s[6:7], 0, v0
	s_waitcnt vmcnt(0)
	ds_write_b64 v121, v[119:120]
	s_waitcnt lgkmcnt(0)
	; wave barrier
	s_and_saveexec_b64 s[4:5], s[6:7]
	s_cbranch_execz .LBB58_584
; %bb.579:
	s_and_b64 vcc, exec, s[10:11]
	s_cbranch_vccz .LBB58_581
; %bb.580:
	buffer_load_dword v119, v122, s[0:3], 0 offen
	buffer_load_dword v120, v122, s[0:3], 0 offen offset:4
	ds_read_b64 v[123:124], v121
	s_waitcnt vmcnt(0) lgkmcnt(0)
	v_mul_f64 v[119:120], v[119:120], v[123:124]
	s_cbranch_execz .LBB58_582
	s_branch .LBB58_583
.LBB58_581:
                                        ; implicit-def: $vgpr119_vgpr120
.LBB58_582:
	ds_read_b64 v[119:120], v121
.LBB58_583:
	v_mov_b32_e32 v123, 0
	ds_read_b64 v[123:124], v123 offset:8
	s_waitcnt lgkmcnt(0)
	v_mul_f64 v[119:120], v[119:120], v[123:124]
	buffer_store_dword v120, off, s[0:3], 0 offset:12
	buffer_store_dword v119, off, s[0:3], 0 offset:8
.LBB58_584:
	s_or_b64 exec, exec, s[4:5]
	buffer_load_dword v119, off, s[0:3], 0 offset:16
	buffer_load_dword v120, off, s[0:3], 0 offset:20
	v_cndmask_b32_e64 v123, 0, 1, s[10:11]
	v_cmp_gt_u32_e32 vcc, 2, v0
	v_cmp_ne_u32_e64 s[4:5], 1, v123
	s_waitcnt vmcnt(0)
	ds_write_b64 v121, v[119:120]
	s_waitcnt lgkmcnt(0)
	; wave barrier
	s_and_saveexec_b64 s[8:9], vcc
	s_cbranch_execz .LBB58_590
; %bb.585:
	s_and_b64 vcc, exec, s[4:5]
	s_cbranch_vccnz .LBB58_587
; %bb.586:
	buffer_load_dword v119, v122, s[0:3], 0 offen
	buffer_load_dword v120, v122, s[0:3], 0 offen offset:4
	ds_read_b64 v[123:124], v121
	s_waitcnt vmcnt(0) lgkmcnt(0)
	v_mul_f64 v[119:120], v[119:120], v[123:124]
	s_cbranch_execz .LBB58_588
	s_branch .LBB58_589
.LBB58_587:
                                        ; implicit-def: $vgpr119_vgpr120
.LBB58_588:
	ds_read_b64 v[119:120], v121
.LBB58_589:
	buffer_load_dword v123, off, s[0:3], 0 offset:8
	buffer_load_dword v124, off, s[0:3], 0 offset:12
	v_mov_b32_e32 v125, 0
	ds_read2_b64 v[127:130], v125 offset0:2 offset1:61
	s_waitcnt vmcnt(0) lgkmcnt(0)
	v_fma_f64 v[123:124], v[123:124], v[129:130], v[119:120]
	v_cndmask_b32_e64 v120, v120, v124, s[6:7]
	v_cndmask_b32_e64 v119, v119, v123, s[6:7]
	v_mul_f64 v[119:120], v[119:120], v[127:128]
	buffer_store_dword v120, off, s[0:3], 0 offset:20
	buffer_store_dword v119, off, s[0:3], 0 offset:16
.LBB58_590:
	s_or_b64 exec, exec, s[8:9]
	buffer_load_dword v119, off, s[0:3], 0 offset:24
	buffer_load_dword v120, off, s[0:3], 0 offset:28
	v_cmp_gt_u32_e32 vcc, 3, v0
	s_waitcnt vmcnt(0)
	ds_write_b64 v121, v[119:120]
	s_waitcnt lgkmcnt(0)
	; wave barrier
	s_and_saveexec_b64 s[8:9], vcc
	s_cbranch_execz .LBB58_598
; %bb.591:
	s_and_b64 vcc, exec, s[4:5]
	s_cbranch_vccnz .LBB58_593
; %bb.592:
	buffer_load_dword v119, v122, s[0:3], 0 offen
	buffer_load_dword v120, v122, s[0:3], 0 offen offset:4
	ds_read_b64 v[123:124], v121
	s_waitcnt vmcnt(0) lgkmcnt(0)
	v_mul_f64 v[119:120], v[119:120], v[123:124]
	s_cbranch_execz .LBB58_594
	s_branch .LBB58_595
.LBB58_593:
                                        ; implicit-def: $vgpr119_vgpr120
.LBB58_594:
	ds_read_b64 v[119:120], v121
.LBB58_595:
	v_cmp_ne_u32_e32 vcc, 2, v0
	s_and_saveexec_b64 s[10:11], vcc
	s_cbranch_execz .LBB58_597
; %bb.596:
	buffer_load_dword v123, v122, s[0:3], 0 offen offset:8
	buffer_load_dword v124, v122, s[0:3], 0 offen offset:12
	buffer_load_dword v127, off, s[0:3], 0 offset:16
	buffer_load_dword v128, off, s[0:3], 0 offset:20
	ds_read_b64 v[129:130], v121 offset:8
	v_mov_b32_e32 v125, 0
	ds_read_b64 v[131:132], v125 offset:496
	s_waitcnt vmcnt(2) lgkmcnt(1)
	v_fma_f64 v[119:120], v[123:124], v[129:130], v[119:120]
	s_waitcnt vmcnt(0) lgkmcnt(0)
	v_fma_f64 v[123:124], v[127:128], v[131:132], v[119:120]
	v_cndmask_b32_e64 v120, v120, v124, s[6:7]
	v_cndmask_b32_e64 v119, v119, v123, s[6:7]
.LBB58_597:
	s_or_b64 exec, exec, s[10:11]
	v_mov_b32_e32 v123, 0
	ds_read_b64 v[123:124], v123 offset:24
	s_waitcnt lgkmcnt(0)
	v_mul_f64 v[119:120], v[119:120], v[123:124]
	buffer_store_dword v120, off, s[0:3], 0 offset:28
	buffer_store_dword v119, off, s[0:3], 0 offset:24
.LBB58_598:
	s_or_b64 exec, exec, s[8:9]
	buffer_load_dword v119, off, s[0:3], 0 offset:32
	buffer_load_dword v120, off, s[0:3], 0 offset:36
	v_cmp_gt_u32_e32 vcc, 4, v0
	s_waitcnt vmcnt(0)
	ds_write_b64 v121, v[119:120]
	s_waitcnt lgkmcnt(0)
	; wave barrier
	s_and_saveexec_b64 s[6:7], vcc
	s_cbranch_execz .LBB58_608
; %bb.599:
	s_and_b64 vcc, exec, s[4:5]
	s_cbranch_vccnz .LBB58_601
; %bb.600:
	buffer_load_dword v119, v122, s[0:3], 0 offen
	buffer_load_dword v120, v122, s[0:3], 0 offen offset:4
	ds_read_b64 v[123:124], v121
	s_waitcnt vmcnt(0) lgkmcnt(0)
	v_mul_f64 v[119:120], v[119:120], v[123:124]
	s_cbranch_execz .LBB58_602
	s_branch .LBB58_603
.LBB58_601:
                                        ; implicit-def: $vgpr119_vgpr120
.LBB58_602:
	ds_read_b64 v[119:120], v121
.LBB58_603:
	v_cmp_ne_u32_e32 vcc, 3, v0
	s_and_saveexec_b64 s[8:9], vcc
	s_cbranch_execz .LBB58_607
; %bb.604:
	s_mov_b32 s10, 0
	v_add_u32_e32 v123, 0x1e8, v126
	v_add3_u32 v124, v126, s10, 8
	s_mov_b64 s[10:11], 0
	v_mov_b32_e32 v125, v0
.LBB58_605:                             ; =>This Inner Loop Header: Depth=1
	buffer_load_dword v127, v124, s[0:3], 0 offen
	buffer_load_dword v128, v124, s[0:3], 0 offen offset:4
	ds_read_b64 v[129:130], v123
	v_add_u32_e32 v125, 1, v125
	v_cmp_lt_u32_e32 vcc, 2, v125
	v_add_u32_e32 v123, 8, v123
	s_or_b64 s[10:11], vcc, s[10:11]
	v_add_u32_e32 v124, 8, v124
	s_waitcnt vmcnt(0) lgkmcnt(0)
	v_fma_f64 v[119:120], v[127:128], v[129:130], v[119:120]
	s_andn2_b64 exec, exec, s[10:11]
	s_cbranch_execnz .LBB58_605
; %bb.606:
	s_or_b64 exec, exec, s[10:11]
.LBB58_607:
	s_or_b64 exec, exec, s[8:9]
	v_mov_b32_e32 v123, 0
	ds_read_b64 v[123:124], v123 offset:32
	s_waitcnt lgkmcnt(0)
	v_mul_f64 v[119:120], v[119:120], v[123:124]
	buffer_store_dword v120, off, s[0:3], 0 offset:36
	buffer_store_dword v119, off, s[0:3], 0 offset:32
.LBB58_608:
	s_or_b64 exec, exec, s[6:7]
	buffer_load_dword v119, off, s[0:3], 0 offset:40
	buffer_load_dword v120, off, s[0:3], 0 offset:44
	v_cmp_gt_u32_e32 vcc, 5, v0
	s_waitcnt vmcnt(0)
	ds_write_b64 v121, v[119:120]
	s_waitcnt lgkmcnt(0)
	; wave barrier
	s_and_saveexec_b64 s[6:7], vcc
	s_cbranch_execz .LBB58_618
; %bb.609:
	s_and_b64 vcc, exec, s[4:5]
	s_cbranch_vccnz .LBB58_611
; %bb.610:
	buffer_load_dword v119, v122, s[0:3], 0 offen
	buffer_load_dword v120, v122, s[0:3], 0 offen offset:4
	ds_read_b64 v[123:124], v121
	s_waitcnt vmcnt(0) lgkmcnt(0)
	v_mul_f64 v[119:120], v[119:120], v[123:124]
	s_cbranch_execz .LBB58_612
	s_branch .LBB58_613
.LBB58_611:
                                        ; implicit-def: $vgpr119_vgpr120
.LBB58_612:
	ds_read_b64 v[119:120], v121
.LBB58_613:
	v_cmp_ne_u32_e32 vcc, 4, v0
	s_and_saveexec_b64 s[8:9], vcc
	s_cbranch_execz .LBB58_617
; %bb.614:
	s_mov_b32 s10, 0
	v_add_u32_e32 v123, 0x1e8, v126
	v_add3_u32 v124, v126, s10, 8
	s_mov_b64 s[10:11], 0
	v_mov_b32_e32 v125, v0
.LBB58_615:                             ; =>This Inner Loop Header: Depth=1
	buffer_load_dword v127, v124, s[0:3], 0 offen
	buffer_load_dword v128, v124, s[0:3], 0 offen offset:4
	ds_read_b64 v[129:130], v123
	v_add_u32_e32 v125, 1, v125
	v_cmp_lt_u32_e32 vcc, 3, v125
	v_add_u32_e32 v123, 8, v123
	s_or_b64 s[10:11], vcc, s[10:11]
	v_add_u32_e32 v124, 8, v124
	s_waitcnt vmcnt(0) lgkmcnt(0)
	v_fma_f64 v[119:120], v[127:128], v[129:130], v[119:120]
	s_andn2_b64 exec, exec, s[10:11]
	s_cbranch_execnz .LBB58_615
; %bb.616:
	s_or_b64 exec, exec, s[10:11]
.LBB58_617:
	s_or_b64 exec, exec, s[8:9]
	v_mov_b32_e32 v123, 0
	ds_read_b64 v[123:124], v123 offset:40
	s_waitcnt lgkmcnt(0)
	v_mul_f64 v[119:120], v[119:120], v[123:124]
	buffer_store_dword v120, off, s[0:3], 0 offset:44
	buffer_store_dword v119, off, s[0:3], 0 offset:40
.LBB58_618:
	;; [unrolled: 59-line block ×40, first 2 shown]
	s_or_b64 exec, exec, s[6:7]
	buffer_load_dword v119, off, s[0:3], 0 offset:352
	buffer_load_dword v120, off, s[0:3], 0 offset:356
	v_cmp_gt_u32_e32 vcc, 44, v0
	s_waitcnt vmcnt(0)
	ds_write_b64 v121, v[119:120]
	s_waitcnt lgkmcnt(0)
	; wave barrier
	s_and_saveexec_b64 s[6:7], vcc
	s_cbranch_execz .LBB58_1008
; %bb.999:
	s_and_b64 vcc, exec, s[4:5]
	s_cbranch_vccnz .LBB58_1001
; %bb.1000:
	buffer_load_dword v119, v122, s[0:3], 0 offen
	buffer_load_dword v120, v122, s[0:3], 0 offen offset:4
	ds_read_b64 v[123:124], v121
	s_waitcnt vmcnt(0) lgkmcnt(0)
	v_mul_f64 v[119:120], v[119:120], v[123:124]
	s_cbranch_execz .LBB58_1002
	s_branch .LBB58_1003
.LBB58_1001:
                                        ; implicit-def: $vgpr119_vgpr120
.LBB58_1002:
	ds_read_b64 v[119:120], v121
.LBB58_1003:
	v_cmp_ne_u32_e32 vcc, 43, v0
	s_and_saveexec_b64 s[8:9], vcc
	s_cbranch_execz .LBB58_1007
; %bb.1004:
	s_mov_b32 s10, 0
	v_add_u32_e32 v123, 0x1e8, v126
	v_add3_u32 v124, v126, s10, 8
	s_mov_b64 s[10:11], 0
	v_mov_b32_e32 v125, v0
.LBB58_1005:                            ; =>This Inner Loop Header: Depth=1
	buffer_load_dword v127, v124, s[0:3], 0 offen
	buffer_load_dword v128, v124, s[0:3], 0 offen offset:4
	ds_read_b64 v[129:130], v123
	v_add_u32_e32 v125, 1, v125
	v_cmp_lt_u32_e32 vcc, 42, v125
	v_add_u32_e32 v123, 8, v123
	s_or_b64 s[10:11], vcc, s[10:11]
	v_add_u32_e32 v124, 8, v124
	s_waitcnt vmcnt(0) lgkmcnt(0)
	v_fma_f64 v[119:120], v[127:128], v[129:130], v[119:120]
	s_andn2_b64 exec, exec, s[10:11]
	s_cbranch_execnz .LBB58_1005
; %bb.1006:
	s_or_b64 exec, exec, s[10:11]
.LBB58_1007:
	s_or_b64 exec, exec, s[8:9]
	v_mov_b32_e32 v123, 0
	ds_read_b64 v[123:124], v123 offset:352
	s_waitcnt lgkmcnt(0)
	v_mul_f64 v[119:120], v[119:120], v[123:124]
	buffer_store_dword v120, off, s[0:3], 0 offset:356
	buffer_store_dword v119, off, s[0:3], 0 offset:352
.LBB58_1008:
	s_or_b64 exec, exec, s[6:7]
	buffer_load_dword v119, off, s[0:3], 0 offset:360
	buffer_load_dword v120, off, s[0:3], 0 offset:364
	v_cmp_gt_u32_e32 vcc, 45, v0
	s_waitcnt vmcnt(0)
	ds_write_b64 v121, v[119:120]
	s_waitcnt lgkmcnt(0)
	; wave barrier
	s_and_saveexec_b64 s[6:7], vcc
	s_cbranch_execz .LBB58_1018
; %bb.1009:
	s_and_b64 vcc, exec, s[4:5]
	s_cbranch_vccnz .LBB58_1011
; %bb.1010:
	buffer_load_dword v119, v122, s[0:3], 0 offen
	buffer_load_dword v120, v122, s[0:3], 0 offen offset:4
	ds_read_b64 v[123:124], v121
	s_waitcnt vmcnt(0) lgkmcnt(0)
	v_mul_f64 v[119:120], v[119:120], v[123:124]
	s_cbranch_execz .LBB58_1012
	s_branch .LBB58_1013
.LBB58_1011:
                                        ; implicit-def: $vgpr119_vgpr120
.LBB58_1012:
	ds_read_b64 v[119:120], v121
.LBB58_1013:
	v_cmp_ne_u32_e32 vcc, 44, v0
	s_and_saveexec_b64 s[8:9], vcc
	s_cbranch_execz .LBB58_1017
; %bb.1014:
	s_mov_b32 s10, 0
	v_add_u32_e32 v123, 0x1e8, v126
	v_add3_u32 v124, v126, s10, 8
	s_mov_b64 s[10:11], 0
	v_mov_b32_e32 v125, v0
.LBB58_1015:                            ; =>This Inner Loop Header: Depth=1
	buffer_load_dword v127, v124, s[0:3], 0 offen
	buffer_load_dword v128, v124, s[0:3], 0 offen offset:4
	ds_read_b64 v[129:130], v123
	v_add_u32_e32 v125, 1, v125
	v_cmp_lt_u32_e32 vcc, 43, v125
	v_add_u32_e32 v123, 8, v123
	s_or_b64 s[10:11], vcc, s[10:11]
	v_add_u32_e32 v124, 8, v124
	s_waitcnt vmcnt(0) lgkmcnt(0)
	v_fma_f64 v[119:120], v[127:128], v[129:130], v[119:120]
	s_andn2_b64 exec, exec, s[10:11]
	s_cbranch_execnz .LBB58_1015
; %bb.1016:
	s_or_b64 exec, exec, s[10:11]
.LBB58_1017:
	s_or_b64 exec, exec, s[8:9]
	v_mov_b32_e32 v123, 0
	ds_read_b64 v[123:124], v123 offset:360
	s_waitcnt lgkmcnt(0)
	v_mul_f64 v[119:120], v[119:120], v[123:124]
	buffer_store_dword v120, off, s[0:3], 0 offset:364
	buffer_store_dword v119, off, s[0:3], 0 offset:360
.LBB58_1018:
	;; [unrolled: 59-line block ×13, first 2 shown]
	s_or_b64 exec, exec, s[6:7]
	buffer_load_dword v119, off, s[0:3], 0 offset:456
	buffer_load_dword v120, off, s[0:3], 0 offset:460
	v_cmp_gt_u32_e64 s[6:7], 57, v0
	s_waitcnt vmcnt(0)
	ds_write_b64 v121, v[119:120]
	s_waitcnt lgkmcnt(0)
	; wave barrier
	s_and_saveexec_b64 s[8:9], s[6:7]
	s_cbranch_execz .LBB58_1138
; %bb.1129:
	s_and_b64 vcc, exec, s[4:5]
	s_cbranch_vccnz .LBB58_1131
; %bb.1130:
	buffer_load_dword v119, v122, s[0:3], 0 offen
	buffer_load_dword v120, v122, s[0:3], 0 offen offset:4
	ds_read_b64 v[123:124], v121
	s_waitcnt vmcnt(0) lgkmcnt(0)
	v_mul_f64 v[119:120], v[119:120], v[123:124]
	s_cbranch_execz .LBB58_1132
	s_branch .LBB58_1133
.LBB58_1131:
                                        ; implicit-def: $vgpr119_vgpr120
.LBB58_1132:
	ds_read_b64 v[119:120], v121
.LBB58_1133:
	v_cmp_ne_u32_e32 vcc, 56, v0
	s_and_saveexec_b64 s[10:11], vcc
	s_cbranch_execz .LBB58_1137
; %bb.1134:
	s_mov_b32 s12, 0
	v_add_u32_e32 v123, 0x1e8, v126
	v_add3_u32 v124, v126, s12, 8
	s_mov_b64 s[12:13], 0
	v_mov_b32_e32 v125, v0
.LBB58_1135:                            ; =>This Inner Loop Header: Depth=1
	buffer_load_dword v127, v124, s[0:3], 0 offen
	buffer_load_dword v128, v124, s[0:3], 0 offen offset:4
	ds_read_b64 v[129:130], v123
	v_add_u32_e32 v125, 1, v125
	v_cmp_lt_u32_e32 vcc, 55, v125
	v_add_u32_e32 v123, 8, v123
	s_or_b64 s[12:13], vcc, s[12:13]
	v_add_u32_e32 v124, 8, v124
	s_waitcnt vmcnt(0) lgkmcnt(0)
	v_fma_f64 v[119:120], v[127:128], v[129:130], v[119:120]
	s_andn2_b64 exec, exec, s[12:13]
	s_cbranch_execnz .LBB58_1135
; %bb.1136:
	s_or_b64 exec, exec, s[12:13]
.LBB58_1137:
	s_or_b64 exec, exec, s[10:11]
	v_mov_b32_e32 v123, 0
	ds_read_b64 v[123:124], v123 offset:456
	s_waitcnt lgkmcnt(0)
	v_mul_f64 v[119:120], v[119:120], v[123:124]
	buffer_store_dword v120, off, s[0:3], 0 offset:460
	buffer_store_dword v119, off, s[0:3], 0 offset:456
.LBB58_1138:
	s_or_b64 exec, exec, s[8:9]
	buffer_load_dword v119, off, s[0:3], 0 offset:464
	buffer_load_dword v120, off, s[0:3], 0 offset:468
	v_cmp_ne_u32_e32 vcc, 58, v0
	s_waitcnt vmcnt(0)
	ds_write_b64 v121, v[119:120]
	s_waitcnt lgkmcnt(0)
	; wave barrier
	s_and_saveexec_b64 s[8:9], vcc
	s_cbranch_execz .LBB58_1148
; %bb.1139:
	s_and_b64 vcc, exec, s[4:5]
	s_cbranch_vccnz .LBB58_1141
; %bb.1140:
	buffer_load_dword v119, v122, s[0:3], 0 offen
	buffer_load_dword v120, v122, s[0:3], 0 offen offset:4
	ds_read_b64 v[122:123], v121
	s_waitcnt vmcnt(0) lgkmcnt(0)
	v_mul_f64 v[119:120], v[119:120], v[122:123]
	s_cbranch_execz .LBB58_1142
	s_branch .LBB58_1143
.LBB58_1141:
                                        ; implicit-def: $vgpr119_vgpr120
.LBB58_1142:
	ds_read_b64 v[119:120], v121
.LBB58_1143:
	s_and_saveexec_b64 s[4:5], s[6:7]
	s_cbranch_execz .LBB58_1147
; %bb.1144:
	s_mov_b32 s6, 0
	v_add_u32_e32 v121, 0x1e8, v126
	v_add3_u32 v122, v126, s6, 8
	s_mov_b64 s[6:7], 0
.LBB58_1145:                            ; =>This Inner Loop Header: Depth=1
	buffer_load_dword v123, v122, s[0:3], 0 offen
	buffer_load_dword v124, v122, s[0:3], 0 offen offset:4
	ds_read_b64 v[125:126], v121
	v_add_u32_e32 v0, 1, v0
	v_cmp_lt_u32_e32 vcc, 56, v0
	v_add_u32_e32 v121, 8, v121
	s_or_b64 s[6:7], vcc, s[6:7]
	v_add_u32_e32 v122, 8, v122
	s_waitcnt vmcnt(0) lgkmcnt(0)
	v_fma_f64 v[119:120], v[123:124], v[125:126], v[119:120]
	s_andn2_b64 exec, exec, s[6:7]
	s_cbranch_execnz .LBB58_1145
; %bb.1146:
	s_or_b64 exec, exec, s[6:7]
.LBB58_1147:
	s_or_b64 exec, exec, s[4:5]
	v_mov_b32_e32 v0, 0
	ds_read_b64 v[121:122], v0 offset:464
	s_waitcnt lgkmcnt(0)
	v_mul_f64 v[119:120], v[119:120], v[121:122]
	buffer_store_dword v120, off, s[0:3], 0 offset:468
	buffer_store_dword v119, off, s[0:3], 0 offset:464
.LBB58_1148:
	s_or_b64 exec, exec, s[8:9]
.LBB58_1149:
	buffer_load_dword v119, off, s[0:3], 0
	buffer_load_dword v120, off, s[0:3], 0 offset:4
	buffer_load_dword v121, off, s[0:3], 0 offset:8
	;; [unrolled: 1-line block ×117, first 2 shown]
	s_waitcnt vmcnt(62)
	global_store_dwordx2 v[1:2], v[119:120], off
	global_store_dwordx2 v[3:4], v[121:122], off
	;; [unrolled: 1-line block ×28, first 2 shown]
	s_waitcnt vmcnt(62)
	global_store_dwordx2 v[61:62], v[175:176], off
	global_store_dwordx2 v[63:64], v[177:178], off
	;; [unrolled: 1-line block ×14, first 2 shown]
	s_waitcnt vmcnt(62)
	global_store_dwordx2 v[89:90], v[203:204], off
	global_store_dwordx2 v[91:92], v[205:206], off
	;; [unrolled: 1-line block ×7, first 2 shown]
	s_waitcnt vmcnt(62)
	global_store_dwordx2 v[103:104], v[217:218], off
	global_store_dwordx2 v[105:106], v[219:220], off
	;; [unrolled: 1-line block ×3, first 2 shown]
	s_waitcnt vmcnt(62)
	global_store_dwordx2 v[109:110], v[223:224], off
	global_store_dwordx2 v[111:112], v[225:226], off
	s_waitcnt vmcnt(62)
	global_store_dwordx2 v[113:114], v[227:228], off
	s_waitcnt vmcnt(61)
	;; [unrolled: 2-line block ×5, first 2 shown]
	global_store_dwordx2 v[37:38], v[235:236], off
.LBB58_1150:
	s_endpgm
	.section	.rodata,"a",@progbits
	.p2align	6, 0x0
	.amdhsa_kernel _ZN9rocsolver6v33100L18trti2_kernel_smallILi59EdPdEEv13rocblas_fill_17rocblas_diagonal_T1_iil
		.amdhsa_group_segment_fixed_size 952
		.amdhsa_private_segment_fixed_size 480
		.amdhsa_kernarg_size 32
		.amdhsa_user_sgpr_count 6
		.amdhsa_user_sgpr_private_segment_buffer 1
		.amdhsa_user_sgpr_dispatch_ptr 0
		.amdhsa_user_sgpr_queue_ptr 0
		.amdhsa_user_sgpr_kernarg_segment_ptr 1
		.amdhsa_user_sgpr_dispatch_id 0
		.amdhsa_user_sgpr_flat_scratch_init 0
		.amdhsa_user_sgpr_private_segment_size 0
		.amdhsa_uses_dynamic_stack 0
		.amdhsa_system_sgpr_private_segment_wavefront_offset 1
		.amdhsa_system_sgpr_workgroup_id_x 1
		.amdhsa_system_sgpr_workgroup_id_y 0
		.amdhsa_system_sgpr_workgroup_id_z 0
		.amdhsa_system_sgpr_workgroup_info 0
		.amdhsa_system_vgpr_workitem_id 0
		.amdhsa_next_free_vgpr 237
		.amdhsa_next_free_sgpr 72
		.amdhsa_reserve_vcc 1
		.amdhsa_reserve_flat_scratch 0
		.amdhsa_float_round_mode_32 0
		.amdhsa_float_round_mode_16_64 0
		.amdhsa_float_denorm_mode_32 3
		.amdhsa_float_denorm_mode_16_64 3
		.amdhsa_dx10_clamp 1
		.amdhsa_ieee_mode 1
		.amdhsa_fp16_overflow 0
		.amdhsa_exception_fp_ieee_invalid_op 0
		.amdhsa_exception_fp_denorm_src 0
		.amdhsa_exception_fp_ieee_div_zero 0
		.amdhsa_exception_fp_ieee_overflow 0
		.amdhsa_exception_fp_ieee_underflow 0
		.amdhsa_exception_fp_ieee_inexact 0
		.amdhsa_exception_int_div_zero 0
	.end_amdhsa_kernel
	.section	.text._ZN9rocsolver6v33100L18trti2_kernel_smallILi59EdPdEEv13rocblas_fill_17rocblas_diagonal_T1_iil,"axG",@progbits,_ZN9rocsolver6v33100L18trti2_kernel_smallILi59EdPdEEv13rocblas_fill_17rocblas_diagonal_T1_iil,comdat
.Lfunc_end58:
	.size	_ZN9rocsolver6v33100L18trti2_kernel_smallILi59EdPdEEv13rocblas_fill_17rocblas_diagonal_T1_iil, .Lfunc_end58-_ZN9rocsolver6v33100L18trti2_kernel_smallILi59EdPdEEv13rocblas_fill_17rocblas_diagonal_T1_iil
                                        ; -- End function
	.set _ZN9rocsolver6v33100L18trti2_kernel_smallILi59EdPdEEv13rocblas_fill_17rocblas_diagonal_T1_iil.num_vgpr, 237
	.set _ZN9rocsolver6v33100L18trti2_kernel_smallILi59EdPdEEv13rocblas_fill_17rocblas_diagonal_T1_iil.num_agpr, 0
	.set _ZN9rocsolver6v33100L18trti2_kernel_smallILi59EdPdEEv13rocblas_fill_17rocblas_diagonal_T1_iil.numbered_sgpr, 72
	.set _ZN9rocsolver6v33100L18trti2_kernel_smallILi59EdPdEEv13rocblas_fill_17rocblas_diagonal_T1_iil.num_named_barrier, 0
	.set _ZN9rocsolver6v33100L18trti2_kernel_smallILi59EdPdEEv13rocblas_fill_17rocblas_diagonal_T1_iil.private_seg_size, 480
	.set _ZN9rocsolver6v33100L18trti2_kernel_smallILi59EdPdEEv13rocblas_fill_17rocblas_diagonal_T1_iil.uses_vcc, 1
	.set _ZN9rocsolver6v33100L18trti2_kernel_smallILi59EdPdEEv13rocblas_fill_17rocblas_diagonal_T1_iil.uses_flat_scratch, 0
	.set _ZN9rocsolver6v33100L18trti2_kernel_smallILi59EdPdEEv13rocblas_fill_17rocblas_diagonal_T1_iil.has_dyn_sized_stack, 0
	.set _ZN9rocsolver6v33100L18trti2_kernel_smallILi59EdPdEEv13rocblas_fill_17rocblas_diagonal_T1_iil.has_recursion, 0
	.set _ZN9rocsolver6v33100L18trti2_kernel_smallILi59EdPdEEv13rocblas_fill_17rocblas_diagonal_T1_iil.has_indirect_call, 0
	.section	.AMDGPU.csdata,"",@progbits
; Kernel info:
; codeLenInByte = 34672
; TotalNumSgprs: 76
; NumVgprs: 237
; ScratchSize: 480
; MemoryBound: 0
; FloatMode: 240
; IeeeMode: 1
; LDSByteSize: 952 bytes/workgroup (compile time only)
; SGPRBlocks: 9
; VGPRBlocks: 59
; NumSGPRsForWavesPerEU: 76
; NumVGPRsForWavesPerEU: 237
; Occupancy: 1
; WaveLimiterHint : 0
; COMPUTE_PGM_RSRC2:SCRATCH_EN: 1
; COMPUTE_PGM_RSRC2:USER_SGPR: 6
; COMPUTE_PGM_RSRC2:TRAP_HANDLER: 0
; COMPUTE_PGM_RSRC2:TGID_X_EN: 1
; COMPUTE_PGM_RSRC2:TGID_Y_EN: 0
; COMPUTE_PGM_RSRC2:TGID_Z_EN: 0
; COMPUTE_PGM_RSRC2:TIDIG_COMP_CNT: 0
	.section	.text._ZN9rocsolver6v33100L18trti2_kernel_smallILi60EdPdEEv13rocblas_fill_17rocblas_diagonal_T1_iil,"axG",@progbits,_ZN9rocsolver6v33100L18trti2_kernel_smallILi60EdPdEEv13rocblas_fill_17rocblas_diagonal_T1_iil,comdat
	.globl	_ZN9rocsolver6v33100L18trti2_kernel_smallILi60EdPdEEv13rocblas_fill_17rocblas_diagonal_T1_iil ; -- Begin function _ZN9rocsolver6v33100L18trti2_kernel_smallILi60EdPdEEv13rocblas_fill_17rocblas_diagonal_T1_iil
	.p2align	8
	.type	_ZN9rocsolver6v33100L18trti2_kernel_smallILi60EdPdEEv13rocblas_fill_17rocblas_diagonal_T1_iil,@function
_ZN9rocsolver6v33100L18trti2_kernel_smallILi60EdPdEEv13rocblas_fill_17rocblas_diagonal_T1_iil: ; @_ZN9rocsolver6v33100L18trti2_kernel_smallILi60EdPdEEv13rocblas_fill_17rocblas_diagonal_T1_iil
; %bb.0:
	s_add_u32 s0, s0, s7
	s_addc_u32 s1, s1, 0
	v_cmp_gt_u32_e32 vcc, 60, v0
	s_and_saveexec_b64 s[8:9], vcc
	s_cbranch_execz .LBB59_1170
; %bb.1:
	s_load_dwordx8 s[8:15], s[4:5], 0x0
	s_ashr_i32 s7, s6, 31
	v_lshlrev_b32_e32 v132, 3, v0
	s_waitcnt lgkmcnt(0)
	s_ashr_i32 s5, s12, 31
	s_mov_b32 s4, s12
	s_mul_hi_u32 s12, s14, s6
	s_mul_i32 s7, s14, s7
	s_add_i32 s7, s12, s7
	s_mul_i32 s12, s15, s6
	s_add_i32 s7, s7, s12
	s_mul_i32 s6, s14, s6
	s_lshl_b64 s[6:7], s[6:7], 3
	s_add_u32 s6, s10, s6
	s_addc_u32 s7, s11, s7
	s_lshl_b64 s[4:5], s[4:5], 3
	s_add_u32 s4, s6, s4
	s_addc_u32 s5, s7, s5
	v_mov_b32_e32 v2, s5
	v_add_co_u32_e32 v1, vcc, s4, v132
	s_ashr_i32 s7, s13, 31
	s_mov_b32 s6, s13
	v_addc_co_u32_e32 v2, vcc, 0, v2, vcc
	s_lshl_b64 s[6:7], s[6:7], 3
	v_add_co_u32_e32 v3, vcc, s6, v1
	s_add_i32 s6, s13, s13
	v_add_u32_e32 v7, s6, v0
	v_ashrrev_i32_e32 v8, 31, v7
	v_mov_b32_e32 v4, s7
	v_lshlrev_b64 v[5:6], 3, v[7:8]
	v_addc_co_u32_e32 v4, vcc, v2, v4, vcc
	v_add_u32_e32 v9, s13, v7
	v_mov_b32_e32 v8, s5
	v_add_co_u32_e32 v5, vcc, s4, v5
	v_ashrrev_i32_e32 v10, 31, v9
	v_addc_co_u32_e32 v6, vcc, v8, v6, vcc
	v_lshlrev_b64 v[7:8], 3, v[9:10]
	v_add_u32_e32 v11, s13, v9
	v_mov_b32_e32 v10, s5
	v_add_co_u32_e32 v7, vcc, s4, v7
	v_ashrrev_i32_e32 v12, 31, v11
	v_addc_co_u32_e32 v8, vcc, v10, v8, vcc
	v_lshlrev_b64 v[9:10], 3, v[11:12]
	;; [unrolled: 6-line block ×14, first 2 shown]
	v_mov_b32_e32 v36, s5
	v_add_co_u32_e32 v33, vcc, s4, v33
	global_load_dwordx2 v[41:42], v132, s[4:5]
	global_load_dwordx2 v[49:50], v[3:4], off
	global_load_dwordx2 v[47:48], v[5:6], off
	;; [unrolled: 1-line block ×12, first 2 shown]
	v_addc_co_u32_e32 v34, vcc, v36, v34, vcc
	global_load_dwordx2 v[71:72], v[27:28], off
	global_load_dwordx2 v[69:70], v[29:30], off
	;; [unrolled: 1-line block ×4, first 2 shown]
	v_add_u32_e32 v73, s13, v35
	v_add_u32_e32 v75, s13, v73
	;; [unrolled: 1-line block ×41, first 2 shown]
	v_ashrrev_i32_e32 v38, 31, v37
	v_lshlrev_b64 v[35:36], 3, v[37:38]
	v_add_u32_e32 v39, s13, v37
	v_mov_b32_e32 v38, s5
	v_add_co_u32_e32 v35, vcc, s4, v35
	v_ashrrev_i32_e32 v40, 31, v39
	v_addc_co_u32_e32 v36, vcc, v38, v36, vcc
	v_lshlrev_b64 v[37:38], 3, v[39:40]
	v_mov_b32_e32 v40, s5
	v_add_co_u32_e32 v37, vcc, s4, v37
	v_add_u32_e32 v39, s13, v39
	v_addc_co_u32_e32 v38, vcc, v40, v38, vcc
	v_ashrrev_i32_e32 v40, 31, v39
	v_lshlrev_b64 v[39:40], 3, v[39:40]
	v_mov_b32_e32 v74, s5
	v_add_co_u32_e32 v39, vcc, s4, v39
	v_addc_co_u32_e32 v40, vcc, v74, v40, vcc
	v_ashrrev_i32_e32 v74, 31, v73
	global_load_dwordx2 v[157:158], v[35:36], off
	global_load_dwordx2 v[159:160], v[37:38], off
	;; [unrolled: 1-line block ×3, first 2 shown]
	s_waitcnt vmcnt(19)
	buffer_store_dword v42, off, s[0:3], 0 offset:4
	buffer_store_dword v41, off, s[0:3], 0
	s_waitcnt vmcnt(20)
	buffer_store_dword v50, off, s[0:3], 0 offset:12
	buffer_store_dword v49, off, s[0:3], 0 offset:8
	s_waitcnt vmcnt(21)
	buffer_store_dword v48, off, s[0:3], 0 offset:20
	buffer_store_dword v47, off, s[0:3], 0 offset:16
	s_waitcnt vmcnt(22)
	buffer_store_dword v46, off, s[0:3], 0 offset:28
	buffer_store_dword v45, off, s[0:3], 0 offset:24
	s_waitcnt vmcnt(23)
	buffer_store_dword v44, off, s[0:3], 0 offset:36
	buffer_store_dword v43, off, s[0:3], 0 offset:32
	s_waitcnt vmcnt(24)
	buffer_store_dword v58, off, s[0:3], 0 offset:44
	buffer_store_dword v57, off, s[0:3], 0 offset:40
	s_waitcnt vmcnt(25)
	buffer_store_dword v56, off, s[0:3], 0 offset:52
	buffer_store_dword v55, off, s[0:3], 0 offset:48
	s_waitcnt vmcnt(26)
	buffer_store_dword v54, off, s[0:3], 0 offset:60
	buffer_store_dword v53, off, s[0:3], 0 offset:56
	s_waitcnt vmcnt(27)
	buffer_store_dword v52, off, s[0:3], 0 offset:68
	buffer_store_dword v51, off, s[0:3], 0 offset:64
	s_waitcnt vmcnt(28)
	buffer_store_dword v65, off, s[0:3], 0 offset:72
	buffer_store_dword v66, off, s[0:3], 0 offset:76
	s_waitcnt vmcnt(29)
	buffer_store_dword v63, off, s[0:3], 0 offset:80
	buffer_store_dword v64, off, s[0:3], 0 offset:84
	s_waitcnt vmcnt(30)
	buffer_store_dword v61, off, s[0:3], 0 offset:88
	buffer_store_dword v62, off, s[0:3], 0 offset:92
	s_waitcnt vmcnt(31)
	buffer_store_dword v59, off, s[0:3], 0 offset:96
	buffer_store_dword v60, off, s[0:3], 0 offset:100
	s_waitcnt vmcnt(32)
	buffer_store_dword v71, off, s[0:3], 0 offset:104
	buffer_store_dword v72, off, s[0:3], 0 offset:108
	s_waitcnt vmcnt(33)
	buffer_store_dword v70, off, s[0:3], 0 offset:116
	buffer_store_dword v69, off, s[0:3], 0 offset:112
	s_waitcnt vmcnt(34)
	buffer_store_dword v67, off, s[0:3], 0 offset:120
	buffer_store_dword v68, off, s[0:3], 0 offset:124
	s_waitcnt vmcnt(35)
	buffer_store_dword v120, off, s[0:3], 0 offset:128
	v_lshlrev_b64 v[41:42], 3, v[73:74]
	v_mov_b32_e32 v43, s5
	v_add_co_u32_e32 v41, vcc, s4, v41
	v_ashrrev_i32_e32 v76, 31, v75
	v_addc_co_u32_e32 v42, vcc, v43, v42, vcc
	v_lshlrev_b64 v[43:44], 3, v[75:76]
	v_mov_b32_e32 v45, s5
	v_add_co_u32_e32 v43, vcc, s4, v43
	v_ashrrev_i32_e32 v78, 31, v77
	v_addc_co_u32_e32 v44, vcc, v45, v44, vcc
	;; [unrolled: 5-line block ×38, first 2 shown]
	v_lshlrev_b64 v[117:118], 3, v[153:154]
	v_mov_b32_e32 v119, s5
	v_add_co_u32_e32 v117, vcc, s4, v117
	global_load_dwordx2 v[161:162], v[41:42], off
	global_load_dwordx2 v[163:164], v[43:44], off
	global_load_dwordx2 v[165:166], v[45:46], off
	global_load_dwordx2 v[167:168], v[47:48], off
	global_load_dwordx2 v[169:170], v[49:50], off
	global_load_dwordx2 v[171:172], v[51:52], off
	global_load_dwordx2 v[173:174], v[53:54], off
	global_load_dwordx2 v[175:176], v[55:56], off
	global_load_dwordx2 v[177:178], v[57:58], off
	global_load_dwordx2 v[179:180], v[59:60], off
	global_load_dwordx2 v[181:182], v[61:62], off
	global_load_dwordx2 v[183:184], v[63:64], off
	global_load_dwordx2 v[185:186], v[65:66], off
	global_load_dwordx2 v[187:188], v[67:68], off
	global_load_dwordx2 v[189:190], v[69:70], off
	global_load_dwordx2 v[191:192], v[71:72], off
	global_load_dwordx2 v[193:194], v[73:74], off
	global_load_dwordx2 v[195:196], v[75:76], off
	global_load_dwordx2 v[197:198], v[77:78], off
	global_load_dwordx2 v[199:200], v[79:80], off
	global_load_dwordx2 v[201:202], v[81:82], off
	global_load_dwordx2 v[203:204], v[83:84], off
	global_load_dwordx2 v[205:206], v[85:86], off
	global_load_dwordx2 v[207:208], v[87:88], off
	global_load_dwordx2 v[122:123], v[89:90], off
	global_load_dwordx2 v[126:127], v[91:92], off
	global_load_dwordx2 v[128:129], v[93:94], off
	global_load_dwordx2 v[130:131], v[95:96], off
	global_load_dwordx2 v[133:134], v[97:98], off
	global_load_dwordx2 v[135:136], v[99:100], off
	global_load_dwordx2 v[137:138], v[101:102], off
	global_load_dwordx2 v[139:140], v[103:104], off
	global_load_dwordx2 v[141:142], v[105:106], off
	global_load_dwordx2 v[143:144], v[107:108], off
	global_load_dwordx2 v[145:146], v[109:110], off
	global_load_dwordx2 v[147:148], v[111:112], off
	v_addc_co_u32_e32 v118, vcc, v119, v118, vcc
	global_load_dwordx2 v[149:150], v[113:114], off
	global_load_dwordx2 v[151:152], v[115:116], off
	;; [unrolled: 1-line block ×3, first 2 shown]
	v_ashrrev_i32_e32 v156, 31, v155
	v_lshlrev_b64 v[119:120], 3, v[155:156]
	v_mov_b32_e32 v155, s5
	v_add_co_u32_e32 v119, vcc, s4, v119
	v_addc_co_u32_e32 v120, vcc, v155, v120, vcc
	global_load_dwordx2 v[155:156], v[119:120], off
	s_nop 0
	buffer_store_dword v121, off, s[0:3], 0 offset:132
	s_waitcnt vmcnt(40)
	buffer_store_dword v161, off, s[0:3], 0 offset:136
	buffer_store_dword v162, off, s[0:3], 0 offset:140
	s_waitcnt vmcnt(41)
	buffer_store_dword v163, off, s[0:3], 0 offset:144
	;; [unrolled: 3-line block ×24, first 2 shown]
	buffer_store_dword v208, off, s[0:3], 0 offset:324
	buffer_store_dword v122, off, s[0:3], 0 offset:328
	;; [unrolled: 1-line block ×3, first 2 shown]
	s_waitcnt vmcnt(62)
	buffer_store_dword v126, off, s[0:3], 0 offset:336
	buffer_store_dword v127, off, s[0:3], 0 offset:340
	;; [unrolled: 1-line block ×8, first 2 shown]
	s_waitcnt vmcnt(62)
	buffer_store_dword v135, off, s[0:3], 0 offset:368
	buffer_store_dword v136, off, s[0:3], 0 offset:372
	;; [unrolled: 1-line block ×16, first 2 shown]
	s_waitcnt vmcnt(62)
	buffer_store_dword v151, off, s[0:3], 0 offset:432
	buffer_store_dword v152, off, s[0:3], 0 offset:436
	;; [unrolled: 1-line block ×11, first 2 shown]
	v_mov_b32_e32 v121, 0
	s_cmpk_lg_i32 s9, 0x84
	v_mov_b32_e32 v122, 0xbff00000
	s_cselect_b64 s[10:11], -1, 0
	s_cmpk_eq_i32 s9, 0x84
	buffer_store_dword v125, off, s[0:3], 0 offset:476
	s_cbranch_scc1 .LBB59_3
; %bb.2:
	v_mov_b32_e32 v121, 0
	v_lshl_add_u32 v131, v0, 3, v121
	buffer_load_dword v121, v131, s[0:3], 0 offen
	buffer_load_dword v122, v131, s[0:3], 0 offen offset:4
	s_waitcnt vmcnt(0)
	v_div_scale_f64 v[123:124], s[4:5], v[121:122], v[121:122], 1.0
	v_rcp_f64_e32 v[125:126], v[123:124]
	v_fma_f64 v[127:128], -v[123:124], v[125:126], 1.0
	v_fma_f64 v[125:126], v[125:126], v[127:128], v[125:126]
	v_div_scale_f64 v[127:128], vcc, 1.0, v[121:122], 1.0
	v_fma_f64 v[129:130], -v[123:124], v[125:126], 1.0
	v_fma_f64 v[125:126], v[125:126], v[129:130], v[125:126]
	v_mul_f64 v[129:130], v[127:128], v[125:126]
	v_fma_f64 v[123:124], -v[123:124], v[129:130], v[127:128]
	v_div_fmas_f64 v[123:124], v[123:124], v[125:126], v[129:130]
	v_div_fixup_f64 v[121:122], v[123:124], v[121:122], 1.0
	buffer_store_dword v121, v131, s[0:3], 0 offen
	buffer_store_dword v122, v131, s[0:3], 0 offen offset:4
	v_xor_b32_e32 v122, 0x80000000, v122
.LBB59_3:
	s_cmpk_eq_i32 s8, 0x79
	v_add_u32_e32 v123, 0x1e0, v132
	v_mov_b32_e32 v124, v132
	s_mov_b64 s[4:5], -1
	ds_write_b64 v132, v[121:122]
	s_cbranch_scc1 .LBB59_587
; %bb.4:
	buffer_load_dword v121, off, s[0:3], 0 offset:464
	buffer_load_dword v122, off, s[0:3], 0 offset:468
	s_movk_i32 s12, 0x48
	s_movk_i32 s13, 0x50
	;; [unrolled: 1-line block ×49, first 2 shown]
	v_cmp_eq_u32_e64 s[4:5], 59, v0
	s_waitcnt vmcnt(0)
	ds_write_b64 v123, v[121:122]
	s_waitcnt lgkmcnt(0)
	; wave barrier
	s_and_saveexec_b64 s[6:7], s[4:5]
	s_cbranch_execz .LBB59_10
; %bb.5:
	s_and_b64 vcc, exec, s[10:11]
	s_cbranch_vccz .LBB59_7
; %bb.6:
	buffer_load_dword v121, v124, s[0:3], 0 offen
	buffer_load_dword v122, v124, s[0:3], 0 offen offset:4
	ds_read_b64 v[125:126], v123
	s_waitcnt vmcnt(0) lgkmcnt(0)
	v_mul_f64 v[121:122], v[121:122], v[125:126]
	s_cbranch_execz .LBB59_8
	s_branch .LBB59_9
.LBB59_7:
                                        ; implicit-def: $vgpr121_vgpr122
.LBB59_8:
	ds_read_b64 v[121:122], v123
.LBB59_9:
	v_mov_b32_e32 v125, 0
	ds_read_b64 v[125:126], v125 offset:464
	s_waitcnt lgkmcnt(0)
	v_mul_f64 v[121:122], v[121:122], v[125:126]
	buffer_store_dword v122, off, s[0:3], 0 offset:468
	buffer_store_dword v121, off, s[0:3], 0 offset:464
.LBB59_10:
	s_or_b64 exec, exec, s[6:7]
	buffer_load_dword v121, off, s[0:3], 0 offset:456
	buffer_load_dword v122, off, s[0:3], 0 offset:460
	s_or_b32 s14, 0, 8
	s_mov_b32 s15, 16
	s_mov_b32 s16, 24
	;; [unrolled: 1-line block ×9, first 2 shown]
	v_cmp_lt_u32_e64 s[6:7], 57, v0
	s_waitcnt vmcnt(0)
	ds_write_b64 v123, v[121:122]
	s_waitcnt lgkmcnt(0)
	; wave barrier
	s_and_saveexec_b64 s[8:9], s[6:7]
	s_cbranch_execz .LBB59_16
; %bb.11:
	s_andn2_b64 vcc, exec, s[10:11]
	s_cbranch_vccnz .LBB59_13
; %bb.12:
	buffer_load_dword v121, v124, s[0:3], 0 offen
	buffer_load_dword v122, v124, s[0:3], 0 offen offset:4
	ds_read_b64 v[125:126], v123
	s_waitcnt vmcnt(0) lgkmcnt(0)
	v_mul_f64 v[121:122], v[121:122], v[125:126]
	s_cbranch_execz .LBB59_14
	s_branch .LBB59_15
.LBB59_13:
                                        ; implicit-def: $vgpr121_vgpr122
.LBB59_14:
	ds_read_b64 v[121:122], v123
.LBB59_15:
	buffer_load_dword v129, off, s[0:3], 0 offset:464
	buffer_load_dword v130, off, s[0:3], 0 offset:468
	v_mov_b32_e32 v125, 0
	ds_read2_b64 v[125:128], v125 offset0:57 offset1:118
	s_waitcnt vmcnt(0) lgkmcnt(0)
	v_fma_f64 v[127:128], v[129:130], v[127:128], v[121:122]
	v_cndmask_b32_e64 v122, v122, v128, s[4:5]
	v_cndmask_b32_e64 v121, v121, v127, s[4:5]
	v_mul_f64 v[121:122], v[121:122], v[125:126]
	buffer_store_dword v122, off, s[0:3], 0 offset:460
	buffer_store_dword v121, off, s[0:3], 0 offset:456
.LBB59_16:
	s_or_b64 exec, exec, s[8:9]
	buffer_load_dword v121, off, s[0:3], 0 offset:448
	buffer_load_dword v122, off, s[0:3], 0 offset:452
	v_cmp_lt_u32_e64 s[4:5], 56, v0
	s_waitcnt vmcnt(0)
	ds_write_b64 v123, v[121:122]
	s_waitcnt lgkmcnt(0)
	; wave barrier
	s_and_saveexec_b64 s[8:9], s[4:5]
	s_cbranch_execz .LBB59_26
; %bb.17:
	s_andn2_b64 vcc, exec, s[10:11]
	s_cbranch_vccnz .LBB59_19
; %bb.18:
	buffer_load_dword v121, v124, s[0:3], 0 offen
	buffer_load_dword v122, v124, s[0:3], 0 offen offset:4
	ds_read_b64 v[125:126], v123
	s_waitcnt vmcnt(0) lgkmcnt(0)
	v_mul_f64 v[121:122], v[121:122], v[125:126]
	s_cbranch_execz .LBB59_20
	s_branch .LBB59_21
.LBB59_19:
                                        ; implicit-def: $vgpr121_vgpr122
.LBB59_20:
	ds_read_b64 v[121:122], v123
.LBB59_21:
	s_and_saveexec_b64 s[12:13], s[6:7]
	s_cbranch_execz .LBB59_25
; %bb.22:
	v_subrev_u32_e32 v125, 57, v0
	s_movk_i32 s72, 0x3a8
	s_mov_b64 s[6:7], 0
.LBB59_23:                              ; =>This Inner Loop Header: Depth=1
	v_mov_b32_e32 v127, s71
	buffer_load_dword v126, v127, s[0:3], 0 offen
	s_nop 0
	buffer_load_dword v127, v127, s[0:3], 0 offen offset:4
	v_mov_b32_e32 v128, s72
	ds_read_b64 v[128:129], v128
	v_add_u32_e32 v125, -1, v125
	s_add_i32 s72, s72, 8
	s_add_i32 s71, s71, 8
	v_cmp_eq_u32_e32 vcc, 0, v125
	s_or_b64 s[6:7], vcc, s[6:7]
	s_waitcnt vmcnt(0) lgkmcnt(0)
	v_fma_f64 v[121:122], v[126:127], v[128:129], v[121:122]
	s_andn2_b64 exec, exec, s[6:7]
	s_cbranch_execnz .LBB59_23
; %bb.24:
	s_or_b64 exec, exec, s[6:7]
.LBB59_25:
	s_or_b64 exec, exec, s[12:13]
	v_mov_b32_e32 v125, 0
	ds_read_b64 v[125:126], v125 offset:448
	s_waitcnt lgkmcnt(0)
	v_mul_f64 v[121:122], v[121:122], v[125:126]
	buffer_store_dword v122, off, s[0:3], 0 offset:452
	buffer_store_dword v121, off, s[0:3], 0 offset:448
.LBB59_26:
	s_or_b64 exec, exec, s[8:9]
	buffer_load_dword v121, off, s[0:3], 0 offset:440
	buffer_load_dword v122, off, s[0:3], 0 offset:444
	v_cmp_lt_u32_e64 s[6:7], 55, v0
	s_waitcnt vmcnt(0)
	ds_write_b64 v123, v[121:122]
	s_waitcnt lgkmcnt(0)
	; wave barrier
	s_and_saveexec_b64 s[8:9], s[6:7]
	s_cbranch_execz .LBB59_36
; %bb.27:
	s_andn2_b64 vcc, exec, s[10:11]
	s_cbranch_vccnz .LBB59_29
; %bb.28:
	buffer_load_dword v121, v124, s[0:3], 0 offen
	buffer_load_dword v122, v124, s[0:3], 0 offen offset:4
	ds_read_b64 v[125:126], v123
	s_waitcnt vmcnt(0) lgkmcnt(0)
	v_mul_f64 v[121:122], v[121:122], v[125:126]
	s_cbranch_execz .LBB59_30
	s_branch .LBB59_31
.LBB59_29:
                                        ; implicit-def: $vgpr121_vgpr122
.LBB59_30:
	ds_read_b64 v[121:122], v123
.LBB59_31:
	s_and_saveexec_b64 s[12:13], s[4:5]
	s_cbranch_execz .LBB59_35
; %bb.32:
	v_subrev_u32_e32 v125, 56, v0
	s_movk_i32 s71, 0x3a0
	s_mov_b64 s[4:5], 0
.LBB59_33:                              ; =>This Inner Loop Header: Depth=1
	v_mov_b32_e32 v127, s70
	buffer_load_dword v126, v127, s[0:3], 0 offen
	s_nop 0
	buffer_load_dword v127, v127, s[0:3], 0 offen offset:4
	v_mov_b32_e32 v128, s71
	ds_read_b64 v[128:129], v128
	v_add_u32_e32 v125, -1, v125
	s_add_i32 s71, s71, 8
	s_add_i32 s70, s70, 8
	v_cmp_eq_u32_e32 vcc, 0, v125
	s_or_b64 s[4:5], vcc, s[4:5]
	s_waitcnt vmcnt(0) lgkmcnt(0)
	v_fma_f64 v[121:122], v[126:127], v[128:129], v[121:122]
	s_andn2_b64 exec, exec, s[4:5]
	s_cbranch_execnz .LBB59_33
; %bb.34:
	s_or_b64 exec, exec, s[4:5]
.LBB59_35:
	s_or_b64 exec, exec, s[12:13]
	v_mov_b32_e32 v125, 0
	ds_read_b64 v[125:126], v125 offset:440
	s_waitcnt lgkmcnt(0)
	v_mul_f64 v[121:122], v[121:122], v[125:126]
	buffer_store_dword v122, off, s[0:3], 0 offset:444
	buffer_store_dword v121, off, s[0:3], 0 offset:440
.LBB59_36:
	;; [unrolled: 59-line block ×8, first 2 shown]
	s_or_b64 exec, exec, s[8:9]
	buffer_load_dword v121, off, s[0:3], 0 offset:384
	buffer_load_dword v122, off, s[0:3], 0 offset:388
	v_cmp_lt_u32_e64 s[4:5], 48, v0
	s_waitcnt vmcnt(0)
	ds_write_b64 v123, v[121:122]
	s_waitcnt lgkmcnt(0)
	; wave barrier
	s_and_saveexec_b64 s[8:9], s[4:5]
	s_cbranch_execz .LBB59_106
; %bb.97:
	s_andn2_b64 vcc, exec, s[10:11]
	s_cbranch_vccnz .LBB59_99
; %bb.98:
	buffer_load_dword v121, v124, s[0:3], 0 offen
	buffer_load_dword v122, v124, s[0:3], 0 offen offset:4
	ds_read_b64 v[125:126], v123
	s_waitcnt vmcnt(0) lgkmcnt(0)
	v_mul_f64 v[121:122], v[121:122], v[125:126]
	s_cbranch_execz .LBB59_100
	s_branch .LBB59_101
.LBB59_99:
                                        ; implicit-def: $vgpr121_vgpr122
.LBB59_100:
	ds_read_b64 v[121:122], v123
.LBB59_101:
	s_and_saveexec_b64 s[12:13], s[6:7]
	s_cbranch_execz .LBB59_105
; %bb.102:
	v_subrev_u32_e32 v125, 49, v0
	s_movk_i32 s64, 0x368
	s_mov_b64 s[6:7], 0
.LBB59_103:                             ; =>This Inner Loop Header: Depth=1
	v_mov_b32_e32 v127, s63
	buffer_load_dword v126, v127, s[0:3], 0 offen
	s_nop 0
	buffer_load_dword v127, v127, s[0:3], 0 offen offset:4
	v_mov_b32_e32 v128, s64
	ds_read_b64 v[128:129], v128
	v_add_u32_e32 v125, -1, v125
	s_add_i32 s64, s64, 8
	s_add_i32 s63, s63, 8
	v_cmp_eq_u32_e32 vcc, 0, v125
	s_or_b64 s[6:7], vcc, s[6:7]
	s_waitcnt vmcnt(0) lgkmcnt(0)
	v_fma_f64 v[121:122], v[126:127], v[128:129], v[121:122]
	s_andn2_b64 exec, exec, s[6:7]
	s_cbranch_execnz .LBB59_103
; %bb.104:
	s_or_b64 exec, exec, s[6:7]
.LBB59_105:
	s_or_b64 exec, exec, s[12:13]
	v_mov_b32_e32 v125, 0
	ds_read_b64 v[125:126], v125 offset:384
	s_waitcnt lgkmcnt(0)
	v_mul_f64 v[121:122], v[121:122], v[125:126]
	buffer_store_dword v122, off, s[0:3], 0 offset:388
	buffer_store_dword v121, off, s[0:3], 0 offset:384
.LBB59_106:
	s_or_b64 exec, exec, s[8:9]
	buffer_load_dword v121, off, s[0:3], 0 offset:376
	buffer_load_dword v122, off, s[0:3], 0 offset:380
	v_cmp_lt_u32_e64 s[6:7], 47, v0
	s_waitcnt vmcnt(0)
	ds_write_b64 v123, v[121:122]
	s_waitcnt lgkmcnt(0)
	; wave barrier
	s_and_saveexec_b64 s[8:9], s[6:7]
	s_cbranch_execz .LBB59_116
; %bb.107:
	s_andn2_b64 vcc, exec, s[10:11]
	s_cbranch_vccnz .LBB59_109
; %bb.108:
	buffer_load_dword v121, v124, s[0:3], 0 offen
	buffer_load_dword v122, v124, s[0:3], 0 offen offset:4
	ds_read_b64 v[125:126], v123
	s_waitcnt vmcnt(0) lgkmcnt(0)
	v_mul_f64 v[121:122], v[121:122], v[125:126]
	s_cbranch_execz .LBB59_110
	s_branch .LBB59_111
.LBB59_109:
                                        ; implicit-def: $vgpr121_vgpr122
.LBB59_110:
	ds_read_b64 v[121:122], v123
.LBB59_111:
	s_and_saveexec_b64 s[12:13], s[4:5]
	s_cbranch_execz .LBB59_115
; %bb.112:
	v_subrev_u32_e32 v125, 48, v0
	s_movk_i32 s63, 0x360
	s_mov_b64 s[4:5], 0
.LBB59_113:                             ; =>This Inner Loop Header: Depth=1
	v_mov_b32_e32 v127, s62
	buffer_load_dword v126, v127, s[0:3], 0 offen
	s_nop 0
	buffer_load_dword v127, v127, s[0:3], 0 offen offset:4
	v_mov_b32_e32 v128, s63
	ds_read_b64 v[128:129], v128
	v_add_u32_e32 v125, -1, v125
	s_add_i32 s63, s63, 8
	s_add_i32 s62, s62, 8
	v_cmp_eq_u32_e32 vcc, 0, v125
	s_or_b64 s[4:5], vcc, s[4:5]
	s_waitcnt vmcnt(0) lgkmcnt(0)
	v_fma_f64 v[121:122], v[126:127], v[128:129], v[121:122]
	s_andn2_b64 exec, exec, s[4:5]
	s_cbranch_execnz .LBB59_113
; %bb.114:
	s_or_b64 exec, exec, s[4:5]
.LBB59_115:
	s_or_b64 exec, exec, s[12:13]
	v_mov_b32_e32 v125, 0
	ds_read_b64 v[125:126], v125 offset:376
	s_waitcnt lgkmcnt(0)
	v_mul_f64 v[121:122], v[121:122], v[125:126]
	buffer_store_dword v122, off, s[0:3], 0 offset:380
	buffer_store_dword v121, off, s[0:3], 0 offset:376
.LBB59_116:
	s_or_b64 exec, exec, s[8:9]
	buffer_load_dword v121, off, s[0:3], 0 offset:368
	buffer_load_dword v122, off, s[0:3], 0 offset:372
	v_cmp_lt_u32_e64 s[4:5], 46, v0
	s_waitcnt vmcnt(0)
	ds_write_b64 v123, v[121:122]
	s_waitcnt lgkmcnt(0)
	; wave barrier
	s_and_saveexec_b64 s[8:9], s[4:5]
	s_cbranch_execz .LBB59_126
; %bb.117:
	s_andn2_b64 vcc, exec, s[10:11]
	s_cbranch_vccnz .LBB59_119
; %bb.118:
	buffer_load_dword v121, v124, s[0:3], 0 offen
	buffer_load_dword v122, v124, s[0:3], 0 offen offset:4
	ds_read_b64 v[125:126], v123
	s_waitcnt vmcnt(0) lgkmcnt(0)
	v_mul_f64 v[121:122], v[121:122], v[125:126]
	s_cbranch_execz .LBB59_120
	s_branch .LBB59_121
.LBB59_119:
                                        ; implicit-def: $vgpr121_vgpr122
.LBB59_120:
	ds_read_b64 v[121:122], v123
.LBB59_121:
	s_and_saveexec_b64 s[12:13], s[6:7]
	s_cbranch_execz .LBB59_125
; %bb.122:
	v_subrev_u32_e32 v125, 47, v0
	s_movk_i32 s62, 0x358
	s_mov_b64 s[6:7], 0
.LBB59_123:                             ; =>This Inner Loop Header: Depth=1
	v_mov_b32_e32 v127, s61
	buffer_load_dword v126, v127, s[0:3], 0 offen
	s_nop 0
	buffer_load_dword v127, v127, s[0:3], 0 offen offset:4
	v_mov_b32_e32 v128, s62
	ds_read_b64 v[128:129], v128
	v_add_u32_e32 v125, -1, v125
	s_add_i32 s62, s62, 8
	s_add_i32 s61, s61, 8
	v_cmp_eq_u32_e32 vcc, 0, v125
	s_or_b64 s[6:7], vcc, s[6:7]
	s_waitcnt vmcnt(0) lgkmcnt(0)
	v_fma_f64 v[121:122], v[126:127], v[128:129], v[121:122]
	s_andn2_b64 exec, exec, s[6:7]
	s_cbranch_execnz .LBB59_123
; %bb.124:
	s_or_b64 exec, exec, s[6:7]
.LBB59_125:
	s_or_b64 exec, exec, s[12:13]
	v_mov_b32_e32 v125, 0
	ds_read_b64 v[125:126], v125 offset:368
	s_waitcnt lgkmcnt(0)
	v_mul_f64 v[121:122], v[121:122], v[125:126]
	buffer_store_dword v122, off, s[0:3], 0 offset:372
	buffer_store_dword v121, off, s[0:3], 0 offset:368
.LBB59_126:
	s_or_b64 exec, exec, s[8:9]
	buffer_load_dword v121, off, s[0:3], 0 offset:360
	buffer_load_dword v122, off, s[0:3], 0 offset:364
	v_cmp_lt_u32_e64 s[6:7], 45, v0
	s_waitcnt vmcnt(0)
	ds_write_b64 v123, v[121:122]
	s_waitcnt lgkmcnt(0)
	; wave barrier
	s_and_saveexec_b64 s[8:9], s[6:7]
	s_cbranch_execz .LBB59_136
; %bb.127:
	s_andn2_b64 vcc, exec, s[10:11]
	s_cbranch_vccnz .LBB59_129
; %bb.128:
	buffer_load_dword v121, v124, s[0:3], 0 offen
	buffer_load_dword v122, v124, s[0:3], 0 offen offset:4
	ds_read_b64 v[125:126], v123
	s_waitcnt vmcnt(0) lgkmcnt(0)
	v_mul_f64 v[121:122], v[121:122], v[125:126]
	s_cbranch_execz .LBB59_130
	s_branch .LBB59_131
.LBB59_129:
                                        ; implicit-def: $vgpr121_vgpr122
.LBB59_130:
	ds_read_b64 v[121:122], v123
.LBB59_131:
	s_and_saveexec_b64 s[12:13], s[4:5]
	s_cbranch_execz .LBB59_135
; %bb.132:
	v_subrev_u32_e32 v125, 46, v0
	s_movk_i32 s61, 0x350
	s_mov_b64 s[4:5], 0
.LBB59_133:                             ; =>This Inner Loop Header: Depth=1
	v_mov_b32_e32 v127, s60
	buffer_load_dword v126, v127, s[0:3], 0 offen
	s_nop 0
	buffer_load_dword v127, v127, s[0:3], 0 offen offset:4
	v_mov_b32_e32 v128, s61
	ds_read_b64 v[128:129], v128
	v_add_u32_e32 v125, -1, v125
	s_add_i32 s61, s61, 8
	s_add_i32 s60, s60, 8
	v_cmp_eq_u32_e32 vcc, 0, v125
	s_or_b64 s[4:5], vcc, s[4:5]
	s_waitcnt vmcnt(0) lgkmcnt(0)
	v_fma_f64 v[121:122], v[126:127], v[128:129], v[121:122]
	s_andn2_b64 exec, exec, s[4:5]
	s_cbranch_execnz .LBB59_133
; %bb.134:
	s_or_b64 exec, exec, s[4:5]
.LBB59_135:
	s_or_b64 exec, exec, s[12:13]
	v_mov_b32_e32 v125, 0
	ds_read_b64 v[125:126], v125 offset:360
	s_waitcnt lgkmcnt(0)
	v_mul_f64 v[121:122], v[121:122], v[125:126]
	buffer_store_dword v122, off, s[0:3], 0 offset:364
	buffer_store_dword v121, off, s[0:3], 0 offset:360
.LBB59_136:
	s_or_b64 exec, exec, s[8:9]
	buffer_load_dword v121, off, s[0:3], 0 offset:352
	buffer_load_dword v122, off, s[0:3], 0 offset:356
	v_cmp_lt_u32_e64 s[4:5], 44, v0
	s_waitcnt vmcnt(0)
	ds_write_b64 v123, v[121:122]
	s_waitcnt lgkmcnt(0)
	; wave barrier
	s_and_saveexec_b64 s[8:9], s[4:5]
	s_cbranch_execz .LBB59_146
; %bb.137:
	s_andn2_b64 vcc, exec, s[10:11]
	s_cbranch_vccnz .LBB59_139
; %bb.138:
	buffer_load_dword v121, v124, s[0:3], 0 offen
	buffer_load_dword v122, v124, s[0:3], 0 offen offset:4
	ds_read_b64 v[125:126], v123
	s_waitcnt vmcnt(0) lgkmcnt(0)
	v_mul_f64 v[121:122], v[121:122], v[125:126]
	s_cbranch_execz .LBB59_140
	s_branch .LBB59_141
.LBB59_139:
                                        ; implicit-def: $vgpr121_vgpr122
.LBB59_140:
	ds_read_b64 v[121:122], v123
.LBB59_141:
	s_and_saveexec_b64 s[12:13], s[6:7]
	s_cbranch_execz .LBB59_145
; %bb.142:
	v_subrev_u32_e32 v125, 45, v0
	s_movk_i32 s60, 0x348
	s_mov_b64 s[6:7], 0
.LBB59_143:                             ; =>This Inner Loop Header: Depth=1
	v_mov_b32_e32 v127, s59
	buffer_load_dword v126, v127, s[0:3], 0 offen
	s_nop 0
	buffer_load_dword v127, v127, s[0:3], 0 offen offset:4
	v_mov_b32_e32 v128, s60
	ds_read_b64 v[128:129], v128
	v_add_u32_e32 v125, -1, v125
	s_add_i32 s60, s60, 8
	s_add_i32 s59, s59, 8
	v_cmp_eq_u32_e32 vcc, 0, v125
	s_or_b64 s[6:7], vcc, s[6:7]
	s_waitcnt vmcnt(0) lgkmcnt(0)
	v_fma_f64 v[121:122], v[126:127], v[128:129], v[121:122]
	s_andn2_b64 exec, exec, s[6:7]
	s_cbranch_execnz .LBB59_143
; %bb.144:
	s_or_b64 exec, exec, s[6:7]
.LBB59_145:
	s_or_b64 exec, exec, s[12:13]
	v_mov_b32_e32 v125, 0
	ds_read_b64 v[125:126], v125 offset:352
	s_waitcnt lgkmcnt(0)
	v_mul_f64 v[121:122], v[121:122], v[125:126]
	buffer_store_dword v122, off, s[0:3], 0 offset:356
	buffer_store_dword v121, off, s[0:3], 0 offset:352
.LBB59_146:
	s_or_b64 exec, exec, s[8:9]
	buffer_load_dword v121, off, s[0:3], 0 offset:344
	buffer_load_dword v122, off, s[0:3], 0 offset:348
	v_cmp_lt_u32_e64 s[6:7], 43, v0
	s_waitcnt vmcnt(0)
	ds_write_b64 v123, v[121:122]
	s_waitcnt lgkmcnt(0)
	; wave barrier
	s_and_saveexec_b64 s[8:9], s[6:7]
	s_cbranch_execz .LBB59_156
; %bb.147:
	s_andn2_b64 vcc, exec, s[10:11]
	s_cbranch_vccnz .LBB59_149
; %bb.148:
	buffer_load_dword v121, v124, s[0:3], 0 offen
	buffer_load_dword v122, v124, s[0:3], 0 offen offset:4
	ds_read_b64 v[125:126], v123
	s_waitcnt vmcnt(0) lgkmcnt(0)
	v_mul_f64 v[121:122], v[121:122], v[125:126]
	s_cbranch_execz .LBB59_150
	s_branch .LBB59_151
.LBB59_149:
                                        ; implicit-def: $vgpr121_vgpr122
.LBB59_150:
	ds_read_b64 v[121:122], v123
.LBB59_151:
	s_and_saveexec_b64 s[12:13], s[4:5]
	s_cbranch_execz .LBB59_155
; %bb.152:
	v_subrev_u32_e32 v125, 44, v0
	s_movk_i32 s59, 0x340
	s_mov_b64 s[4:5], 0
.LBB59_153:                             ; =>This Inner Loop Header: Depth=1
	v_mov_b32_e32 v127, s58
	buffer_load_dword v126, v127, s[0:3], 0 offen
	s_nop 0
	buffer_load_dword v127, v127, s[0:3], 0 offen offset:4
	v_mov_b32_e32 v128, s59
	ds_read_b64 v[128:129], v128
	v_add_u32_e32 v125, -1, v125
	s_add_i32 s59, s59, 8
	s_add_i32 s58, s58, 8
	v_cmp_eq_u32_e32 vcc, 0, v125
	s_or_b64 s[4:5], vcc, s[4:5]
	s_waitcnt vmcnt(0) lgkmcnt(0)
	v_fma_f64 v[121:122], v[126:127], v[128:129], v[121:122]
	s_andn2_b64 exec, exec, s[4:5]
	s_cbranch_execnz .LBB59_153
; %bb.154:
	s_or_b64 exec, exec, s[4:5]
.LBB59_155:
	s_or_b64 exec, exec, s[12:13]
	v_mov_b32_e32 v125, 0
	ds_read_b64 v[125:126], v125 offset:344
	s_waitcnt lgkmcnt(0)
	v_mul_f64 v[121:122], v[121:122], v[125:126]
	buffer_store_dword v122, off, s[0:3], 0 offset:348
	buffer_store_dword v121, off, s[0:3], 0 offset:344
.LBB59_156:
	s_or_b64 exec, exec, s[8:9]
	buffer_load_dword v121, off, s[0:3], 0 offset:336
	buffer_load_dword v122, off, s[0:3], 0 offset:340
	v_cmp_lt_u32_e64 s[4:5], 42, v0
	s_waitcnt vmcnt(0)
	ds_write_b64 v123, v[121:122]
	s_waitcnt lgkmcnt(0)
	; wave barrier
	s_and_saveexec_b64 s[8:9], s[4:5]
	s_cbranch_execz .LBB59_166
; %bb.157:
	s_andn2_b64 vcc, exec, s[10:11]
	s_cbranch_vccnz .LBB59_159
; %bb.158:
	buffer_load_dword v121, v124, s[0:3], 0 offen
	buffer_load_dword v122, v124, s[0:3], 0 offen offset:4
	ds_read_b64 v[125:126], v123
	s_waitcnt vmcnt(0) lgkmcnt(0)
	v_mul_f64 v[121:122], v[121:122], v[125:126]
	s_cbranch_execz .LBB59_160
	s_branch .LBB59_161
.LBB59_159:
                                        ; implicit-def: $vgpr121_vgpr122
.LBB59_160:
	ds_read_b64 v[121:122], v123
.LBB59_161:
	s_and_saveexec_b64 s[12:13], s[6:7]
	s_cbranch_execz .LBB59_165
; %bb.162:
	v_subrev_u32_e32 v125, 43, v0
	s_movk_i32 s58, 0x338
	s_mov_b64 s[6:7], 0
.LBB59_163:                             ; =>This Inner Loop Header: Depth=1
	v_mov_b32_e32 v127, s57
	buffer_load_dword v126, v127, s[0:3], 0 offen
	s_nop 0
	buffer_load_dword v127, v127, s[0:3], 0 offen offset:4
	v_mov_b32_e32 v128, s58
	ds_read_b64 v[128:129], v128
	v_add_u32_e32 v125, -1, v125
	s_add_i32 s58, s58, 8
	s_add_i32 s57, s57, 8
	v_cmp_eq_u32_e32 vcc, 0, v125
	s_or_b64 s[6:7], vcc, s[6:7]
	s_waitcnt vmcnt(0) lgkmcnt(0)
	v_fma_f64 v[121:122], v[126:127], v[128:129], v[121:122]
	s_andn2_b64 exec, exec, s[6:7]
	s_cbranch_execnz .LBB59_163
; %bb.164:
	s_or_b64 exec, exec, s[6:7]
.LBB59_165:
	s_or_b64 exec, exec, s[12:13]
	v_mov_b32_e32 v125, 0
	ds_read_b64 v[125:126], v125 offset:336
	s_waitcnt lgkmcnt(0)
	v_mul_f64 v[121:122], v[121:122], v[125:126]
	buffer_store_dword v122, off, s[0:3], 0 offset:340
	buffer_store_dword v121, off, s[0:3], 0 offset:336
.LBB59_166:
	s_or_b64 exec, exec, s[8:9]
	buffer_load_dword v121, off, s[0:3], 0 offset:328
	buffer_load_dword v122, off, s[0:3], 0 offset:332
	v_cmp_lt_u32_e64 s[6:7], 41, v0
	s_waitcnt vmcnt(0)
	ds_write_b64 v123, v[121:122]
	s_waitcnt lgkmcnt(0)
	; wave barrier
	s_and_saveexec_b64 s[8:9], s[6:7]
	s_cbranch_execz .LBB59_176
; %bb.167:
	s_andn2_b64 vcc, exec, s[10:11]
	s_cbranch_vccnz .LBB59_169
; %bb.168:
	buffer_load_dword v121, v124, s[0:3], 0 offen
	buffer_load_dword v122, v124, s[0:3], 0 offen offset:4
	ds_read_b64 v[125:126], v123
	s_waitcnt vmcnt(0) lgkmcnt(0)
	v_mul_f64 v[121:122], v[121:122], v[125:126]
	s_cbranch_execz .LBB59_170
	s_branch .LBB59_171
.LBB59_169:
                                        ; implicit-def: $vgpr121_vgpr122
.LBB59_170:
	ds_read_b64 v[121:122], v123
.LBB59_171:
	s_and_saveexec_b64 s[12:13], s[4:5]
	s_cbranch_execz .LBB59_175
; %bb.172:
	v_subrev_u32_e32 v125, 42, v0
	s_movk_i32 s57, 0x330
	s_mov_b64 s[4:5], 0
.LBB59_173:                             ; =>This Inner Loop Header: Depth=1
	v_mov_b32_e32 v127, s56
	buffer_load_dword v126, v127, s[0:3], 0 offen
	s_nop 0
	buffer_load_dword v127, v127, s[0:3], 0 offen offset:4
	v_mov_b32_e32 v128, s57
	ds_read_b64 v[128:129], v128
	v_add_u32_e32 v125, -1, v125
	s_add_i32 s57, s57, 8
	s_add_i32 s56, s56, 8
	v_cmp_eq_u32_e32 vcc, 0, v125
	s_or_b64 s[4:5], vcc, s[4:5]
	s_waitcnt vmcnt(0) lgkmcnt(0)
	v_fma_f64 v[121:122], v[126:127], v[128:129], v[121:122]
	s_andn2_b64 exec, exec, s[4:5]
	s_cbranch_execnz .LBB59_173
; %bb.174:
	s_or_b64 exec, exec, s[4:5]
.LBB59_175:
	s_or_b64 exec, exec, s[12:13]
	v_mov_b32_e32 v125, 0
	ds_read_b64 v[125:126], v125 offset:328
	s_waitcnt lgkmcnt(0)
	v_mul_f64 v[121:122], v[121:122], v[125:126]
	buffer_store_dword v122, off, s[0:3], 0 offset:332
	buffer_store_dword v121, off, s[0:3], 0 offset:328
.LBB59_176:
	s_or_b64 exec, exec, s[8:9]
	buffer_load_dword v121, off, s[0:3], 0 offset:320
	buffer_load_dword v122, off, s[0:3], 0 offset:324
	v_cmp_lt_u32_e64 s[4:5], 40, v0
	s_waitcnt vmcnt(0)
	ds_write_b64 v123, v[121:122]
	s_waitcnt lgkmcnt(0)
	; wave barrier
	s_and_saveexec_b64 s[8:9], s[4:5]
	s_cbranch_execz .LBB59_186
; %bb.177:
	s_andn2_b64 vcc, exec, s[10:11]
	s_cbranch_vccnz .LBB59_179
; %bb.178:
	buffer_load_dword v121, v124, s[0:3], 0 offen
	buffer_load_dword v122, v124, s[0:3], 0 offen offset:4
	ds_read_b64 v[125:126], v123
	s_waitcnt vmcnt(0) lgkmcnt(0)
	v_mul_f64 v[121:122], v[121:122], v[125:126]
	s_cbranch_execz .LBB59_180
	s_branch .LBB59_181
.LBB59_179:
                                        ; implicit-def: $vgpr121_vgpr122
.LBB59_180:
	ds_read_b64 v[121:122], v123
.LBB59_181:
	s_and_saveexec_b64 s[12:13], s[6:7]
	s_cbranch_execz .LBB59_185
; %bb.182:
	v_subrev_u32_e32 v125, 41, v0
	s_movk_i32 s56, 0x328
	s_mov_b64 s[6:7], 0
.LBB59_183:                             ; =>This Inner Loop Header: Depth=1
	v_mov_b32_e32 v127, s55
	buffer_load_dword v126, v127, s[0:3], 0 offen
	s_nop 0
	buffer_load_dword v127, v127, s[0:3], 0 offen offset:4
	v_mov_b32_e32 v128, s56
	ds_read_b64 v[128:129], v128
	v_add_u32_e32 v125, -1, v125
	s_add_i32 s56, s56, 8
	s_add_i32 s55, s55, 8
	v_cmp_eq_u32_e32 vcc, 0, v125
	s_or_b64 s[6:7], vcc, s[6:7]
	s_waitcnt vmcnt(0) lgkmcnt(0)
	v_fma_f64 v[121:122], v[126:127], v[128:129], v[121:122]
	s_andn2_b64 exec, exec, s[6:7]
	s_cbranch_execnz .LBB59_183
; %bb.184:
	s_or_b64 exec, exec, s[6:7]
.LBB59_185:
	s_or_b64 exec, exec, s[12:13]
	v_mov_b32_e32 v125, 0
	ds_read_b64 v[125:126], v125 offset:320
	s_waitcnt lgkmcnt(0)
	v_mul_f64 v[121:122], v[121:122], v[125:126]
	buffer_store_dword v122, off, s[0:3], 0 offset:324
	buffer_store_dword v121, off, s[0:3], 0 offset:320
.LBB59_186:
	s_or_b64 exec, exec, s[8:9]
	buffer_load_dword v121, off, s[0:3], 0 offset:312
	buffer_load_dword v122, off, s[0:3], 0 offset:316
	v_cmp_lt_u32_e64 s[6:7], 39, v0
	s_waitcnt vmcnt(0)
	ds_write_b64 v123, v[121:122]
	s_waitcnt lgkmcnt(0)
	; wave barrier
	s_and_saveexec_b64 s[8:9], s[6:7]
	s_cbranch_execz .LBB59_196
; %bb.187:
	s_andn2_b64 vcc, exec, s[10:11]
	s_cbranch_vccnz .LBB59_189
; %bb.188:
	buffer_load_dword v121, v124, s[0:3], 0 offen
	buffer_load_dword v122, v124, s[0:3], 0 offen offset:4
	ds_read_b64 v[125:126], v123
	s_waitcnt vmcnt(0) lgkmcnt(0)
	v_mul_f64 v[121:122], v[121:122], v[125:126]
	s_cbranch_execz .LBB59_190
	s_branch .LBB59_191
.LBB59_189:
                                        ; implicit-def: $vgpr121_vgpr122
.LBB59_190:
	ds_read_b64 v[121:122], v123
.LBB59_191:
	s_and_saveexec_b64 s[12:13], s[4:5]
	s_cbranch_execz .LBB59_195
; %bb.192:
	v_subrev_u32_e32 v125, 40, v0
	s_movk_i32 s55, 0x320
	s_mov_b64 s[4:5], 0
.LBB59_193:                             ; =>This Inner Loop Header: Depth=1
	v_mov_b32_e32 v127, s54
	buffer_load_dword v126, v127, s[0:3], 0 offen
	s_nop 0
	buffer_load_dword v127, v127, s[0:3], 0 offen offset:4
	v_mov_b32_e32 v128, s55
	ds_read_b64 v[128:129], v128
	v_add_u32_e32 v125, -1, v125
	s_add_i32 s55, s55, 8
	s_add_i32 s54, s54, 8
	v_cmp_eq_u32_e32 vcc, 0, v125
	s_or_b64 s[4:5], vcc, s[4:5]
	s_waitcnt vmcnt(0) lgkmcnt(0)
	v_fma_f64 v[121:122], v[126:127], v[128:129], v[121:122]
	s_andn2_b64 exec, exec, s[4:5]
	s_cbranch_execnz .LBB59_193
; %bb.194:
	s_or_b64 exec, exec, s[4:5]
.LBB59_195:
	s_or_b64 exec, exec, s[12:13]
	v_mov_b32_e32 v125, 0
	ds_read_b64 v[125:126], v125 offset:312
	s_waitcnt lgkmcnt(0)
	v_mul_f64 v[121:122], v[121:122], v[125:126]
	buffer_store_dword v122, off, s[0:3], 0 offset:316
	buffer_store_dword v121, off, s[0:3], 0 offset:312
.LBB59_196:
	s_or_b64 exec, exec, s[8:9]
	buffer_load_dword v121, off, s[0:3], 0 offset:304
	buffer_load_dword v122, off, s[0:3], 0 offset:308
	v_cmp_lt_u32_e64 s[4:5], 38, v0
	s_waitcnt vmcnt(0)
	ds_write_b64 v123, v[121:122]
	s_waitcnt lgkmcnt(0)
	; wave barrier
	s_and_saveexec_b64 s[8:9], s[4:5]
	s_cbranch_execz .LBB59_206
; %bb.197:
	s_andn2_b64 vcc, exec, s[10:11]
	s_cbranch_vccnz .LBB59_199
; %bb.198:
	buffer_load_dword v121, v124, s[0:3], 0 offen
	buffer_load_dword v122, v124, s[0:3], 0 offen offset:4
	ds_read_b64 v[125:126], v123
	s_waitcnt vmcnt(0) lgkmcnt(0)
	v_mul_f64 v[121:122], v[121:122], v[125:126]
	s_cbranch_execz .LBB59_200
	s_branch .LBB59_201
.LBB59_199:
                                        ; implicit-def: $vgpr121_vgpr122
.LBB59_200:
	ds_read_b64 v[121:122], v123
.LBB59_201:
	s_and_saveexec_b64 s[12:13], s[6:7]
	s_cbranch_execz .LBB59_205
; %bb.202:
	v_subrev_u32_e32 v125, 39, v0
	s_movk_i32 s54, 0x318
	s_mov_b64 s[6:7], 0
.LBB59_203:                             ; =>This Inner Loop Header: Depth=1
	v_mov_b32_e32 v127, s53
	buffer_load_dword v126, v127, s[0:3], 0 offen
	s_nop 0
	buffer_load_dword v127, v127, s[0:3], 0 offen offset:4
	v_mov_b32_e32 v128, s54
	ds_read_b64 v[128:129], v128
	v_add_u32_e32 v125, -1, v125
	s_add_i32 s54, s54, 8
	s_add_i32 s53, s53, 8
	v_cmp_eq_u32_e32 vcc, 0, v125
	s_or_b64 s[6:7], vcc, s[6:7]
	s_waitcnt vmcnt(0) lgkmcnt(0)
	v_fma_f64 v[121:122], v[126:127], v[128:129], v[121:122]
	s_andn2_b64 exec, exec, s[6:7]
	s_cbranch_execnz .LBB59_203
; %bb.204:
	s_or_b64 exec, exec, s[6:7]
.LBB59_205:
	s_or_b64 exec, exec, s[12:13]
	v_mov_b32_e32 v125, 0
	ds_read_b64 v[125:126], v125 offset:304
	s_waitcnt lgkmcnt(0)
	v_mul_f64 v[121:122], v[121:122], v[125:126]
	buffer_store_dword v122, off, s[0:3], 0 offset:308
	buffer_store_dword v121, off, s[0:3], 0 offset:304
.LBB59_206:
	s_or_b64 exec, exec, s[8:9]
	buffer_load_dword v121, off, s[0:3], 0 offset:296
	buffer_load_dword v122, off, s[0:3], 0 offset:300
	v_cmp_lt_u32_e64 s[6:7], 37, v0
	s_waitcnt vmcnt(0)
	ds_write_b64 v123, v[121:122]
	s_waitcnt lgkmcnt(0)
	; wave barrier
	s_and_saveexec_b64 s[8:9], s[6:7]
	s_cbranch_execz .LBB59_216
; %bb.207:
	s_andn2_b64 vcc, exec, s[10:11]
	s_cbranch_vccnz .LBB59_209
; %bb.208:
	buffer_load_dword v121, v124, s[0:3], 0 offen
	buffer_load_dword v122, v124, s[0:3], 0 offen offset:4
	ds_read_b64 v[125:126], v123
	s_waitcnt vmcnt(0) lgkmcnt(0)
	v_mul_f64 v[121:122], v[121:122], v[125:126]
	s_cbranch_execz .LBB59_210
	s_branch .LBB59_211
.LBB59_209:
                                        ; implicit-def: $vgpr121_vgpr122
.LBB59_210:
	ds_read_b64 v[121:122], v123
.LBB59_211:
	s_and_saveexec_b64 s[12:13], s[4:5]
	s_cbranch_execz .LBB59_215
; %bb.212:
	v_subrev_u32_e32 v125, 38, v0
	s_movk_i32 s53, 0x310
	s_mov_b64 s[4:5], 0
.LBB59_213:                             ; =>This Inner Loop Header: Depth=1
	v_mov_b32_e32 v127, s52
	buffer_load_dword v126, v127, s[0:3], 0 offen
	s_nop 0
	buffer_load_dword v127, v127, s[0:3], 0 offen offset:4
	v_mov_b32_e32 v128, s53
	ds_read_b64 v[128:129], v128
	v_add_u32_e32 v125, -1, v125
	s_add_i32 s53, s53, 8
	s_add_i32 s52, s52, 8
	v_cmp_eq_u32_e32 vcc, 0, v125
	s_or_b64 s[4:5], vcc, s[4:5]
	s_waitcnt vmcnt(0) lgkmcnt(0)
	v_fma_f64 v[121:122], v[126:127], v[128:129], v[121:122]
	s_andn2_b64 exec, exec, s[4:5]
	s_cbranch_execnz .LBB59_213
; %bb.214:
	s_or_b64 exec, exec, s[4:5]
.LBB59_215:
	s_or_b64 exec, exec, s[12:13]
	v_mov_b32_e32 v125, 0
	ds_read_b64 v[125:126], v125 offset:296
	s_waitcnt lgkmcnt(0)
	v_mul_f64 v[121:122], v[121:122], v[125:126]
	buffer_store_dword v122, off, s[0:3], 0 offset:300
	buffer_store_dword v121, off, s[0:3], 0 offset:296
.LBB59_216:
	s_or_b64 exec, exec, s[8:9]
	buffer_load_dword v121, off, s[0:3], 0 offset:288
	buffer_load_dword v122, off, s[0:3], 0 offset:292
	v_cmp_lt_u32_e64 s[4:5], 36, v0
	s_waitcnt vmcnt(0)
	ds_write_b64 v123, v[121:122]
	s_waitcnt lgkmcnt(0)
	; wave barrier
	s_and_saveexec_b64 s[8:9], s[4:5]
	s_cbranch_execz .LBB59_226
; %bb.217:
	s_andn2_b64 vcc, exec, s[10:11]
	s_cbranch_vccnz .LBB59_219
; %bb.218:
	buffer_load_dword v121, v124, s[0:3], 0 offen
	buffer_load_dword v122, v124, s[0:3], 0 offen offset:4
	ds_read_b64 v[125:126], v123
	s_waitcnt vmcnt(0) lgkmcnt(0)
	v_mul_f64 v[121:122], v[121:122], v[125:126]
	s_cbranch_execz .LBB59_220
	s_branch .LBB59_221
.LBB59_219:
                                        ; implicit-def: $vgpr121_vgpr122
.LBB59_220:
	ds_read_b64 v[121:122], v123
.LBB59_221:
	s_and_saveexec_b64 s[12:13], s[6:7]
	s_cbranch_execz .LBB59_225
; %bb.222:
	v_subrev_u32_e32 v125, 37, v0
	s_movk_i32 s52, 0x308
	s_mov_b64 s[6:7], 0
.LBB59_223:                             ; =>This Inner Loop Header: Depth=1
	v_mov_b32_e32 v127, s51
	buffer_load_dword v126, v127, s[0:3], 0 offen
	s_nop 0
	buffer_load_dword v127, v127, s[0:3], 0 offen offset:4
	v_mov_b32_e32 v128, s52
	ds_read_b64 v[128:129], v128
	v_add_u32_e32 v125, -1, v125
	s_add_i32 s52, s52, 8
	s_add_i32 s51, s51, 8
	v_cmp_eq_u32_e32 vcc, 0, v125
	s_or_b64 s[6:7], vcc, s[6:7]
	s_waitcnt vmcnt(0) lgkmcnt(0)
	v_fma_f64 v[121:122], v[126:127], v[128:129], v[121:122]
	s_andn2_b64 exec, exec, s[6:7]
	s_cbranch_execnz .LBB59_223
; %bb.224:
	s_or_b64 exec, exec, s[6:7]
.LBB59_225:
	s_or_b64 exec, exec, s[12:13]
	v_mov_b32_e32 v125, 0
	ds_read_b64 v[125:126], v125 offset:288
	s_waitcnt lgkmcnt(0)
	v_mul_f64 v[121:122], v[121:122], v[125:126]
	buffer_store_dword v122, off, s[0:3], 0 offset:292
	buffer_store_dword v121, off, s[0:3], 0 offset:288
.LBB59_226:
	s_or_b64 exec, exec, s[8:9]
	buffer_load_dword v121, off, s[0:3], 0 offset:280
	buffer_load_dword v122, off, s[0:3], 0 offset:284
	v_cmp_lt_u32_e64 s[6:7], 35, v0
	s_waitcnt vmcnt(0)
	ds_write_b64 v123, v[121:122]
	s_waitcnt lgkmcnt(0)
	; wave barrier
	s_and_saveexec_b64 s[8:9], s[6:7]
	s_cbranch_execz .LBB59_236
; %bb.227:
	s_andn2_b64 vcc, exec, s[10:11]
	s_cbranch_vccnz .LBB59_229
; %bb.228:
	buffer_load_dword v121, v124, s[0:3], 0 offen
	buffer_load_dword v122, v124, s[0:3], 0 offen offset:4
	ds_read_b64 v[125:126], v123
	s_waitcnt vmcnt(0) lgkmcnt(0)
	v_mul_f64 v[121:122], v[121:122], v[125:126]
	s_cbranch_execz .LBB59_230
	s_branch .LBB59_231
.LBB59_229:
                                        ; implicit-def: $vgpr121_vgpr122
.LBB59_230:
	ds_read_b64 v[121:122], v123
.LBB59_231:
	s_and_saveexec_b64 s[12:13], s[4:5]
	s_cbranch_execz .LBB59_235
; %bb.232:
	v_subrev_u32_e32 v125, 36, v0
	s_movk_i32 s51, 0x300
	s_mov_b64 s[4:5], 0
.LBB59_233:                             ; =>This Inner Loop Header: Depth=1
	v_mov_b32_e32 v127, s50
	buffer_load_dword v126, v127, s[0:3], 0 offen
	s_nop 0
	buffer_load_dword v127, v127, s[0:3], 0 offen offset:4
	v_mov_b32_e32 v128, s51
	ds_read_b64 v[128:129], v128
	v_add_u32_e32 v125, -1, v125
	s_add_i32 s51, s51, 8
	s_add_i32 s50, s50, 8
	v_cmp_eq_u32_e32 vcc, 0, v125
	s_or_b64 s[4:5], vcc, s[4:5]
	s_waitcnt vmcnt(0) lgkmcnt(0)
	v_fma_f64 v[121:122], v[126:127], v[128:129], v[121:122]
	s_andn2_b64 exec, exec, s[4:5]
	s_cbranch_execnz .LBB59_233
; %bb.234:
	s_or_b64 exec, exec, s[4:5]
.LBB59_235:
	s_or_b64 exec, exec, s[12:13]
	v_mov_b32_e32 v125, 0
	ds_read_b64 v[125:126], v125 offset:280
	s_waitcnt lgkmcnt(0)
	v_mul_f64 v[121:122], v[121:122], v[125:126]
	buffer_store_dword v122, off, s[0:3], 0 offset:284
	buffer_store_dword v121, off, s[0:3], 0 offset:280
.LBB59_236:
	s_or_b64 exec, exec, s[8:9]
	buffer_load_dword v121, off, s[0:3], 0 offset:272
	buffer_load_dword v122, off, s[0:3], 0 offset:276
	v_cmp_lt_u32_e64 s[4:5], 34, v0
	s_waitcnt vmcnt(0)
	ds_write_b64 v123, v[121:122]
	s_waitcnt lgkmcnt(0)
	; wave barrier
	s_and_saveexec_b64 s[8:9], s[4:5]
	s_cbranch_execz .LBB59_246
; %bb.237:
	s_andn2_b64 vcc, exec, s[10:11]
	s_cbranch_vccnz .LBB59_239
; %bb.238:
	buffer_load_dword v121, v124, s[0:3], 0 offen
	buffer_load_dword v122, v124, s[0:3], 0 offen offset:4
	ds_read_b64 v[125:126], v123
	s_waitcnt vmcnt(0) lgkmcnt(0)
	v_mul_f64 v[121:122], v[121:122], v[125:126]
	s_cbranch_execz .LBB59_240
	s_branch .LBB59_241
.LBB59_239:
                                        ; implicit-def: $vgpr121_vgpr122
.LBB59_240:
	ds_read_b64 v[121:122], v123
.LBB59_241:
	s_and_saveexec_b64 s[12:13], s[6:7]
	s_cbranch_execz .LBB59_245
; %bb.242:
	v_subrev_u32_e32 v125, 35, v0
	s_movk_i32 s50, 0x2f8
	s_mov_b64 s[6:7], 0
.LBB59_243:                             ; =>This Inner Loop Header: Depth=1
	v_mov_b32_e32 v127, s49
	buffer_load_dword v126, v127, s[0:3], 0 offen
	s_nop 0
	buffer_load_dword v127, v127, s[0:3], 0 offen offset:4
	v_mov_b32_e32 v128, s50
	ds_read_b64 v[128:129], v128
	v_add_u32_e32 v125, -1, v125
	s_add_i32 s50, s50, 8
	s_add_i32 s49, s49, 8
	v_cmp_eq_u32_e32 vcc, 0, v125
	s_or_b64 s[6:7], vcc, s[6:7]
	s_waitcnt vmcnt(0) lgkmcnt(0)
	v_fma_f64 v[121:122], v[126:127], v[128:129], v[121:122]
	s_andn2_b64 exec, exec, s[6:7]
	s_cbranch_execnz .LBB59_243
; %bb.244:
	s_or_b64 exec, exec, s[6:7]
.LBB59_245:
	s_or_b64 exec, exec, s[12:13]
	v_mov_b32_e32 v125, 0
	ds_read_b64 v[125:126], v125 offset:272
	s_waitcnt lgkmcnt(0)
	v_mul_f64 v[121:122], v[121:122], v[125:126]
	buffer_store_dword v122, off, s[0:3], 0 offset:276
	buffer_store_dword v121, off, s[0:3], 0 offset:272
.LBB59_246:
	s_or_b64 exec, exec, s[8:9]
	buffer_load_dword v121, off, s[0:3], 0 offset:264
	buffer_load_dword v122, off, s[0:3], 0 offset:268
	v_cmp_lt_u32_e64 s[6:7], 33, v0
	s_waitcnt vmcnt(0)
	ds_write_b64 v123, v[121:122]
	s_waitcnt lgkmcnt(0)
	; wave barrier
	s_and_saveexec_b64 s[8:9], s[6:7]
	s_cbranch_execz .LBB59_256
; %bb.247:
	s_andn2_b64 vcc, exec, s[10:11]
	s_cbranch_vccnz .LBB59_249
; %bb.248:
	buffer_load_dword v121, v124, s[0:3], 0 offen
	buffer_load_dword v122, v124, s[0:3], 0 offen offset:4
	ds_read_b64 v[125:126], v123
	s_waitcnt vmcnt(0) lgkmcnt(0)
	v_mul_f64 v[121:122], v[121:122], v[125:126]
	s_cbranch_execz .LBB59_250
	s_branch .LBB59_251
.LBB59_249:
                                        ; implicit-def: $vgpr121_vgpr122
.LBB59_250:
	ds_read_b64 v[121:122], v123
.LBB59_251:
	s_and_saveexec_b64 s[12:13], s[4:5]
	s_cbranch_execz .LBB59_255
; %bb.252:
	v_subrev_u32_e32 v125, 34, v0
	s_movk_i32 s49, 0x2f0
	s_mov_b64 s[4:5], 0
.LBB59_253:                             ; =>This Inner Loop Header: Depth=1
	v_mov_b32_e32 v127, s48
	buffer_load_dword v126, v127, s[0:3], 0 offen
	s_nop 0
	buffer_load_dword v127, v127, s[0:3], 0 offen offset:4
	v_mov_b32_e32 v128, s49
	ds_read_b64 v[128:129], v128
	v_add_u32_e32 v125, -1, v125
	s_add_i32 s49, s49, 8
	s_add_i32 s48, s48, 8
	v_cmp_eq_u32_e32 vcc, 0, v125
	s_or_b64 s[4:5], vcc, s[4:5]
	s_waitcnt vmcnt(0) lgkmcnt(0)
	v_fma_f64 v[121:122], v[126:127], v[128:129], v[121:122]
	s_andn2_b64 exec, exec, s[4:5]
	s_cbranch_execnz .LBB59_253
; %bb.254:
	s_or_b64 exec, exec, s[4:5]
.LBB59_255:
	s_or_b64 exec, exec, s[12:13]
	v_mov_b32_e32 v125, 0
	ds_read_b64 v[125:126], v125 offset:264
	s_waitcnt lgkmcnt(0)
	v_mul_f64 v[121:122], v[121:122], v[125:126]
	buffer_store_dword v122, off, s[0:3], 0 offset:268
	buffer_store_dword v121, off, s[0:3], 0 offset:264
.LBB59_256:
	s_or_b64 exec, exec, s[8:9]
	buffer_load_dword v121, off, s[0:3], 0 offset:256
	buffer_load_dword v122, off, s[0:3], 0 offset:260
	v_cmp_lt_u32_e64 s[4:5], 32, v0
	s_waitcnt vmcnt(0)
	ds_write_b64 v123, v[121:122]
	s_waitcnt lgkmcnt(0)
	; wave barrier
	s_and_saveexec_b64 s[8:9], s[4:5]
	s_cbranch_execz .LBB59_266
; %bb.257:
	s_andn2_b64 vcc, exec, s[10:11]
	s_cbranch_vccnz .LBB59_259
; %bb.258:
	buffer_load_dword v121, v124, s[0:3], 0 offen
	buffer_load_dword v122, v124, s[0:3], 0 offen offset:4
	ds_read_b64 v[125:126], v123
	s_waitcnt vmcnt(0) lgkmcnt(0)
	v_mul_f64 v[121:122], v[121:122], v[125:126]
	s_cbranch_execz .LBB59_260
	s_branch .LBB59_261
.LBB59_259:
                                        ; implicit-def: $vgpr121_vgpr122
.LBB59_260:
	ds_read_b64 v[121:122], v123
.LBB59_261:
	s_and_saveexec_b64 s[12:13], s[6:7]
	s_cbranch_execz .LBB59_265
; %bb.262:
	v_subrev_u32_e32 v125, 33, v0
	s_movk_i32 s48, 0x2e8
	s_mov_b64 s[6:7], 0
.LBB59_263:                             ; =>This Inner Loop Header: Depth=1
	v_mov_b32_e32 v127, s47
	buffer_load_dword v126, v127, s[0:3], 0 offen
	s_nop 0
	buffer_load_dword v127, v127, s[0:3], 0 offen offset:4
	v_mov_b32_e32 v128, s48
	ds_read_b64 v[128:129], v128
	v_add_u32_e32 v125, -1, v125
	s_add_i32 s48, s48, 8
	s_add_i32 s47, s47, 8
	v_cmp_eq_u32_e32 vcc, 0, v125
	s_or_b64 s[6:7], vcc, s[6:7]
	s_waitcnt vmcnt(0) lgkmcnt(0)
	v_fma_f64 v[121:122], v[126:127], v[128:129], v[121:122]
	s_andn2_b64 exec, exec, s[6:7]
	s_cbranch_execnz .LBB59_263
; %bb.264:
	s_or_b64 exec, exec, s[6:7]
.LBB59_265:
	s_or_b64 exec, exec, s[12:13]
	v_mov_b32_e32 v125, 0
	ds_read_b64 v[125:126], v125 offset:256
	s_waitcnt lgkmcnt(0)
	v_mul_f64 v[121:122], v[121:122], v[125:126]
	buffer_store_dword v122, off, s[0:3], 0 offset:260
	buffer_store_dword v121, off, s[0:3], 0 offset:256
.LBB59_266:
	s_or_b64 exec, exec, s[8:9]
	buffer_load_dword v121, off, s[0:3], 0 offset:248
	buffer_load_dword v122, off, s[0:3], 0 offset:252
	v_cmp_lt_u32_e64 s[6:7], 31, v0
	s_waitcnt vmcnt(0)
	ds_write_b64 v123, v[121:122]
	s_waitcnt lgkmcnt(0)
	; wave barrier
	s_and_saveexec_b64 s[8:9], s[6:7]
	s_cbranch_execz .LBB59_276
; %bb.267:
	s_andn2_b64 vcc, exec, s[10:11]
	s_cbranch_vccnz .LBB59_269
; %bb.268:
	buffer_load_dword v121, v124, s[0:3], 0 offen
	buffer_load_dword v122, v124, s[0:3], 0 offen offset:4
	ds_read_b64 v[125:126], v123
	s_waitcnt vmcnt(0) lgkmcnt(0)
	v_mul_f64 v[121:122], v[121:122], v[125:126]
	s_cbranch_execz .LBB59_270
	s_branch .LBB59_271
.LBB59_269:
                                        ; implicit-def: $vgpr121_vgpr122
.LBB59_270:
	ds_read_b64 v[121:122], v123
.LBB59_271:
	s_and_saveexec_b64 s[12:13], s[4:5]
	s_cbranch_execz .LBB59_275
; %bb.272:
	v_subrev_u32_e32 v125, 32, v0
	s_movk_i32 s47, 0x2e0
	s_mov_b64 s[4:5], 0
.LBB59_273:                             ; =>This Inner Loop Header: Depth=1
	v_mov_b32_e32 v127, s46
	buffer_load_dword v126, v127, s[0:3], 0 offen
	s_nop 0
	buffer_load_dword v127, v127, s[0:3], 0 offen offset:4
	v_mov_b32_e32 v128, s47
	ds_read_b64 v[128:129], v128
	v_add_u32_e32 v125, -1, v125
	s_add_i32 s47, s47, 8
	s_add_i32 s46, s46, 8
	v_cmp_eq_u32_e32 vcc, 0, v125
	s_or_b64 s[4:5], vcc, s[4:5]
	s_waitcnt vmcnt(0) lgkmcnt(0)
	v_fma_f64 v[121:122], v[126:127], v[128:129], v[121:122]
	s_andn2_b64 exec, exec, s[4:5]
	s_cbranch_execnz .LBB59_273
; %bb.274:
	s_or_b64 exec, exec, s[4:5]
.LBB59_275:
	s_or_b64 exec, exec, s[12:13]
	v_mov_b32_e32 v125, 0
	ds_read_b64 v[125:126], v125 offset:248
	s_waitcnt lgkmcnt(0)
	v_mul_f64 v[121:122], v[121:122], v[125:126]
	buffer_store_dword v122, off, s[0:3], 0 offset:252
	buffer_store_dword v121, off, s[0:3], 0 offset:248
.LBB59_276:
	s_or_b64 exec, exec, s[8:9]
	buffer_load_dword v121, off, s[0:3], 0 offset:240
	buffer_load_dword v122, off, s[0:3], 0 offset:244
	v_cmp_lt_u32_e64 s[4:5], 30, v0
	s_waitcnt vmcnt(0)
	ds_write_b64 v123, v[121:122]
	s_waitcnt lgkmcnt(0)
	; wave barrier
	s_and_saveexec_b64 s[8:9], s[4:5]
	s_cbranch_execz .LBB59_286
; %bb.277:
	s_andn2_b64 vcc, exec, s[10:11]
	s_cbranch_vccnz .LBB59_279
; %bb.278:
	buffer_load_dword v121, v124, s[0:3], 0 offen
	buffer_load_dword v122, v124, s[0:3], 0 offen offset:4
	ds_read_b64 v[125:126], v123
	s_waitcnt vmcnt(0) lgkmcnt(0)
	v_mul_f64 v[121:122], v[121:122], v[125:126]
	s_cbranch_execz .LBB59_280
	s_branch .LBB59_281
.LBB59_279:
                                        ; implicit-def: $vgpr121_vgpr122
.LBB59_280:
	ds_read_b64 v[121:122], v123
.LBB59_281:
	s_and_saveexec_b64 s[12:13], s[6:7]
	s_cbranch_execz .LBB59_285
; %bb.282:
	v_subrev_u32_e32 v125, 31, v0
	s_movk_i32 s46, 0x2d8
	s_mov_b64 s[6:7], 0
.LBB59_283:                             ; =>This Inner Loop Header: Depth=1
	v_mov_b32_e32 v127, s45
	buffer_load_dword v126, v127, s[0:3], 0 offen
	s_nop 0
	buffer_load_dword v127, v127, s[0:3], 0 offen offset:4
	v_mov_b32_e32 v128, s46
	ds_read_b64 v[128:129], v128
	v_add_u32_e32 v125, -1, v125
	s_add_i32 s46, s46, 8
	s_add_i32 s45, s45, 8
	v_cmp_eq_u32_e32 vcc, 0, v125
	s_or_b64 s[6:7], vcc, s[6:7]
	s_waitcnt vmcnt(0) lgkmcnt(0)
	v_fma_f64 v[121:122], v[126:127], v[128:129], v[121:122]
	s_andn2_b64 exec, exec, s[6:7]
	s_cbranch_execnz .LBB59_283
; %bb.284:
	s_or_b64 exec, exec, s[6:7]
.LBB59_285:
	s_or_b64 exec, exec, s[12:13]
	v_mov_b32_e32 v125, 0
	ds_read_b64 v[125:126], v125 offset:240
	s_waitcnt lgkmcnt(0)
	v_mul_f64 v[121:122], v[121:122], v[125:126]
	buffer_store_dword v122, off, s[0:3], 0 offset:244
	buffer_store_dword v121, off, s[0:3], 0 offset:240
.LBB59_286:
	s_or_b64 exec, exec, s[8:9]
	buffer_load_dword v121, off, s[0:3], 0 offset:232
	buffer_load_dword v122, off, s[0:3], 0 offset:236
	v_cmp_lt_u32_e64 s[6:7], 29, v0
	s_waitcnt vmcnt(0)
	ds_write_b64 v123, v[121:122]
	s_waitcnt lgkmcnt(0)
	; wave barrier
	s_and_saveexec_b64 s[8:9], s[6:7]
	s_cbranch_execz .LBB59_296
; %bb.287:
	s_andn2_b64 vcc, exec, s[10:11]
	s_cbranch_vccnz .LBB59_289
; %bb.288:
	buffer_load_dword v121, v124, s[0:3], 0 offen
	buffer_load_dword v122, v124, s[0:3], 0 offen offset:4
	ds_read_b64 v[125:126], v123
	s_waitcnt vmcnt(0) lgkmcnt(0)
	v_mul_f64 v[121:122], v[121:122], v[125:126]
	s_cbranch_execz .LBB59_290
	s_branch .LBB59_291
.LBB59_289:
                                        ; implicit-def: $vgpr121_vgpr122
.LBB59_290:
	ds_read_b64 v[121:122], v123
.LBB59_291:
	s_and_saveexec_b64 s[12:13], s[4:5]
	s_cbranch_execz .LBB59_295
; %bb.292:
	v_subrev_u32_e32 v125, 30, v0
	s_movk_i32 s45, 0x2d0
	s_mov_b64 s[4:5], 0
.LBB59_293:                             ; =>This Inner Loop Header: Depth=1
	v_mov_b32_e32 v127, s44
	buffer_load_dword v126, v127, s[0:3], 0 offen
	s_nop 0
	buffer_load_dword v127, v127, s[0:3], 0 offen offset:4
	v_mov_b32_e32 v128, s45
	ds_read_b64 v[128:129], v128
	v_add_u32_e32 v125, -1, v125
	s_add_i32 s45, s45, 8
	s_add_i32 s44, s44, 8
	v_cmp_eq_u32_e32 vcc, 0, v125
	s_or_b64 s[4:5], vcc, s[4:5]
	s_waitcnt vmcnt(0) lgkmcnt(0)
	v_fma_f64 v[121:122], v[126:127], v[128:129], v[121:122]
	s_andn2_b64 exec, exec, s[4:5]
	s_cbranch_execnz .LBB59_293
; %bb.294:
	s_or_b64 exec, exec, s[4:5]
.LBB59_295:
	s_or_b64 exec, exec, s[12:13]
	v_mov_b32_e32 v125, 0
	ds_read_b64 v[125:126], v125 offset:232
	s_waitcnt lgkmcnt(0)
	v_mul_f64 v[121:122], v[121:122], v[125:126]
	buffer_store_dword v122, off, s[0:3], 0 offset:236
	buffer_store_dword v121, off, s[0:3], 0 offset:232
.LBB59_296:
	s_or_b64 exec, exec, s[8:9]
	buffer_load_dword v121, off, s[0:3], 0 offset:224
	buffer_load_dword v122, off, s[0:3], 0 offset:228
	v_cmp_lt_u32_e64 s[4:5], 28, v0
	s_waitcnt vmcnt(0)
	ds_write_b64 v123, v[121:122]
	s_waitcnt lgkmcnt(0)
	; wave barrier
	s_and_saveexec_b64 s[8:9], s[4:5]
	s_cbranch_execz .LBB59_306
; %bb.297:
	s_andn2_b64 vcc, exec, s[10:11]
	s_cbranch_vccnz .LBB59_299
; %bb.298:
	buffer_load_dword v121, v124, s[0:3], 0 offen
	buffer_load_dword v122, v124, s[0:3], 0 offen offset:4
	ds_read_b64 v[125:126], v123
	s_waitcnt vmcnt(0) lgkmcnt(0)
	v_mul_f64 v[121:122], v[121:122], v[125:126]
	s_cbranch_execz .LBB59_300
	s_branch .LBB59_301
.LBB59_299:
                                        ; implicit-def: $vgpr121_vgpr122
.LBB59_300:
	ds_read_b64 v[121:122], v123
.LBB59_301:
	s_and_saveexec_b64 s[12:13], s[6:7]
	s_cbranch_execz .LBB59_305
; %bb.302:
	v_subrev_u32_e32 v125, 29, v0
	s_movk_i32 s44, 0x2c8
	s_mov_b64 s[6:7], 0
.LBB59_303:                             ; =>This Inner Loop Header: Depth=1
	v_mov_b32_e32 v127, s43
	buffer_load_dword v126, v127, s[0:3], 0 offen
	s_nop 0
	buffer_load_dword v127, v127, s[0:3], 0 offen offset:4
	v_mov_b32_e32 v128, s44
	ds_read_b64 v[128:129], v128
	v_add_u32_e32 v125, -1, v125
	s_add_i32 s44, s44, 8
	s_add_i32 s43, s43, 8
	v_cmp_eq_u32_e32 vcc, 0, v125
	s_or_b64 s[6:7], vcc, s[6:7]
	s_waitcnt vmcnt(0) lgkmcnt(0)
	v_fma_f64 v[121:122], v[126:127], v[128:129], v[121:122]
	s_andn2_b64 exec, exec, s[6:7]
	s_cbranch_execnz .LBB59_303
; %bb.304:
	s_or_b64 exec, exec, s[6:7]
.LBB59_305:
	s_or_b64 exec, exec, s[12:13]
	v_mov_b32_e32 v125, 0
	ds_read_b64 v[125:126], v125 offset:224
	s_waitcnt lgkmcnt(0)
	v_mul_f64 v[121:122], v[121:122], v[125:126]
	buffer_store_dword v122, off, s[0:3], 0 offset:228
	buffer_store_dword v121, off, s[0:3], 0 offset:224
.LBB59_306:
	s_or_b64 exec, exec, s[8:9]
	buffer_load_dword v121, off, s[0:3], 0 offset:216
	buffer_load_dword v122, off, s[0:3], 0 offset:220
	v_cmp_lt_u32_e64 s[6:7], 27, v0
	s_waitcnt vmcnt(0)
	ds_write_b64 v123, v[121:122]
	s_waitcnt lgkmcnt(0)
	; wave barrier
	s_and_saveexec_b64 s[8:9], s[6:7]
	s_cbranch_execz .LBB59_316
; %bb.307:
	s_andn2_b64 vcc, exec, s[10:11]
	s_cbranch_vccnz .LBB59_309
; %bb.308:
	buffer_load_dword v121, v124, s[0:3], 0 offen
	buffer_load_dword v122, v124, s[0:3], 0 offen offset:4
	ds_read_b64 v[125:126], v123
	s_waitcnt vmcnt(0) lgkmcnt(0)
	v_mul_f64 v[121:122], v[121:122], v[125:126]
	s_cbranch_execz .LBB59_310
	s_branch .LBB59_311
.LBB59_309:
                                        ; implicit-def: $vgpr121_vgpr122
.LBB59_310:
	ds_read_b64 v[121:122], v123
.LBB59_311:
	s_and_saveexec_b64 s[12:13], s[4:5]
	s_cbranch_execz .LBB59_315
; %bb.312:
	v_subrev_u32_e32 v125, 28, v0
	s_movk_i32 s43, 0x2c0
	s_mov_b64 s[4:5], 0
.LBB59_313:                             ; =>This Inner Loop Header: Depth=1
	v_mov_b32_e32 v127, s42
	buffer_load_dword v126, v127, s[0:3], 0 offen
	s_nop 0
	buffer_load_dword v127, v127, s[0:3], 0 offen offset:4
	v_mov_b32_e32 v128, s43
	ds_read_b64 v[128:129], v128
	v_add_u32_e32 v125, -1, v125
	s_add_i32 s43, s43, 8
	s_add_i32 s42, s42, 8
	v_cmp_eq_u32_e32 vcc, 0, v125
	s_or_b64 s[4:5], vcc, s[4:5]
	s_waitcnt vmcnt(0) lgkmcnt(0)
	v_fma_f64 v[121:122], v[126:127], v[128:129], v[121:122]
	s_andn2_b64 exec, exec, s[4:5]
	s_cbranch_execnz .LBB59_313
; %bb.314:
	s_or_b64 exec, exec, s[4:5]
.LBB59_315:
	s_or_b64 exec, exec, s[12:13]
	v_mov_b32_e32 v125, 0
	ds_read_b64 v[125:126], v125 offset:216
	s_waitcnt lgkmcnt(0)
	v_mul_f64 v[121:122], v[121:122], v[125:126]
	buffer_store_dword v122, off, s[0:3], 0 offset:220
	buffer_store_dword v121, off, s[0:3], 0 offset:216
.LBB59_316:
	s_or_b64 exec, exec, s[8:9]
	buffer_load_dword v121, off, s[0:3], 0 offset:208
	buffer_load_dword v122, off, s[0:3], 0 offset:212
	v_cmp_lt_u32_e64 s[4:5], 26, v0
	s_waitcnt vmcnt(0)
	ds_write_b64 v123, v[121:122]
	s_waitcnt lgkmcnt(0)
	; wave barrier
	s_and_saveexec_b64 s[8:9], s[4:5]
	s_cbranch_execz .LBB59_326
; %bb.317:
	s_andn2_b64 vcc, exec, s[10:11]
	s_cbranch_vccnz .LBB59_319
; %bb.318:
	buffer_load_dword v121, v124, s[0:3], 0 offen
	buffer_load_dword v122, v124, s[0:3], 0 offen offset:4
	ds_read_b64 v[125:126], v123
	s_waitcnt vmcnt(0) lgkmcnt(0)
	v_mul_f64 v[121:122], v[121:122], v[125:126]
	s_cbranch_execz .LBB59_320
	s_branch .LBB59_321
.LBB59_319:
                                        ; implicit-def: $vgpr121_vgpr122
.LBB59_320:
	ds_read_b64 v[121:122], v123
.LBB59_321:
	s_and_saveexec_b64 s[12:13], s[6:7]
	s_cbranch_execz .LBB59_325
; %bb.322:
	v_subrev_u32_e32 v125, 27, v0
	s_movk_i32 s42, 0x2b8
	s_mov_b64 s[6:7], 0
.LBB59_323:                             ; =>This Inner Loop Header: Depth=1
	v_mov_b32_e32 v127, s41
	buffer_load_dword v126, v127, s[0:3], 0 offen
	s_nop 0
	buffer_load_dword v127, v127, s[0:3], 0 offen offset:4
	v_mov_b32_e32 v128, s42
	ds_read_b64 v[128:129], v128
	v_add_u32_e32 v125, -1, v125
	s_add_i32 s42, s42, 8
	s_add_i32 s41, s41, 8
	v_cmp_eq_u32_e32 vcc, 0, v125
	s_or_b64 s[6:7], vcc, s[6:7]
	s_waitcnt vmcnt(0) lgkmcnt(0)
	v_fma_f64 v[121:122], v[126:127], v[128:129], v[121:122]
	s_andn2_b64 exec, exec, s[6:7]
	s_cbranch_execnz .LBB59_323
; %bb.324:
	s_or_b64 exec, exec, s[6:7]
.LBB59_325:
	s_or_b64 exec, exec, s[12:13]
	v_mov_b32_e32 v125, 0
	ds_read_b64 v[125:126], v125 offset:208
	s_waitcnt lgkmcnt(0)
	v_mul_f64 v[121:122], v[121:122], v[125:126]
	buffer_store_dword v122, off, s[0:3], 0 offset:212
	buffer_store_dword v121, off, s[0:3], 0 offset:208
.LBB59_326:
	s_or_b64 exec, exec, s[8:9]
	buffer_load_dword v121, off, s[0:3], 0 offset:200
	buffer_load_dword v122, off, s[0:3], 0 offset:204
	v_cmp_lt_u32_e64 s[6:7], 25, v0
	s_waitcnt vmcnt(0)
	ds_write_b64 v123, v[121:122]
	s_waitcnt lgkmcnt(0)
	; wave barrier
	s_and_saveexec_b64 s[8:9], s[6:7]
	s_cbranch_execz .LBB59_336
; %bb.327:
	s_andn2_b64 vcc, exec, s[10:11]
	s_cbranch_vccnz .LBB59_329
; %bb.328:
	buffer_load_dword v121, v124, s[0:3], 0 offen
	buffer_load_dword v122, v124, s[0:3], 0 offen offset:4
	ds_read_b64 v[125:126], v123
	s_waitcnt vmcnt(0) lgkmcnt(0)
	v_mul_f64 v[121:122], v[121:122], v[125:126]
	s_cbranch_execz .LBB59_330
	s_branch .LBB59_331
.LBB59_329:
                                        ; implicit-def: $vgpr121_vgpr122
.LBB59_330:
	ds_read_b64 v[121:122], v123
.LBB59_331:
	s_and_saveexec_b64 s[12:13], s[4:5]
	s_cbranch_execz .LBB59_335
; %bb.332:
	v_subrev_u32_e32 v125, 26, v0
	s_movk_i32 s41, 0x2b0
	s_mov_b64 s[4:5], 0
.LBB59_333:                             ; =>This Inner Loop Header: Depth=1
	v_mov_b32_e32 v127, s40
	buffer_load_dword v126, v127, s[0:3], 0 offen
	s_nop 0
	buffer_load_dword v127, v127, s[0:3], 0 offen offset:4
	v_mov_b32_e32 v128, s41
	ds_read_b64 v[128:129], v128
	v_add_u32_e32 v125, -1, v125
	s_add_i32 s41, s41, 8
	s_add_i32 s40, s40, 8
	v_cmp_eq_u32_e32 vcc, 0, v125
	s_or_b64 s[4:5], vcc, s[4:5]
	s_waitcnt vmcnt(0) lgkmcnt(0)
	v_fma_f64 v[121:122], v[126:127], v[128:129], v[121:122]
	s_andn2_b64 exec, exec, s[4:5]
	s_cbranch_execnz .LBB59_333
; %bb.334:
	s_or_b64 exec, exec, s[4:5]
.LBB59_335:
	s_or_b64 exec, exec, s[12:13]
	v_mov_b32_e32 v125, 0
	ds_read_b64 v[125:126], v125 offset:200
	s_waitcnt lgkmcnt(0)
	v_mul_f64 v[121:122], v[121:122], v[125:126]
	buffer_store_dword v122, off, s[0:3], 0 offset:204
	buffer_store_dword v121, off, s[0:3], 0 offset:200
.LBB59_336:
	s_or_b64 exec, exec, s[8:9]
	buffer_load_dword v121, off, s[0:3], 0 offset:192
	buffer_load_dword v122, off, s[0:3], 0 offset:196
	v_cmp_lt_u32_e64 s[4:5], 24, v0
	s_waitcnt vmcnt(0)
	ds_write_b64 v123, v[121:122]
	s_waitcnt lgkmcnt(0)
	; wave barrier
	s_and_saveexec_b64 s[8:9], s[4:5]
	s_cbranch_execz .LBB59_346
; %bb.337:
	s_andn2_b64 vcc, exec, s[10:11]
	s_cbranch_vccnz .LBB59_339
; %bb.338:
	buffer_load_dword v121, v124, s[0:3], 0 offen
	buffer_load_dword v122, v124, s[0:3], 0 offen offset:4
	ds_read_b64 v[125:126], v123
	s_waitcnt vmcnt(0) lgkmcnt(0)
	v_mul_f64 v[121:122], v[121:122], v[125:126]
	s_cbranch_execz .LBB59_340
	s_branch .LBB59_341
.LBB59_339:
                                        ; implicit-def: $vgpr121_vgpr122
.LBB59_340:
	ds_read_b64 v[121:122], v123
.LBB59_341:
	s_and_saveexec_b64 s[12:13], s[6:7]
	s_cbranch_execz .LBB59_345
; %bb.342:
	v_subrev_u32_e32 v125, 25, v0
	s_movk_i32 s40, 0x2a8
	s_mov_b64 s[6:7], 0
.LBB59_343:                             ; =>This Inner Loop Header: Depth=1
	v_mov_b32_e32 v127, s39
	buffer_load_dword v126, v127, s[0:3], 0 offen
	s_nop 0
	buffer_load_dword v127, v127, s[0:3], 0 offen offset:4
	v_mov_b32_e32 v128, s40
	ds_read_b64 v[128:129], v128
	v_add_u32_e32 v125, -1, v125
	s_add_i32 s40, s40, 8
	s_add_i32 s39, s39, 8
	v_cmp_eq_u32_e32 vcc, 0, v125
	s_or_b64 s[6:7], vcc, s[6:7]
	s_waitcnt vmcnt(0) lgkmcnt(0)
	v_fma_f64 v[121:122], v[126:127], v[128:129], v[121:122]
	s_andn2_b64 exec, exec, s[6:7]
	s_cbranch_execnz .LBB59_343
; %bb.344:
	s_or_b64 exec, exec, s[6:7]
.LBB59_345:
	s_or_b64 exec, exec, s[12:13]
	v_mov_b32_e32 v125, 0
	ds_read_b64 v[125:126], v125 offset:192
	s_waitcnt lgkmcnt(0)
	v_mul_f64 v[121:122], v[121:122], v[125:126]
	buffer_store_dword v122, off, s[0:3], 0 offset:196
	buffer_store_dword v121, off, s[0:3], 0 offset:192
.LBB59_346:
	s_or_b64 exec, exec, s[8:9]
	buffer_load_dword v121, off, s[0:3], 0 offset:184
	buffer_load_dword v122, off, s[0:3], 0 offset:188
	v_cmp_lt_u32_e64 s[6:7], 23, v0
	s_waitcnt vmcnt(0)
	ds_write_b64 v123, v[121:122]
	s_waitcnt lgkmcnt(0)
	; wave barrier
	s_and_saveexec_b64 s[8:9], s[6:7]
	s_cbranch_execz .LBB59_356
; %bb.347:
	s_andn2_b64 vcc, exec, s[10:11]
	s_cbranch_vccnz .LBB59_349
; %bb.348:
	buffer_load_dword v121, v124, s[0:3], 0 offen
	buffer_load_dword v122, v124, s[0:3], 0 offen offset:4
	ds_read_b64 v[125:126], v123
	s_waitcnt vmcnt(0) lgkmcnt(0)
	v_mul_f64 v[121:122], v[121:122], v[125:126]
	s_cbranch_execz .LBB59_350
	s_branch .LBB59_351
.LBB59_349:
                                        ; implicit-def: $vgpr121_vgpr122
.LBB59_350:
	ds_read_b64 v[121:122], v123
.LBB59_351:
	s_and_saveexec_b64 s[12:13], s[4:5]
	s_cbranch_execz .LBB59_355
; %bb.352:
	v_subrev_u32_e32 v125, 24, v0
	s_movk_i32 s39, 0x2a0
	s_mov_b64 s[4:5], 0
.LBB59_353:                             ; =>This Inner Loop Header: Depth=1
	v_mov_b32_e32 v127, s38
	buffer_load_dword v126, v127, s[0:3], 0 offen
	s_nop 0
	buffer_load_dword v127, v127, s[0:3], 0 offen offset:4
	v_mov_b32_e32 v128, s39
	ds_read_b64 v[128:129], v128
	v_add_u32_e32 v125, -1, v125
	s_add_i32 s39, s39, 8
	s_add_i32 s38, s38, 8
	v_cmp_eq_u32_e32 vcc, 0, v125
	s_or_b64 s[4:5], vcc, s[4:5]
	s_waitcnt vmcnt(0) lgkmcnt(0)
	v_fma_f64 v[121:122], v[126:127], v[128:129], v[121:122]
	s_andn2_b64 exec, exec, s[4:5]
	s_cbranch_execnz .LBB59_353
; %bb.354:
	s_or_b64 exec, exec, s[4:5]
.LBB59_355:
	s_or_b64 exec, exec, s[12:13]
	v_mov_b32_e32 v125, 0
	ds_read_b64 v[125:126], v125 offset:184
	s_waitcnt lgkmcnt(0)
	v_mul_f64 v[121:122], v[121:122], v[125:126]
	buffer_store_dword v122, off, s[0:3], 0 offset:188
	buffer_store_dword v121, off, s[0:3], 0 offset:184
.LBB59_356:
	s_or_b64 exec, exec, s[8:9]
	buffer_load_dword v121, off, s[0:3], 0 offset:176
	buffer_load_dword v122, off, s[0:3], 0 offset:180
	v_cmp_lt_u32_e64 s[4:5], 22, v0
	s_waitcnt vmcnt(0)
	ds_write_b64 v123, v[121:122]
	s_waitcnt lgkmcnt(0)
	; wave barrier
	s_and_saveexec_b64 s[8:9], s[4:5]
	s_cbranch_execz .LBB59_366
; %bb.357:
	s_andn2_b64 vcc, exec, s[10:11]
	s_cbranch_vccnz .LBB59_359
; %bb.358:
	buffer_load_dword v121, v124, s[0:3], 0 offen
	buffer_load_dword v122, v124, s[0:3], 0 offen offset:4
	ds_read_b64 v[125:126], v123
	s_waitcnt vmcnt(0) lgkmcnt(0)
	v_mul_f64 v[121:122], v[121:122], v[125:126]
	s_cbranch_execz .LBB59_360
	s_branch .LBB59_361
.LBB59_359:
                                        ; implicit-def: $vgpr121_vgpr122
.LBB59_360:
	ds_read_b64 v[121:122], v123
.LBB59_361:
	s_and_saveexec_b64 s[12:13], s[6:7]
	s_cbranch_execz .LBB59_365
; %bb.362:
	v_subrev_u32_e32 v125, 23, v0
	s_movk_i32 s38, 0x298
	s_mov_b64 s[6:7], 0
.LBB59_363:                             ; =>This Inner Loop Header: Depth=1
	v_mov_b32_e32 v127, s37
	buffer_load_dword v126, v127, s[0:3], 0 offen
	s_nop 0
	buffer_load_dword v127, v127, s[0:3], 0 offen offset:4
	v_mov_b32_e32 v128, s38
	ds_read_b64 v[128:129], v128
	v_add_u32_e32 v125, -1, v125
	s_add_i32 s38, s38, 8
	s_add_i32 s37, s37, 8
	v_cmp_eq_u32_e32 vcc, 0, v125
	s_or_b64 s[6:7], vcc, s[6:7]
	s_waitcnt vmcnt(0) lgkmcnt(0)
	v_fma_f64 v[121:122], v[126:127], v[128:129], v[121:122]
	s_andn2_b64 exec, exec, s[6:7]
	s_cbranch_execnz .LBB59_363
; %bb.364:
	s_or_b64 exec, exec, s[6:7]
.LBB59_365:
	s_or_b64 exec, exec, s[12:13]
	v_mov_b32_e32 v125, 0
	ds_read_b64 v[125:126], v125 offset:176
	s_waitcnt lgkmcnt(0)
	v_mul_f64 v[121:122], v[121:122], v[125:126]
	buffer_store_dword v122, off, s[0:3], 0 offset:180
	buffer_store_dword v121, off, s[0:3], 0 offset:176
.LBB59_366:
	s_or_b64 exec, exec, s[8:9]
	buffer_load_dword v121, off, s[0:3], 0 offset:168
	buffer_load_dword v122, off, s[0:3], 0 offset:172
	v_cmp_lt_u32_e64 s[6:7], 21, v0
	s_waitcnt vmcnt(0)
	ds_write_b64 v123, v[121:122]
	s_waitcnt lgkmcnt(0)
	; wave barrier
	s_and_saveexec_b64 s[8:9], s[6:7]
	s_cbranch_execz .LBB59_376
; %bb.367:
	s_andn2_b64 vcc, exec, s[10:11]
	s_cbranch_vccnz .LBB59_369
; %bb.368:
	buffer_load_dword v121, v124, s[0:3], 0 offen
	buffer_load_dword v122, v124, s[0:3], 0 offen offset:4
	ds_read_b64 v[125:126], v123
	s_waitcnt vmcnt(0) lgkmcnt(0)
	v_mul_f64 v[121:122], v[121:122], v[125:126]
	s_cbranch_execz .LBB59_370
	s_branch .LBB59_371
.LBB59_369:
                                        ; implicit-def: $vgpr121_vgpr122
.LBB59_370:
	ds_read_b64 v[121:122], v123
.LBB59_371:
	s_and_saveexec_b64 s[12:13], s[4:5]
	s_cbranch_execz .LBB59_375
; %bb.372:
	v_subrev_u32_e32 v125, 22, v0
	s_movk_i32 s37, 0x290
	s_mov_b64 s[4:5], 0
.LBB59_373:                             ; =>This Inner Loop Header: Depth=1
	v_mov_b32_e32 v127, s36
	buffer_load_dword v126, v127, s[0:3], 0 offen
	s_nop 0
	buffer_load_dword v127, v127, s[0:3], 0 offen offset:4
	v_mov_b32_e32 v128, s37
	ds_read_b64 v[128:129], v128
	v_add_u32_e32 v125, -1, v125
	s_add_i32 s37, s37, 8
	s_add_i32 s36, s36, 8
	v_cmp_eq_u32_e32 vcc, 0, v125
	s_or_b64 s[4:5], vcc, s[4:5]
	s_waitcnt vmcnt(0) lgkmcnt(0)
	v_fma_f64 v[121:122], v[126:127], v[128:129], v[121:122]
	s_andn2_b64 exec, exec, s[4:5]
	s_cbranch_execnz .LBB59_373
; %bb.374:
	s_or_b64 exec, exec, s[4:5]
.LBB59_375:
	s_or_b64 exec, exec, s[12:13]
	v_mov_b32_e32 v125, 0
	ds_read_b64 v[125:126], v125 offset:168
	s_waitcnt lgkmcnt(0)
	v_mul_f64 v[121:122], v[121:122], v[125:126]
	buffer_store_dword v122, off, s[0:3], 0 offset:172
	buffer_store_dword v121, off, s[0:3], 0 offset:168
.LBB59_376:
	s_or_b64 exec, exec, s[8:9]
	buffer_load_dword v121, off, s[0:3], 0 offset:160
	buffer_load_dword v122, off, s[0:3], 0 offset:164
	v_cmp_lt_u32_e64 s[4:5], 20, v0
	s_waitcnt vmcnt(0)
	ds_write_b64 v123, v[121:122]
	s_waitcnt lgkmcnt(0)
	; wave barrier
	s_and_saveexec_b64 s[8:9], s[4:5]
	s_cbranch_execz .LBB59_386
; %bb.377:
	s_andn2_b64 vcc, exec, s[10:11]
	s_cbranch_vccnz .LBB59_379
; %bb.378:
	buffer_load_dword v121, v124, s[0:3], 0 offen
	buffer_load_dword v122, v124, s[0:3], 0 offen offset:4
	ds_read_b64 v[125:126], v123
	s_waitcnt vmcnt(0) lgkmcnt(0)
	v_mul_f64 v[121:122], v[121:122], v[125:126]
	s_cbranch_execz .LBB59_380
	s_branch .LBB59_381
.LBB59_379:
                                        ; implicit-def: $vgpr121_vgpr122
.LBB59_380:
	ds_read_b64 v[121:122], v123
.LBB59_381:
	s_and_saveexec_b64 s[12:13], s[6:7]
	s_cbranch_execz .LBB59_385
; %bb.382:
	v_subrev_u32_e32 v125, 21, v0
	s_movk_i32 s36, 0x288
	s_mov_b64 s[6:7], 0
.LBB59_383:                             ; =>This Inner Loop Header: Depth=1
	v_mov_b32_e32 v127, s35
	buffer_load_dword v126, v127, s[0:3], 0 offen
	s_nop 0
	buffer_load_dword v127, v127, s[0:3], 0 offen offset:4
	v_mov_b32_e32 v128, s36
	ds_read_b64 v[128:129], v128
	v_add_u32_e32 v125, -1, v125
	s_add_i32 s36, s36, 8
	s_add_i32 s35, s35, 8
	v_cmp_eq_u32_e32 vcc, 0, v125
	s_or_b64 s[6:7], vcc, s[6:7]
	s_waitcnt vmcnt(0) lgkmcnt(0)
	v_fma_f64 v[121:122], v[126:127], v[128:129], v[121:122]
	s_andn2_b64 exec, exec, s[6:7]
	s_cbranch_execnz .LBB59_383
; %bb.384:
	s_or_b64 exec, exec, s[6:7]
.LBB59_385:
	s_or_b64 exec, exec, s[12:13]
	v_mov_b32_e32 v125, 0
	ds_read_b64 v[125:126], v125 offset:160
	s_waitcnt lgkmcnt(0)
	v_mul_f64 v[121:122], v[121:122], v[125:126]
	buffer_store_dword v122, off, s[0:3], 0 offset:164
	buffer_store_dword v121, off, s[0:3], 0 offset:160
.LBB59_386:
	s_or_b64 exec, exec, s[8:9]
	buffer_load_dword v121, off, s[0:3], 0 offset:152
	buffer_load_dword v122, off, s[0:3], 0 offset:156
	v_cmp_lt_u32_e64 s[6:7], 19, v0
	s_waitcnt vmcnt(0)
	ds_write_b64 v123, v[121:122]
	s_waitcnt lgkmcnt(0)
	; wave barrier
	s_and_saveexec_b64 s[8:9], s[6:7]
	s_cbranch_execz .LBB59_396
; %bb.387:
	s_andn2_b64 vcc, exec, s[10:11]
	s_cbranch_vccnz .LBB59_389
; %bb.388:
	buffer_load_dword v121, v124, s[0:3], 0 offen
	buffer_load_dword v122, v124, s[0:3], 0 offen offset:4
	ds_read_b64 v[125:126], v123
	s_waitcnt vmcnt(0) lgkmcnt(0)
	v_mul_f64 v[121:122], v[121:122], v[125:126]
	s_cbranch_execz .LBB59_390
	s_branch .LBB59_391
.LBB59_389:
                                        ; implicit-def: $vgpr121_vgpr122
.LBB59_390:
	ds_read_b64 v[121:122], v123
.LBB59_391:
	s_and_saveexec_b64 s[12:13], s[4:5]
	s_cbranch_execz .LBB59_395
; %bb.392:
	v_subrev_u32_e32 v125, 20, v0
	s_movk_i32 s35, 0x280
	s_mov_b64 s[4:5], 0
.LBB59_393:                             ; =>This Inner Loop Header: Depth=1
	v_mov_b32_e32 v127, s34
	buffer_load_dword v126, v127, s[0:3], 0 offen
	s_nop 0
	buffer_load_dword v127, v127, s[0:3], 0 offen offset:4
	v_mov_b32_e32 v128, s35
	ds_read_b64 v[128:129], v128
	v_add_u32_e32 v125, -1, v125
	s_add_i32 s35, s35, 8
	s_add_i32 s34, s34, 8
	v_cmp_eq_u32_e32 vcc, 0, v125
	s_or_b64 s[4:5], vcc, s[4:5]
	s_waitcnt vmcnt(0) lgkmcnt(0)
	v_fma_f64 v[121:122], v[126:127], v[128:129], v[121:122]
	s_andn2_b64 exec, exec, s[4:5]
	s_cbranch_execnz .LBB59_393
; %bb.394:
	s_or_b64 exec, exec, s[4:5]
.LBB59_395:
	s_or_b64 exec, exec, s[12:13]
	v_mov_b32_e32 v125, 0
	ds_read_b64 v[125:126], v125 offset:152
	s_waitcnt lgkmcnt(0)
	v_mul_f64 v[121:122], v[121:122], v[125:126]
	buffer_store_dword v122, off, s[0:3], 0 offset:156
	buffer_store_dword v121, off, s[0:3], 0 offset:152
.LBB59_396:
	s_or_b64 exec, exec, s[8:9]
	buffer_load_dword v121, off, s[0:3], 0 offset:144
	buffer_load_dword v122, off, s[0:3], 0 offset:148
	v_cmp_lt_u32_e64 s[4:5], 18, v0
	s_waitcnt vmcnt(0)
	ds_write_b64 v123, v[121:122]
	s_waitcnt lgkmcnt(0)
	; wave barrier
	s_and_saveexec_b64 s[8:9], s[4:5]
	s_cbranch_execz .LBB59_406
; %bb.397:
	s_andn2_b64 vcc, exec, s[10:11]
	s_cbranch_vccnz .LBB59_399
; %bb.398:
	buffer_load_dword v121, v124, s[0:3], 0 offen
	buffer_load_dword v122, v124, s[0:3], 0 offen offset:4
	ds_read_b64 v[125:126], v123
	s_waitcnt vmcnt(0) lgkmcnt(0)
	v_mul_f64 v[121:122], v[121:122], v[125:126]
	s_cbranch_execz .LBB59_400
	s_branch .LBB59_401
.LBB59_399:
                                        ; implicit-def: $vgpr121_vgpr122
.LBB59_400:
	ds_read_b64 v[121:122], v123
.LBB59_401:
	s_and_saveexec_b64 s[12:13], s[6:7]
	s_cbranch_execz .LBB59_405
; %bb.402:
	v_subrev_u32_e32 v125, 19, v0
	s_movk_i32 s34, 0x278
	s_mov_b64 s[6:7], 0
.LBB59_403:                             ; =>This Inner Loop Header: Depth=1
	v_mov_b32_e32 v127, s33
	buffer_load_dword v126, v127, s[0:3], 0 offen
	s_nop 0
	buffer_load_dword v127, v127, s[0:3], 0 offen offset:4
	v_mov_b32_e32 v128, s34
	ds_read_b64 v[128:129], v128
	v_add_u32_e32 v125, -1, v125
	s_add_i32 s34, s34, 8
	s_add_i32 s33, s33, 8
	v_cmp_eq_u32_e32 vcc, 0, v125
	s_or_b64 s[6:7], vcc, s[6:7]
	s_waitcnt vmcnt(0) lgkmcnt(0)
	v_fma_f64 v[121:122], v[126:127], v[128:129], v[121:122]
	s_andn2_b64 exec, exec, s[6:7]
	s_cbranch_execnz .LBB59_403
; %bb.404:
	s_or_b64 exec, exec, s[6:7]
.LBB59_405:
	s_or_b64 exec, exec, s[12:13]
	v_mov_b32_e32 v125, 0
	ds_read_b64 v[125:126], v125 offset:144
	s_waitcnt lgkmcnt(0)
	v_mul_f64 v[121:122], v[121:122], v[125:126]
	buffer_store_dword v122, off, s[0:3], 0 offset:148
	buffer_store_dword v121, off, s[0:3], 0 offset:144
.LBB59_406:
	s_or_b64 exec, exec, s[8:9]
	buffer_load_dword v121, off, s[0:3], 0 offset:136
	buffer_load_dword v122, off, s[0:3], 0 offset:140
	v_cmp_lt_u32_e64 s[6:7], 17, v0
	s_waitcnt vmcnt(0)
	ds_write_b64 v123, v[121:122]
	s_waitcnt lgkmcnt(0)
	; wave barrier
	s_and_saveexec_b64 s[8:9], s[6:7]
	s_cbranch_execz .LBB59_416
; %bb.407:
	s_andn2_b64 vcc, exec, s[10:11]
	s_cbranch_vccnz .LBB59_409
; %bb.408:
	buffer_load_dword v121, v124, s[0:3], 0 offen
	buffer_load_dword v122, v124, s[0:3], 0 offen offset:4
	ds_read_b64 v[125:126], v123
	s_waitcnt vmcnt(0) lgkmcnt(0)
	v_mul_f64 v[121:122], v[121:122], v[125:126]
	s_cbranch_execz .LBB59_410
	s_branch .LBB59_411
.LBB59_409:
                                        ; implicit-def: $vgpr121_vgpr122
.LBB59_410:
	ds_read_b64 v[121:122], v123
.LBB59_411:
	s_and_saveexec_b64 s[12:13], s[4:5]
	s_cbranch_execz .LBB59_415
; %bb.412:
	v_subrev_u32_e32 v125, 18, v0
	s_movk_i32 s33, 0x270
	s_mov_b64 s[4:5], 0
.LBB59_413:                             ; =>This Inner Loop Header: Depth=1
	v_mov_b32_e32 v127, s31
	buffer_load_dword v126, v127, s[0:3], 0 offen
	s_nop 0
	buffer_load_dword v127, v127, s[0:3], 0 offen offset:4
	v_mov_b32_e32 v128, s33
	ds_read_b64 v[128:129], v128
	v_add_u32_e32 v125, -1, v125
	s_add_i32 s33, s33, 8
	s_add_i32 s31, s31, 8
	v_cmp_eq_u32_e32 vcc, 0, v125
	s_or_b64 s[4:5], vcc, s[4:5]
	s_waitcnt vmcnt(0) lgkmcnt(0)
	v_fma_f64 v[121:122], v[126:127], v[128:129], v[121:122]
	s_andn2_b64 exec, exec, s[4:5]
	s_cbranch_execnz .LBB59_413
; %bb.414:
	s_or_b64 exec, exec, s[4:5]
.LBB59_415:
	s_or_b64 exec, exec, s[12:13]
	v_mov_b32_e32 v125, 0
	ds_read_b64 v[125:126], v125 offset:136
	s_waitcnt lgkmcnt(0)
	v_mul_f64 v[121:122], v[121:122], v[125:126]
	buffer_store_dword v122, off, s[0:3], 0 offset:140
	buffer_store_dword v121, off, s[0:3], 0 offset:136
.LBB59_416:
	s_or_b64 exec, exec, s[8:9]
	buffer_load_dword v121, off, s[0:3], 0 offset:128
	buffer_load_dword v122, off, s[0:3], 0 offset:132
	v_cmp_lt_u32_e64 s[4:5], 16, v0
	s_waitcnt vmcnt(0)
	ds_write_b64 v123, v[121:122]
	s_waitcnt lgkmcnt(0)
	; wave barrier
	s_and_saveexec_b64 s[8:9], s[4:5]
	s_cbranch_execz .LBB59_426
; %bb.417:
	s_andn2_b64 vcc, exec, s[10:11]
	s_cbranch_vccnz .LBB59_419
; %bb.418:
	buffer_load_dword v121, v124, s[0:3], 0 offen
	buffer_load_dword v122, v124, s[0:3], 0 offen offset:4
	ds_read_b64 v[125:126], v123
	s_waitcnt vmcnt(0) lgkmcnt(0)
	v_mul_f64 v[121:122], v[121:122], v[125:126]
	s_cbranch_execz .LBB59_420
	s_branch .LBB59_421
.LBB59_419:
                                        ; implicit-def: $vgpr121_vgpr122
.LBB59_420:
	ds_read_b64 v[121:122], v123
.LBB59_421:
	s_and_saveexec_b64 s[12:13], s[6:7]
	s_cbranch_execz .LBB59_425
; %bb.422:
	v_subrev_u32_e32 v125, 17, v0
	s_movk_i32 s31, 0x268
	s_mov_b64 s[6:7], 0
.LBB59_423:                             ; =>This Inner Loop Header: Depth=1
	v_mov_b32_e32 v127, s30
	buffer_load_dword v126, v127, s[0:3], 0 offen
	s_nop 0
	buffer_load_dword v127, v127, s[0:3], 0 offen offset:4
	v_mov_b32_e32 v128, s31
	ds_read_b64 v[128:129], v128
	v_add_u32_e32 v125, -1, v125
	s_add_i32 s31, s31, 8
	s_add_i32 s30, s30, 8
	v_cmp_eq_u32_e32 vcc, 0, v125
	s_or_b64 s[6:7], vcc, s[6:7]
	s_waitcnt vmcnt(0) lgkmcnt(0)
	v_fma_f64 v[121:122], v[126:127], v[128:129], v[121:122]
	s_andn2_b64 exec, exec, s[6:7]
	s_cbranch_execnz .LBB59_423
; %bb.424:
	s_or_b64 exec, exec, s[6:7]
.LBB59_425:
	s_or_b64 exec, exec, s[12:13]
	v_mov_b32_e32 v125, 0
	ds_read_b64 v[125:126], v125 offset:128
	s_waitcnt lgkmcnt(0)
	v_mul_f64 v[121:122], v[121:122], v[125:126]
	buffer_store_dword v122, off, s[0:3], 0 offset:132
	buffer_store_dword v121, off, s[0:3], 0 offset:128
.LBB59_426:
	s_or_b64 exec, exec, s[8:9]
	buffer_load_dword v121, off, s[0:3], 0 offset:120
	buffer_load_dword v122, off, s[0:3], 0 offset:124
	v_cmp_lt_u32_e64 s[6:7], 15, v0
	s_waitcnt vmcnt(0)
	ds_write_b64 v123, v[121:122]
	s_waitcnt lgkmcnt(0)
	; wave barrier
	s_and_saveexec_b64 s[8:9], s[6:7]
	s_cbranch_execz .LBB59_436
; %bb.427:
	s_andn2_b64 vcc, exec, s[10:11]
	s_cbranch_vccnz .LBB59_429
; %bb.428:
	buffer_load_dword v121, v124, s[0:3], 0 offen
	buffer_load_dword v122, v124, s[0:3], 0 offen offset:4
	ds_read_b64 v[125:126], v123
	s_waitcnt vmcnt(0) lgkmcnt(0)
	v_mul_f64 v[121:122], v[121:122], v[125:126]
	s_cbranch_execz .LBB59_430
	s_branch .LBB59_431
.LBB59_429:
                                        ; implicit-def: $vgpr121_vgpr122
.LBB59_430:
	ds_read_b64 v[121:122], v123
.LBB59_431:
	s_and_saveexec_b64 s[12:13], s[4:5]
	s_cbranch_execz .LBB59_435
; %bb.432:
	v_add_u32_e32 v125, -16, v0
	s_movk_i32 s30, 0x260
	s_mov_b64 s[4:5], 0
.LBB59_433:                             ; =>This Inner Loop Header: Depth=1
	v_mov_b32_e32 v127, s29
	buffer_load_dword v126, v127, s[0:3], 0 offen
	s_nop 0
	buffer_load_dword v127, v127, s[0:3], 0 offen offset:4
	v_mov_b32_e32 v128, s30
	ds_read_b64 v[128:129], v128
	v_add_u32_e32 v125, -1, v125
	s_add_i32 s30, s30, 8
	s_add_i32 s29, s29, 8
	v_cmp_eq_u32_e32 vcc, 0, v125
	s_or_b64 s[4:5], vcc, s[4:5]
	s_waitcnt vmcnt(0) lgkmcnt(0)
	v_fma_f64 v[121:122], v[126:127], v[128:129], v[121:122]
	s_andn2_b64 exec, exec, s[4:5]
	s_cbranch_execnz .LBB59_433
; %bb.434:
	s_or_b64 exec, exec, s[4:5]
.LBB59_435:
	s_or_b64 exec, exec, s[12:13]
	v_mov_b32_e32 v125, 0
	ds_read_b64 v[125:126], v125 offset:120
	s_waitcnt lgkmcnt(0)
	v_mul_f64 v[121:122], v[121:122], v[125:126]
	buffer_store_dword v122, off, s[0:3], 0 offset:124
	buffer_store_dword v121, off, s[0:3], 0 offset:120
.LBB59_436:
	s_or_b64 exec, exec, s[8:9]
	buffer_load_dword v121, off, s[0:3], 0 offset:112
	buffer_load_dword v122, off, s[0:3], 0 offset:116
	v_cmp_lt_u32_e64 s[4:5], 14, v0
	s_waitcnt vmcnt(0)
	ds_write_b64 v123, v[121:122]
	s_waitcnt lgkmcnt(0)
	; wave barrier
	s_and_saveexec_b64 s[8:9], s[4:5]
	s_cbranch_execz .LBB59_446
; %bb.437:
	s_andn2_b64 vcc, exec, s[10:11]
	s_cbranch_vccnz .LBB59_439
; %bb.438:
	buffer_load_dword v121, v124, s[0:3], 0 offen
	buffer_load_dword v122, v124, s[0:3], 0 offen offset:4
	ds_read_b64 v[125:126], v123
	s_waitcnt vmcnt(0) lgkmcnt(0)
	v_mul_f64 v[121:122], v[121:122], v[125:126]
	s_cbranch_execz .LBB59_440
	s_branch .LBB59_441
.LBB59_439:
                                        ; implicit-def: $vgpr121_vgpr122
.LBB59_440:
	ds_read_b64 v[121:122], v123
.LBB59_441:
	s_and_saveexec_b64 s[12:13], s[6:7]
	s_cbranch_execz .LBB59_445
; %bb.442:
	v_add_u32_e32 v125, -15, v0
	s_movk_i32 s29, 0x258
	s_mov_b64 s[6:7], 0
.LBB59_443:                             ; =>This Inner Loop Header: Depth=1
	v_mov_b32_e32 v127, s28
	buffer_load_dword v126, v127, s[0:3], 0 offen
	s_nop 0
	buffer_load_dword v127, v127, s[0:3], 0 offen offset:4
	v_mov_b32_e32 v128, s29
	ds_read_b64 v[128:129], v128
	v_add_u32_e32 v125, -1, v125
	s_add_i32 s29, s29, 8
	s_add_i32 s28, s28, 8
	v_cmp_eq_u32_e32 vcc, 0, v125
	s_or_b64 s[6:7], vcc, s[6:7]
	s_waitcnt vmcnt(0) lgkmcnt(0)
	v_fma_f64 v[121:122], v[126:127], v[128:129], v[121:122]
	s_andn2_b64 exec, exec, s[6:7]
	s_cbranch_execnz .LBB59_443
; %bb.444:
	s_or_b64 exec, exec, s[6:7]
.LBB59_445:
	s_or_b64 exec, exec, s[12:13]
	v_mov_b32_e32 v125, 0
	ds_read_b64 v[125:126], v125 offset:112
	s_waitcnt lgkmcnt(0)
	v_mul_f64 v[121:122], v[121:122], v[125:126]
	buffer_store_dword v122, off, s[0:3], 0 offset:116
	buffer_store_dword v121, off, s[0:3], 0 offset:112
.LBB59_446:
	;; [unrolled: 59-line block ×15, first 2 shown]
	s_or_b64 exec, exec, s[8:9]
	buffer_load_dword v121, off, s[0:3], 0
	buffer_load_dword v122, off, s[0:3], 0 offset:4
	v_cmp_ne_u32_e32 vcc, 0, v0
	s_waitcnt vmcnt(0)
	ds_write_b64 v123, v[121:122]
	s_waitcnt lgkmcnt(0)
	; wave barrier
	s_and_saveexec_b64 s[4:5], vcc
	s_cbranch_execz .LBB59_586
; %bb.577:
	s_andn2_b64 vcc, exec, s[10:11]
	s_cbranch_vccnz .LBB59_579
; %bb.578:
	buffer_load_dword v121, v124, s[0:3], 0 offen
	buffer_load_dword v122, v124, s[0:3], 0 offen offset:4
	ds_read_b64 v[125:126], v123
	s_waitcnt vmcnt(0) lgkmcnt(0)
	v_mul_f64 v[121:122], v[121:122], v[125:126]
	s_cbranch_execz .LBB59_580
	s_branch .LBB59_581
.LBB59_579:
                                        ; implicit-def: $vgpr121_vgpr122
.LBB59_580:
	ds_read_b64 v[121:122], v123
.LBB59_581:
	s_and_saveexec_b64 s[8:9], s[6:7]
	s_cbranch_execz .LBB59_585
; %bb.582:
	v_add_u32_e32 v125, -1, v0
	s_movk_i32 s12, 0x1e8
	s_mov_b64 s[6:7], 0
.LBB59_583:                             ; =>This Inner Loop Header: Depth=1
	v_mov_b32_e32 v127, s14
	buffer_load_dword v126, v127, s[0:3], 0 offen
	s_nop 0
	buffer_load_dword v127, v127, s[0:3], 0 offen offset:4
	v_mov_b32_e32 v128, s12
	ds_read_b64 v[128:129], v128
	v_add_u32_e32 v125, -1, v125
	s_add_i32 s12, s12, 8
	s_add_i32 s14, s14, 8
	v_cmp_eq_u32_e32 vcc, 0, v125
	s_or_b64 s[6:7], vcc, s[6:7]
	s_waitcnt vmcnt(0) lgkmcnt(0)
	v_fma_f64 v[121:122], v[126:127], v[128:129], v[121:122]
	s_andn2_b64 exec, exec, s[6:7]
	s_cbranch_execnz .LBB59_583
; %bb.584:
	s_or_b64 exec, exec, s[6:7]
.LBB59_585:
	s_or_b64 exec, exec, s[8:9]
	v_mov_b32_e32 v125, 0
	ds_read_b64 v[125:126], v125
	s_waitcnt lgkmcnt(0)
	v_mul_f64 v[121:122], v[121:122], v[125:126]
	buffer_store_dword v122, off, s[0:3], 0 offset:4
	buffer_store_dword v121, off, s[0:3], 0
.LBB59_586:
	s_or_b64 exec, exec, s[4:5]
	s_mov_b64 s[4:5], 0
.LBB59_587:
	s_and_b64 vcc, exec, s[4:5]
	s_cbranch_vccz .LBB59_1169
; %bb.588:
	buffer_load_dword v121, off, s[0:3], 0 offset:8
	buffer_load_dword v122, off, s[0:3], 0 offset:12
	v_cmp_eq_u32_e64 s[6:7], 0, v0
	s_waitcnt vmcnt(0)
	ds_write_b64 v123, v[121:122]
	s_waitcnt lgkmcnt(0)
	; wave barrier
	s_and_saveexec_b64 s[4:5], s[6:7]
	s_cbranch_execz .LBB59_594
; %bb.589:
	s_and_b64 vcc, exec, s[10:11]
	s_cbranch_vccz .LBB59_591
; %bb.590:
	buffer_load_dword v121, v124, s[0:3], 0 offen
	buffer_load_dword v122, v124, s[0:3], 0 offen offset:4
	ds_read_b64 v[125:126], v123
	s_waitcnt vmcnt(0) lgkmcnt(0)
	v_mul_f64 v[121:122], v[121:122], v[125:126]
	s_cbranch_execz .LBB59_592
	s_branch .LBB59_593
.LBB59_591:
                                        ; implicit-def: $vgpr121_vgpr122
.LBB59_592:
	ds_read_b64 v[121:122], v123
.LBB59_593:
	v_mov_b32_e32 v125, 0
	ds_read_b64 v[125:126], v125 offset:8
	s_waitcnt lgkmcnt(0)
	v_mul_f64 v[121:122], v[121:122], v[125:126]
	buffer_store_dword v122, off, s[0:3], 0 offset:12
	buffer_store_dword v121, off, s[0:3], 0 offset:8
.LBB59_594:
	s_or_b64 exec, exec, s[4:5]
	buffer_load_dword v121, off, s[0:3], 0 offset:16
	buffer_load_dword v122, off, s[0:3], 0 offset:20
	v_cndmask_b32_e64 v125, 0, 1, s[10:11]
	v_cmp_gt_u32_e32 vcc, 2, v0
	v_cmp_ne_u32_e64 s[4:5], 1, v125
	s_waitcnt vmcnt(0)
	ds_write_b64 v123, v[121:122]
	s_waitcnt lgkmcnt(0)
	; wave barrier
	s_and_saveexec_b64 s[8:9], vcc
	s_cbranch_execz .LBB59_600
; %bb.595:
	s_and_b64 vcc, exec, s[4:5]
	s_cbranch_vccnz .LBB59_597
; %bb.596:
	buffer_load_dword v121, v124, s[0:3], 0 offen
	buffer_load_dword v122, v124, s[0:3], 0 offen offset:4
	ds_read_b64 v[125:126], v123
	s_waitcnt vmcnt(0) lgkmcnt(0)
	v_mul_f64 v[121:122], v[121:122], v[125:126]
	s_cbranch_execz .LBB59_598
	s_branch .LBB59_599
.LBB59_597:
                                        ; implicit-def: $vgpr121_vgpr122
.LBB59_598:
	ds_read_b64 v[121:122], v123
.LBB59_599:
	buffer_load_dword v129, off, s[0:3], 0 offset:8
	buffer_load_dword v130, off, s[0:3], 0 offset:12
	v_mov_b32_e32 v125, 0
	ds_read2_b64 v[125:128], v125 offset0:2 offset1:61
	s_waitcnt vmcnt(0) lgkmcnt(0)
	v_fma_f64 v[127:128], v[129:130], v[127:128], v[121:122]
	v_cndmask_b32_e64 v122, v122, v128, s[6:7]
	v_cndmask_b32_e64 v121, v121, v127, s[6:7]
	v_mul_f64 v[121:122], v[121:122], v[125:126]
	buffer_store_dword v122, off, s[0:3], 0 offset:20
	buffer_store_dword v121, off, s[0:3], 0 offset:16
.LBB59_600:
	s_or_b64 exec, exec, s[8:9]
	buffer_load_dword v121, off, s[0:3], 0 offset:24
	buffer_load_dword v122, off, s[0:3], 0 offset:28
	v_cmp_gt_u32_e32 vcc, 3, v0
	s_waitcnt vmcnt(0)
	ds_write_b64 v123, v[121:122]
	s_waitcnt lgkmcnt(0)
	; wave barrier
	s_and_saveexec_b64 s[8:9], vcc
	s_cbranch_execz .LBB59_608
; %bb.601:
	s_and_b64 vcc, exec, s[4:5]
	s_cbranch_vccnz .LBB59_603
; %bb.602:
	buffer_load_dword v121, v124, s[0:3], 0 offen
	buffer_load_dword v122, v124, s[0:3], 0 offen offset:4
	ds_read_b64 v[125:126], v123
	s_waitcnt vmcnt(0) lgkmcnt(0)
	v_mul_f64 v[121:122], v[121:122], v[125:126]
	s_cbranch_execz .LBB59_604
	s_branch .LBB59_605
.LBB59_603:
                                        ; implicit-def: $vgpr121_vgpr122
.LBB59_604:
	ds_read_b64 v[121:122], v123
.LBB59_605:
	v_cmp_ne_u32_e32 vcc, 2, v0
	s_and_saveexec_b64 s[10:11], vcc
	s_cbranch_execz .LBB59_607
; %bb.606:
	buffer_load_dword v125, v124, s[0:3], 0 offen offset:8
	buffer_load_dword v126, v124, s[0:3], 0 offen offset:12
	buffer_load_dword v127, off, s[0:3], 0 offset:16
	buffer_load_dword v128, off, s[0:3], 0 offset:20
	ds_read_b64 v[129:130], v123 offset:8
	v_mov_b32_e32 v131, 0
	ds_read_b64 v[133:134], v131 offset:496
	s_waitcnt vmcnt(2) lgkmcnt(1)
	v_fma_f64 v[121:122], v[125:126], v[129:130], v[121:122]
	s_waitcnt vmcnt(0) lgkmcnt(0)
	v_fma_f64 v[125:126], v[127:128], v[133:134], v[121:122]
	v_cndmask_b32_e64 v122, v122, v126, s[6:7]
	v_cndmask_b32_e64 v121, v121, v125, s[6:7]
.LBB59_607:
	s_or_b64 exec, exec, s[10:11]
	v_mov_b32_e32 v125, 0
	ds_read_b64 v[125:126], v125 offset:24
	s_waitcnt lgkmcnt(0)
	v_mul_f64 v[121:122], v[121:122], v[125:126]
	buffer_store_dword v122, off, s[0:3], 0 offset:28
	buffer_store_dword v121, off, s[0:3], 0 offset:24
.LBB59_608:
	s_or_b64 exec, exec, s[8:9]
	buffer_load_dword v121, off, s[0:3], 0 offset:32
	buffer_load_dword v122, off, s[0:3], 0 offset:36
	v_cmp_gt_u32_e32 vcc, 4, v0
	s_waitcnt vmcnt(0)
	ds_write_b64 v123, v[121:122]
	s_waitcnt lgkmcnt(0)
	; wave barrier
	s_and_saveexec_b64 s[6:7], vcc
	s_cbranch_execz .LBB59_618
; %bb.609:
	s_and_b64 vcc, exec, s[4:5]
	s_cbranch_vccnz .LBB59_611
; %bb.610:
	buffer_load_dword v121, v124, s[0:3], 0 offen
	buffer_load_dword v122, v124, s[0:3], 0 offen offset:4
	ds_read_b64 v[125:126], v123
	s_waitcnt vmcnt(0) lgkmcnt(0)
	v_mul_f64 v[121:122], v[121:122], v[125:126]
	s_cbranch_execz .LBB59_612
	s_branch .LBB59_613
.LBB59_611:
                                        ; implicit-def: $vgpr121_vgpr122
.LBB59_612:
	ds_read_b64 v[121:122], v123
.LBB59_613:
	v_cmp_ne_u32_e32 vcc, 3, v0
	s_and_saveexec_b64 s[8:9], vcc
	s_cbranch_execz .LBB59_617
; %bb.614:
	s_mov_b32 s10, 0
	v_add_u32_e32 v125, 0x1e8, v132
	v_add3_u32 v126, v132, s10, 8
	s_mov_b64 s[10:11], 0
	v_mov_b32_e32 v127, v0
.LBB59_615:                             ; =>This Inner Loop Header: Depth=1
	buffer_load_dword v128, v126, s[0:3], 0 offen
	buffer_load_dword v129, v126, s[0:3], 0 offen offset:4
	ds_read_b64 v[130:131], v125
	v_add_u32_e32 v127, 1, v127
	v_cmp_lt_u32_e32 vcc, 2, v127
	v_add_u32_e32 v125, 8, v125
	s_or_b64 s[10:11], vcc, s[10:11]
	v_add_u32_e32 v126, 8, v126
	s_waitcnt vmcnt(0) lgkmcnt(0)
	v_fma_f64 v[121:122], v[128:129], v[130:131], v[121:122]
	s_andn2_b64 exec, exec, s[10:11]
	s_cbranch_execnz .LBB59_615
; %bb.616:
	s_or_b64 exec, exec, s[10:11]
.LBB59_617:
	s_or_b64 exec, exec, s[8:9]
	v_mov_b32_e32 v125, 0
	ds_read_b64 v[125:126], v125 offset:32
	s_waitcnt lgkmcnt(0)
	v_mul_f64 v[121:122], v[121:122], v[125:126]
	buffer_store_dword v122, off, s[0:3], 0 offset:36
	buffer_store_dword v121, off, s[0:3], 0 offset:32
.LBB59_618:
	s_or_b64 exec, exec, s[6:7]
	buffer_load_dword v121, off, s[0:3], 0 offset:40
	buffer_load_dword v122, off, s[0:3], 0 offset:44
	v_cmp_gt_u32_e32 vcc, 5, v0
	s_waitcnt vmcnt(0)
	ds_write_b64 v123, v[121:122]
	s_waitcnt lgkmcnt(0)
	; wave barrier
	s_and_saveexec_b64 s[6:7], vcc
	s_cbranch_execz .LBB59_628
; %bb.619:
	s_and_b64 vcc, exec, s[4:5]
	s_cbranch_vccnz .LBB59_621
; %bb.620:
	buffer_load_dword v121, v124, s[0:3], 0 offen
	buffer_load_dword v122, v124, s[0:3], 0 offen offset:4
	ds_read_b64 v[125:126], v123
	s_waitcnt vmcnt(0) lgkmcnt(0)
	v_mul_f64 v[121:122], v[121:122], v[125:126]
	s_cbranch_execz .LBB59_622
	s_branch .LBB59_623
.LBB59_621:
                                        ; implicit-def: $vgpr121_vgpr122
.LBB59_622:
	ds_read_b64 v[121:122], v123
.LBB59_623:
	v_cmp_ne_u32_e32 vcc, 4, v0
	s_and_saveexec_b64 s[8:9], vcc
	s_cbranch_execz .LBB59_627
; %bb.624:
	s_mov_b32 s10, 0
	v_add_u32_e32 v125, 0x1e8, v132
	v_add3_u32 v126, v132, s10, 8
	s_mov_b64 s[10:11], 0
	v_mov_b32_e32 v127, v0
.LBB59_625:                             ; =>This Inner Loop Header: Depth=1
	buffer_load_dword v128, v126, s[0:3], 0 offen
	buffer_load_dword v129, v126, s[0:3], 0 offen offset:4
	ds_read_b64 v[130:131], v125
	v_add_u32_e32 v127, 1, v127
	v_cmp_lt_u32_e32 vcc, 3, v127
	v_add_u32_e32 v125, 8, v125
	s_or_b64 s[10:11], vcc, s[10:11]
	v_add_u32_e32 v126, 8, v126
	s_waitcnt vmcnt(0) lgkmcnt(0)
	v_fma_f64 v[121:122], v[128:129], v[130:131], v[121:122]
	s_andn2_b64 exec, exec, s[10:11]
	s_cbranch_execnz .LBB59_625
; %bb.626:
	s_or_b64 exec, exec, s[10:11]
.LBB59_627:
	s_or_b64 exec, exec, s[8:9]
	v_mov_b32_e32 v125, 0
	ds_read_b64 v[125:126], v125 offset:40
	s_waitcnt lgkmcnt(0)
	v_mul_f64 v[121:122], v[121:122], v[125:126]
	buffer_store_dword v122, off, s[0:3], 0 offset:44
	buffer_store_dword v121, off, s[0:3], 0 offset:40
.LBB59_628:
	s_or_b64 exec, exec, s[6:7]
	buffer_load_dword v121, off, s[0:3], 0 offset:48
	buffer_load_dword v122, off, s[0:3], 0 offset:52
	v_cmp_gt_u32_e32 vcc, 6, v0
	s_waitcnt vmcnt(0)
	ds_write_b64 v123, v[121:122]
	s_waitcnt lgkmcnt(0)
	; wave barrier
	s_and_saveexec_b64 s[6:7], vcc
	s_cbranch_execz .LBB59_638
; %bb.629:
	s_and_b64 vcc, exec, s[4:5]
	s_cbranch_vccnz .LBB59_631
; %bb.630:
	buffer_load_dword v121, v124, s[0:3], 0 offen
	buffer_load_dword v122, v124, s[0:3], 0 offen offset:4
	ds_read_b64 v[125:126], v123
	s_waitcnt vmcnt(0) lgkmcnt(0)
	v_mul_f64 v[121:122], v[121:122], v[125:126]
	s_cbranch_execz .LBB59_632
	s_branch .LBB59_633
.LBB59_631:
                                        ; implicit-def: $vgpr121_vgpr122
.LBB59_632:
	ds_read_b64 v[121:122], v123
.LBB59_633:
	v_cmp_ne_u32_e32 vcc, 5, v0
	s_and_saveexec_b64 s[8:9], vcc
	s_cbranch_execz .LBB59_637
; %bb.634:
	s_mov_b32 s10, 0
	v_add_u32_e32 v125, 0x1e8, v132
	v_add3_u32 v126, v132, s10, 8
	s_mov_b64 s[10:11], 0
	v_mov_b32_e32 v127, v0
.LBB59_635:                             ; =>This Inner Loop Header: Depth=1
	buffer_load_dword v128, v126, s[0:3], 0 offen
	buffer_load_dword v129, v126, s[0:3], 0 offen offset:4
	ds_read_b64 v[130:131], v125
	v_add_u32_e32 v127, 1, v127
	v_cmp_lt_u32_e32 vcc, 4, v127
	v_add_u32_e32 v125, 8, v125
	s_or_b64 s[10:11], vcc, s[10:11]
	v_add_u32_e32 v126, 8, v126
	s_waitcnt vmcnt(0) lgkmcnt(0)
	v_fma_f64 v[121:122], v[128:129], v[130:131], v[121:122]
	s_andn2_b64 exec, exec, s[10:11]
	s_cbranch_execnz .LBB59_635
; %bb.636:
	s_or_b64 exec, exec, s[10:11]
.LBB59_637:
	s_or_b64 exec, exec, s[8:9]
	v_mov_b32_e32 v125, 0
	ds_read_b64 v[125:126], v125 offset:48
	s_waitcnt lgkmcnt(0)
	v_mul_f64 v[121:122], v[121:122], v[125:126]
	buffer_store_dword v122, off, s[0:3], 0 offset:52
	buffer_store_dword v121, off, s[0:3], 0 offset:48
.LBB59_638:
	s_or_b64 exec, exec, s[6:7]
	buffer_load_dword v121, off, s[0:3], 0 offset:56
	buffer_load_dword v122, off, s[0:3], 0 offset:60
	v_cmp_gt_u32_e32 vcc, 7, v0
	s_waitcnt vmcnt(0)
	ds_write_b64 v123, v[121:122]
	s_waitcnt lgkmcnt(0)
	; wave barrier
	s_and_saveexec_b64 s[6:7], vcc
	s_cbranch_execz .LBB59_648
; %bb.639:
	s_and_b64 vcc, exec, s[4:5]
	s_cbranch_vccnz .LBB59_641
; %bb.640:
	buffer_load_dword v121, v124, s[0:3], 0 offen
	buffer_load_dword v122, v124, s[0:3], 0 offen offset:4
	ds_read_b64 v[125:126], v123
	s_waitcnt vmcnt(0) lgkmcnt(0)
	v_mul_f64 v[121:122], v[121:122], v[125:126]
	s_cbranch_execz .LBB59_642
	s_branch .LBB59_643
.LBB59_641:
                                        ; implicit-def: $vgpr121_vgpr122
.LBB59_642:
	ds_read_b64 v[121:122], v123
.LBB59_643:
	v_cmp_ne_u32_e32 vcc, 6, v0
	s_and_saveexec_b64 s[8:9], vcc
	s_cbranch_execz .LBB59_647
; %bb.644:
	s_mov_b32 s10, 0
	v_add_u32_e32 v125, 0x1e8, v132
	v_add3_u32 v126, v132, s10, 8
	s_mov_b64 s[10:11], 0
	v_mov_b32_e32 v127, v0
.LBB59_645:                             ; =>This Inner Loop Header: Depth=1
	buffer_load_dword v128, v126, s[0:3], 0 offen
	buffer_load_dword v129, v126, s[0:3], 0 offen offset:4
	ds_read_b64 v[130:131], v125
	v_add_u32_e32 v127, 1, v127
	v_cmp_lt_u32_e32 vcc, 5, v127
	v_add_u32_e32 v125, 8, v125
	s_or_b64 s[10:11], vcc, s[10:11]
	v_add_u32_e32 v126, 8, v126
	s_waitcnt vmcnt(0) lgkmcnt(0)
	v_fma_f64 v[121:122], v[128:129], v[130:131], v[121:122]
	s_andn2_b64 exec, exec, s[10:11]
	s_cbranch_execnz .LBB59_645
; %bb.646:
	s_or_b64 exec, exec, s[10:11]
.LBB59_647:
	s_or_b64 exec, exec, s[8:9]
	v_mov_b32_e32 v125, 0
	ds_read_b64 v[125:126], v125 offset:56
	s_waitcnt lgkmcnt(0)
	v_mul_f64 v[121:122], v[121:122], v[125:126]
	buffer_store_dword v122, off, s[0:3], 0 offset:60
	buffer_store_dword v121, off, s[0:3], 0 offset:56
.LBB59_648:
	s_or_b64 exec, exec, s[6:7]
	buffer_load_dword v121, off, s[0:3], 0 offset:64
	buffer_load_dword v122, off, s[0:3], 0 offset:68
	v_cmp_gt_u32_e32 vcc, 8, v0
	s_waitcnt vmcnt(0)
	ds_write_b64 v123, v[121:122]
	s_waitcnt lgkmcnt(0)
	; wave barrier
	s_and_saveexec_b64 s[6:7], vcc
	s_cbranch_execz .LBB59_658
; %bb.649:
	s_and_b64 vcc, exec, s[4:5]
	s_cbranch_vccnz .LBB59_651
; %bb.650:
	buffer_load_dword v121, v124, s[0:3], 0 offen
	buffer_load_dword v122, v124, s[0:3], 0 offen offset:4
	ds_read_b64 v[125:126], v123
	s_waitcnt vmcnt(0) lgkmcnt(0)
	v_mul_f64 v[121:122], v[121:122], v[125:126]
	s_cbranch_execz .LBB59_652
	s_branch .LBB59_653
.LBB59_651:
                                        ; implicit-def: $vgpr121_vgpr122
.LBB59_652:
	ds_read_b64 v[121:122], v123
.LBB59_653:
	v_cmp_ne_u32_e32 vcc, 7, v0
	s_and_saveexec_b64 s[8:9], vcc
	s_cbranch_execz .LBB59_657
; %bb.654:
	s_mov_b32 s10, 0
	v_add_u32_e32 v125, 0x1e8, v132
	v_add3_u32 v126, v132, s10, 8
	s_mov_b64 s[10:11], 0
	v_mov_b32_e32 v127, v0
.LBB59_655:                             ; =>This Inner Loop Header: Depth=1
	buffer_load_dword v128, v126, s[0:3], 0 offen
	buffer_load_dword v129, v126, s[0:3], 0 offen offset:4
	ds_read_b64 v[130:131], v125
	v_add_u32_e32 v127, 1, v127
	v_cmp_lt_u32_e32 vcc, 6, v127
	v_add_u32_e32 v125, 8, v125
	s_or_b64 s[10:11], vcc, s[10:11]
	v_add_u32_e32 v126, 8, v126
	s_waitcnt vmcnt(0) lgkmcnt(0)
	v_fma_f64 v[121:122], v[128:129], v[130:131], v[121:122]
	s_andn2_b64 exec, exec, s[10:11]
	s_cbranch_execnz .LBB59_655
; %bb.656:
	s_or_b64 exec, exec, s[10:11]
.LBB59_657:
	s_or_b64 exec, exec, s[8:9]
	v_mov_b32_e32 v125, 0
	ds_read_b64 v[125:126], v125 offset:64
	s_waitcnt lgkmcnt(0)
	v_mul_f64 v[121:122], v[121:122], v[125:126]
	buffer_store_dword v122, off, s[0:3], 0 offset:68
	buffer_store_dword v121, off, s[0:3], 0 offset:64
.LBB59_658:
	s_or_b64 exec, exec, s[6:7]
	buffer_load_dword v121, off, s[0:3], 0 offset:72
	buffer_load_dword v122, off, s[0:3], 0 offset:76
	v_cmp_gt_u32_e32 vcc, 9, v0
	s_waitcnt vmcnt(0)
	ds_write_b64 v123, v[121:122]
	s_waitcnt lgkmcnt(0)
	; wave barrier
	s_and_saveexec_b64 s[6:7], vcc
	s_cbranch_execz .LBB59_668
; %bb.659:
	s_and_b64 vcc, exec, s[4:5]
	s_cbranch_vccnz .LBB59_661
; %bb.660:
	buffer_load_dword v121, v124, s[0:3], 0 offen
	buffer_load_dword v122, v124, s[0:3], 0 offen offset:4
	ds_read_b64 v[125:126], v123
	s_waitcnt vmcnt(0) lgkmcnt(0)
	v_mul_f64 v[121:122], v[121:122], v[125:126]
	s_cbranch_execz .LBB59_662
	s_branch .LBB59_663
.LBB59_661:
                                        ; implicit-def: $vgpr121_vgpr122
.LBB59_662:
	ds_read_b64 v[121:122], v123
.LBB59_663:
	v_cmp_ne_u32_e32 vcc, 8, v0
	s_and_saveexec_b64 s[8:9], vcc
	s_cbranch_execz .LBB59_667
; %bb.664:
	s_mov_b32 s10, 0
	v_add_u32_e32 v125, 0x1e8, v132
	v_add3_u32 v126, v132, s10, 8
	s_mov_b64 s[10:11], 0
	v_mov_b32_e32 v127, v0
.LBB59_665:                             ; =>This Inner Loop Header: Depth=1
	buffer_load_dword v128, v126, s[0:3], 0 offen
	buffer_load_dword v129, v126, s[0:3], 0 offen offset:4
	ds_read_b64 v[130:131], v125
	v_add_u32_e32 v127, 1, v127
	v_cmp_lt_u32_e32 vcc, 7, v127
	v_add_u32_e32 v125, 8, v125
	s_or_b64 s[10:11], vcc, s[10:11]
	v_add_u32_e32 v126, 8, v126
	s_waitcnt vmcnt(0) lgkmcnt(0)
	v_fma_f64 v[121:122], v[128:129], v[130:131], v[121:122]
	s_andn2_b64 exec, exec, s[10:11]
	s_cbranch_execnz .LBB59_665
; %bb.666:
	s_or_b64 exec, exec, s[10:11]
.LBB59_667:
	s_or_b64 exec, exec, s[8:9]
	v_mov_b32_e32 v125, 0
	ds_read_b64 v[125:126], v125 offset:72
	s_waitcnt lgkmcnt(0)
	v_mul_f64 v[121:122], v[121:122], v[125:126]
	buffer_store_dword v122, off, s[0:3], 0 offset:76
	buffer_store_dword v121, off, s[0:3], 0 offset:72
.LBB59_668:
	s_or_b64 exec, exec, s[6:7]
	buffer_load_dword v121, off, s[0:3], 0 offset:80
	buffer_load_dword v122, off, s[0:3], 0 offset:84
	v_cmp_gt_u32_e32 vcc, 10, v0
	s_waitcnt vmcnt(0)
	ds_write_b64 v123, v[121:122]
	s_waitcnt lgkmcnt(0)
	; wave barrier
	s_and_saveexec_b64 s[6:7], vcc
	s_cbranch_execz .LBB59_678
; %bb.669:
	s_and_b64 vcc, exec, s[4:5]
	s_cbranch_vccnz .LBB59_671
; %bb.670:
	buffer_load_dword v121, v124, s[0:3], 0 offen
	buffer_load_dword v122, v124, s[0:3], 0 offen offset:4
	ds_read_b64 v[125:126], v123
	s_waitcnt vmcnt(0) lgkmcnt(0)
	v_mul_f64 v[121:122], v[121:122], v[125:126]
	s_cbranch_execz .LBB59_672
	s_branch .LBB59_673
.LBB59_671:
                                        ; implicit-def: $vgpr121_vgpr122
.LBB59_672:
	ds_read_b64 v[121:122], v123
.LBB59_673:
	v_cmp_ne_u32_e32 vcc, 9, v0
	s_and_saveexec_b64 s[8:9], vcc
	s_cbranch_execz .LBB59_677
; %bb.674:
	s_mov_b32 s10, 0
	v_add_u32_e32 v125, 0x1e8, v132
	v_add3_u32 v126, v132, s10, 8
	s_mov_b64 s[10:11], 0
	v_mov_b32_e32 v127, v0
.LBB59_675:                             ; =>This Inner Loop Header: Depth=1
	buffer_load_dword v128, v126, s[0:3], 0 offen
	buffer_load_dword v129, v126, s[0:3], 0 offen offset:4
	ds_read_b64 v[130:131], v125
	v_add_u32_e32 v127, 1, v127
	v_cmp_lt_u32_e32 vcc, 8, v127
	v_add_u32_e32 v125, 8, v125
	s_or_b64 s[10:11], vcc, s[10:11]
	v_add_u32_e32 v126, 8, v126
	s_waitcnt vmcnt(0) lgkmcnt(0)
	v_fma_f64 v[121:122], v[128:129], v[130:131], v[121:122]
	s_andn2_b64 exec, exec, s[10:11]
	s_cbranch_execnz .LBB59_675
; %bb.676:
	s_or_b64 exec, exec, s[10:11]
.LBB59_677:
	s_or_b64 exec, exec, s[8:9]
	v_mov_b32_e32 v125, 0
	ds_read_b64 v[125:126], v125 offset:80
	s_waitcnt lgkmcnt(0)
	v_mul_f64 v[121:122], v[121:122], v[125:126]
	buffer_store_dword v122, off, s[0:3], 0 offset:84
	buffer_store_dword v121, off, s[0:3], 0 offset:80
.LBB59_678:
	s_or_b64 exec, exec, s[6:7]
	buffer_load_dword v121, off, s[0:3], 0 offset:88
	buffer_load_dword v122, off, s[0:3], 0 offset:92
	v_cmp_gt_u32_e32 vcc, 11, v0
	s_waitcnt vmcnt(0)
	ds_write_b64 v123, v[121:122]
	s_waitcnt lgkmcnt(0)
	; wave barrier
	s_and_saveexec_b64 s[6:7], vcc
	s_cbranch_execz .LBB59_688
; %bb.679:
	s_and_b64 vcc, exec, s[4:5]
	s_cbranch_vccnz .LBB59_681
; %bb.680:
	buffer_load_dword v121, v124, s[0:3], 0 offen
	buffer_load_dword v122, v124, s[0:3], 0 offen offset:4
	ds_read_b64 v[125:126], v123
	s_waitcnt vmcnt(0) lgkmcnt(0)
	v_mul_f64 v[121:122], v[121:122], v[125:126]
	s_cbranch_execz .LBB59_682
	s_branch .LBB59_683
.LBB59_681:
                                        ; implicit-def: $vgpr121_vgpr122
.LBB59_682:
	ds_read_b64 v[121:122], v123
.LBB59_683:
	v_cmp_ne_u32_e32 vcc, 10, v0
	s_and_saveexec_b64 s[8:9], vcc
	s_cbranch_execz .LBB59_687
; %bb.684:
	s_mov_b32 s10, 0
	v_add_u32_e32 v125, 0x1e8, v132
	v_add3_u32 v126, v132, s10, 8
	s_mov_b64 s[10:11], 0
	v_mov_b32_e32 v127, v0
.LBB59_685:                             ; =>This Inner Loop Header: Depth=1
	buffer_load_dword v128, v126, s[0:3], 0 offen
	buffer_load_dword v129, v126, s[0:3], 0 offen offset:4
	ds_read_b64 v[130:131], v125
	v_add_u32_e32 v127, 1, v127
	v_cmp_lt_u32_e32 vcc, 9, v127
	v_add_u32_e32 v125, 8, v125
	s_or_b64 s[10:11], vcc, s[10:11]
	v_add_u32_e32 v126, 8, v126
	s_waitcnt vmcnt(0) lgkmcnt(0)
	v_fma_f64 v[121:122], v[128:129], v[130:131], v[121:122]
	s_andn2_b64 exec, exec, s[10:11]
	s_cbranch_execnz .LBB59_685
; %bb.686:
	s_or_b64 exec, exec, s[10:11]
.LBB59_687:
	s_or_b64 exec, exec, s[8:9]
	v_mov_b32_e32 v125, 0
	ds_read_b64 v[125:126], v125 offset:88
	s_waitcnt lgkmcnt(0)
	v_mul_f64 v[121:122], v[121:122], v[125:126]
	buffer_store_dword v122, off, s[0:3], 0 offset:92
	buffer_store_dword v121, off, s[0:3], 0 offset:88
.LBB59_688:
	s_or_b64 exec, exec, s[6:7]
	buffer_load_dword v121, off, s[0:3], 0 offset:96
	buffer_load_dword v122, off, s[0:3], 0 offset:100
	v_cmp_gt_u32_e32 vcc, 12, v0
	s_waitcnt vmcnt(0)
	ds_write_b64 v123, v[121:122]
	s_waitcnt lgkmcnt(0)
	; wave barrier
	s_and_saveexec_b64 s[6:7], vcc
	s_cbranch_execz .LBB59_698
; %bb.689:
	s_and_b64 vcc, exec, s[4:5]
	s_cbranch_vccnz .LBB59_691
; %bb.690:
	buffer_load_dword v121, v124, s[0:3], 0 offen
	buffer_load_dword v122, v124, s[0:3], 0 offen offset:4
	ds_read_b64 v[125:126], v123
	s_waitcnt vmcnt(0) lgkmcnt(0)
	v_mul_f64 v[121:122], v[121:122], v[125:126]
	s_cbranch_execz .LBB59_692
	s_branch .LBB59_693
.LBB59_691:
                                        ; implicit-def: $vgpr121_vgpr122
.LBB59_692:
	ds_read_b64 v[121:122], v123
.LBB59_693:
	v_cmp_ne_u32_e32 vcc, 11, v0
	s_and_saveexec_b64 s[8:9], vcc
	s_cbranch_execz .LBB59_697
; %bb.694:
	s_mov_b32 s10, 0
	v_add_u32_e32 v125, 0x1e8, v132
	v_add3_u32 v126, v132, s10, 8
	s_mov_b64 s[10:11], 0
	v_mov_b32_e32 v127, v0
.LBB59_695:                             ; =>This Inner Loop Header: Depth=1
	buffer_load_dword v128, v126, s[0:3], 0 offen
	buffer_load_dword v129, v126, s[0:3], 0 offen offset:4
	ds_read_b64 v[130:131], v125
	v_add_u32_e32 v127, 1, v127
	v_cmp_lt_u32_e32 vcc, 10, v127
	v_add_u32_e32 v125, 8, v125
	s_or_b64 s[10:11], vcc, s[10:11]
	v_add_u32_e32 v126, 8, v126
	s_waitcnt vmcnt(0) lgkmcnt(0)
	v_fma_f64 v[121:122], v[128:129], v[130:131], v[121:122]
	s_andn2_b64 exec, exec, s[10:11]
	s_cbranch_execnz .LBB59_695
; %bb.696:
	s_or_b64 exec, exec, s[10:11]
.LBB59_697:
	s_or_b64 exec, exec, s[8:9]
	v_mov_b32_e32 v125, 0
	ds_read_b64 v[125:126], v125 offset:96
	s_waitcnt lgkmcnt(0)
	v_mul_f64 v[121:122], v[121:122], v[125:126]
	buffer_store_dword v122, off, s[0:3], 0 offset:100
	buffer_store_dword v121, off, s[0:3], 0 offset:96
.LBB59_698:
	s_or_b64 exec, exec, s[6:7]
	buffer_load_dword v121, off, s[0:3], 0 offset:104
	buffer_load_dword v122, off, s[0:3], 0 offset:108
	v_cmp_gt_u32_e32 vcc, 13, v0
	s_waitcnt vmcnt(0)
	ds_write_b64 v123, v[121:122]
	s_waitcnt lgkmcnt(0)
	; wave barrier
	s_and_saveexec_b64 s[6:7], vcc
	s_cbranch_execz .LBB59_708
; %bb.699:
	s_and_b64 vcc, exec, s[4:5]
	s_cbranch_vccnz .LBB59_701
; %bb.700:
	buffer_load_dword v121, v124, s[0:3], 0 offen
	buffer_load_dword v122, v124, s[0:3], 0 offen offset:4
	ds_read_b64 v[125:126], v123
	s_waitcnt vmcnt(0) lgkmcnt(0)
	v_mul_f64 v[121:122], v[121:122], v[125:126]
	s_cbranch_execz .LBB59_702
	s_branch .LBB59_703
.LBB59_701:
                                        ; implicit-def: $vgpr121_vgpr122
.LBB59_702:
	ds_read_b64 v[121:122], v123
.LBB59_703:
	v_cmp_ne_u32_e32 vcc, 12, v0
	s_and_saveexec_b64 s[8:9], vcc
	s_cbranch_execz .LBB59_707
; %bb.704:
	s_mov_b32 s10, 0
	v_add_u32_e32 v125, 0x1e8, v132
	v_add3_u32 v126, v132, s10, 8
	s_mov_b64 s[10:11], 0
	v_mov_b32_e32 v127, v0
.LBB59_705:                             ; =>This Inner Loop Header: Depth=1
	buffer_load_dword v128, v126, s[0:3], 0 offen
	buffer_load_dword v129, v126, s[0:3], 0 offen offset:4
	ds_read_b64 v[130:131], v125
	v_add_u32_e32 v127, 1, v127
	v_cmp_lt_u32_e32 vcc, 11, v127
	v_add_u32_e32 v125, 8, v125
	s_or_b64 s[10:11], vcc, s[10:11]
	v_add_u32_e32 v126, 8, v126
	s_waitcnt vmcnt(0) lgkmcnt(0)
	v_fma_f64 v[121:122], v[128:129], v[130:131], v[121:122]
	s_andn2_b64 exec, exec, s[10:11]
	s_cbranch_execnz .LBB59_705
; %bb.706:
	s_or_b64 exec, exec, s[10:11]
.LBB59_707:
	s_or_b64 exec, exec, s[8:9]
	v_mov_b32_e32 v125, 0
	ds_read_b64 v[125:126], v125 offset:104
	s_waitcnt lgkmcnt(0)
	v_mul_f64 v[121:122], v[121:122], v[125:126]
	buffer_store_dword v122, off, s[0:3], 0 offset:108
	buffer_store_dword v121, off, s[0:3], 0 offset:104
.LBB59_708:
	s_or_b64 exec, exec, s[6:7]
	buffer_load_dword v121, off, s[0:3], 0 offset:112
	buffer_load_dword v122, off, s[0:3], 0 offset:116
	v_cmp_gt_u32_e32 vcc, 14, v0
	s_waitcnt vmcnt(0)
	ds_write_b64 v123, v[121:122]
	s_waitcnt lgkmcnt(0)
	; wave barrier
	s_and_saveexec_b64 s[6:7], vcc
	s_cbranch_execz .LBB59_718
; %bb.709:
	s_and_b64 vcc, exec, s[4:5]
	s_cbranch_vccnz .LBB59_711
; %bb.710:
	buffer_load_dword v121, v124, s[0:3], 0 offen
	buffer_load_dword v122, v124, s[0:3], 0 offen offset:4
	ds_read_b64 v[125:126], v123
	s_waitcnt vmcnt(0) lgkmcnt(0)
	v_mul_f64 v[121:122], v[121:122], v[125:126]
	s_cbranch_execz .LBB59_712
	s_branch .LBB59_713
.LBB59_711:
                                        ; implicit-def: $vgpr121_vgpr122
.LBB59_712:
	ds_read_b64 v[121:122], v123
.LBB59_713:
	v_cmp_ne_u32_e32 vcc, 13, v0
	s_and_saveexec_b64 s[8:9], vcc
	s_cbranch_execz .LBB59_717
; %bb.714:
	s_mov_b32 s10, 0
	v_add_u32_e32 v125, 0x1e8, v132
	v_add3_u32 v126, v132, s10, 8
	s_mov_b64 s[10:11], 0
	v_mov_b32_e32 v127, v0
.LBB59_715:                             ; =>This Inner Loop Header: Depth=1
	buffer_load_dword v128, v126, s[0:3], 0 offen
	buffer_load_dword v129, v126, s[0:3], 0 offen offset:4
	ds_read_b64 v[130:131], v125
	v_add_u32_e32 v127, 1, v127
	v_cmp_lt_u32_e32 vcc, 12, v127
	v_add_u32_e32 v125, 8, v125
	s_or_b64 s[10:11], vcc, s[10:11]
	v_add_u32_e32 v126, 8, v126
	s_waitcnt vmcnt(0) lgkmcnt(0)
	v_fma_f64 v[121:122], v[128:129], v[130:131], v[121:122]
	s_andn2_b64 exec, exec, s[10:11]
	s_cbranch_execnz .LBB59_715
; %bb.716:
	s_or_b64 exec, exec, s[10:11]
.LBB59_717:
	s_or_b64 exec, exec, s[8:9]
	v_mov_b32_e32 v125, 0
	ds_read_b64 v[125:126], v125 offset:112
	s_waitcnt lgkmcnt(0)
	v_mul_f64 v[121:122], v[121:122], v[125:126]
	buffer_store_dword v122, off, s[0:3], 0 offset:116
	buffer_store_dword v121, off, s[0:3], 0 offset:112
.LBB59_718:
	s_or_b64 exec, exec, s[6:7]
	buffer_load_dword v121, off, s[0:3], 0 offset:120
	buffer_load_dword v122, off, s[0:3], 0 offset:124
	v_cmp_gt_u32_e32 vcc, 15, v0
	s_waitcnt vmcnt(0)
	ds_write_b64 v123, v[121:122]
	s_waitcnt lgkmcnt(0)
	; wave barrier
	s_and_saveexec_b64 s[6:7], vcc
	s_cbranch_execz .LBB59_728
; %bb.719:
	s_and_b64 vcc, exec, s[4:5]
	s_cbranch_vccnz .LBB59_721
; %bb.720:
	buffer_load_dword v121, v124, s[0:3], 0 offen
	buffer_load_dword v122, v124, s[0:3], 0 offen offset:4
	ds_read_b64 v[125:126], v123
	s_waitcnt vmcnt(0) lgkmcnt(0)
	v_mul_f64 v[121:122], v[121:122], v[125:126]
	s_cbranch_execz .LBB59_722
	s_branch .LBB59_723
.LBB59_721:
                                        ; implicit-def: $vgpr121_vgpr122
.LBB59_722:
	ds_read_b64 v[121:122], v123
.LBB59_723:
	v_cmp_ne_u32_e32 vcc, 14, v0
	s_and_saveexec_b64 s[8:9], vcc
	s_cbranch_execz .LBB59_727
; %bb.724:
	s_mov_b32 s10, 0
	v_add_u32_e32 v125, 0x1e8, v132
	v_add3_u32 v126, v132, s10, 8
	s_mov_b64 s[10:11], 0
	v_mov_b32_e32 v127, v0
.LBB59_725:                             ; =>This Inner Loop Header: Depth=1
	buffer_load_dword v128, v126, s[0:3], 0 offen
	buffer_load_dword v129, v126, s[0:3], 0 offen offset:4
	ds_read_b64 v[130:131], v125
	v_add_u32_e32 v127, 1, v127
	v_cmp_lt_u32_e32 vcc, 13, v127
	v_add_u32_e32 v125, 8, v125
	s_or_b64 s[10:11], vcc, s[10:11]
	v_add_u32_e32 v126, 8, v126
	s_waitcnt vmcnt(0) lgkmcnt(0)
	v_fma_f64 v[121:122], v[128:129], v[130:131], v[121:122]
	s_andn2_b64 exec, exec, s[10:11]
	s_cbranch_execnz .LBB59_725
; %bb.726:
	s_or_b64 exec, exec, s[10:11]
.LBB59_727:
	s_or_b64 exec, exec, s[8:9]
	v_mov_b32_e32 v125, 0
	ds_read_b64 v[125:126], v125 offset:120
	s_waitcnt lgkmcnt(0)
	v_mul_f64 v[121:122], v[121:122], v[125:126]
	buffer_store_dword v122, off, s[0:3], 0 offset:124
	buffer_store_dword v121, off, s[0:3], 0 offset:120
.LBB59_728:
	s_or_b64 exec, exec, s[6:7]
	buffer_load_dword v121, off, s[0:3], 0 offset:128
	buffer_load_dword v122, off, s[0:3], 0 offset:132
	v_cmp_gt_u32_e32 vcc, 16, v0
	s_waitcnt vmcnt(0)
	ds_write_b64 v123, v[121:122]
	s_waitcnt lgkmcnt(0)
	; wave barrier
	s_and_saveexec_b64 s[6:7], vcc
	s_cbranch_execz .LBB59_738
; %bb.729:
	s_and_b64 vcc, exec, s[4:5]
	s_cbranch_vccnz .LBB59_731
; %bb.730:
	buffer_load_dword v121, v124, s[0:3], 0 offen
	buffer_load_dword v122, v124, s[0:3], 0 offen offset:4
	ds_read_b64 v[125:126], v123
	s_waitcnt vmcnt(0) lgkmcnt(0)
	v_mul_f64 v[121:122], v[121:122], v[125:126]
	s_cbranch_execz .LBB59_732
	s_branch .LBB59_733
.LBB59_731:
                                        ; implicit-def: $vgpr121_vgpr122
.LBB59_732:
	ds_read_b64 v[121:122], v123
.LBB59_733:
	v_cmp_ne_u32_e32 vcc, 15, v0
	s_and_saveexec_b64 s[8:9], vcc
	s_cbranch_execz .LBB59_737
; %bb.734:
	s_mov_b32 s10, 0
	v_add_u32_e32 v125, 0x1e8, v132
	v_add3_u32 v126, v132, s10, 8
	s_mov_b64 s[10:11], 0
	v_mov_b32_e32 v127, v0
.LBB59_735:                             ; =>This Inner Loop Header: Depth=1
	buffer_load_dword v128, v126, s[0:3], 0 offen
	buffer_load_dword v129, v126, s[0:3], 0 offen offset:4
	ds_read_b64 v[130:131], v125
	v_add_u32_e32 v127, 1, v127
	v_cmp_lt_u32_e32 vcc, 14, v127
	v_add_u32_e32 v125, 8, v125
	s_or_b64 s[10:11], vcc, s[10:11]
	v_add_u32_e32 v126, 8, v126
	s_waitcnt vmcnt(0) lgkmcnt(0)
	v_fma_f64 v[121:122], v[128:129], v[130:131], v[121:122]
	s_andn2_b64 exec, exec, s[10:11]
	s_cbranch_execnz .LBB59_735
; %bb.736:
	s_or_b64 exec, exec, s[10:11]
.LBB59_737:
	s_or_b64 exec, exec, s[8:9]
	v_mov_b32_e32 v125, 0
	ds_read_b64 v[125:126], v125 offset:128
	s_waitcnt lgkmcnt(0)
	v_mul_f64 v[121:122], v[121:122], v[125:126]
	buffer_store_dword v122, off, s[0:3], 0 offset:132
	buffer_store_dword v121, off, s[0:3], 0 offset:128
.LBB59_738:
	s_or_b64 exec, exec, s[6:7]
	buffer_load_dword v121, off, s[0:3], 0 offset:136
	buffer_load_dword v122, off, s[0:3], 0 offset:140
	v_cmp_gt_u32_e32 vcc, 17, v0
	s_waitcnt vmcnt(0)
	ds_write_b64 v123, v[121:122]
	s_waitcnt lgkmcnt(0)
	; wave barrier
	s_and_saveexec_b64 s[6:7], vcc
	s_cbranch_execz .LBB59_748
; %bb.739:
	s_and_b64 vcc, exec, s[4:5]
	s_cbranch_vccnz .LBB59_741
; %bb.740:
	buffer_load_dword v121, v124, s[0:3], 0 offen
	buffer_load_dword v122, v124, s[0:3], 0 offen offset:4
	ds_read_b64 v[125:126], v123
	s_waitcnt vmcnt(0) lgkmcnt(0)
	v_mul_f64 v[121:122], v[121:122], v[125:126]
	s_cbranch_execz .LBB59_742
	s_branch .LBB59_743
.LBB59_741:
                                        ; implicit-def: $vgpr121_vgpr122
.LBB59_742:
	ds_read_b64 v[121:122], v123
.LBB59_743:
	v_cmp_ne_u32_e32 vcc, 16, v0
	s_and_saveexec_b64 s[8:9], vcc
	s_cbranch_execz .LBB59_747
; %bb.744:
	s_mov_b32 s10, 0
	v_add_u32_e32 v125, 0x1e8, v132
	v_add3_u32 v126, v132, s10, 8
	s_mov_b64 s[10:11], 0
	v_mov_b32_e32 v127, v0
.LBB59_745:                             ; =>This Inner Loop Header: Depth=1
	buffer_load_dword v128, v126, s[0:3], 0 offen
	buffer_load_dword v129, v126, s[0:3], 0 offen offset:4
	ds_read_b64 v[130:131], v125
	v_add_u32_e32 v127, 1, v127
	v_cmp_lt_u32_e32 vcc, 15, v127
	v_add_u32_e32 v125, 8, v125
	s_or_b64 s[10:11], vcc, s[10:11]
	v_add_u32_e32 v126, 8, v126
	s_waitcnt vmcnt(0) lgkmcnt(0)
	v_fma_f64 v[121:122], v[128:129], v[130:131], v[121:122]
	s_andn2_b64 exec, exec, s[10:11]
	s_cbranch_execnz .LBB59_745
; %bb.746:
	s_or_b64 exec, exec, s[10:11]
.LBB59_747:
	s_or_b64 exec, exec, s[8:9]
	v_mov_b32_e32 v125, 0
	ds_read_b64 v[125:126], v125 offset:136
	s_waitcnt lgkmcnt(0)
	v_mul_f64 v[121:122], v[121:122], v[125:126]
	buffer_store_dword v122, off, s[0:3], 0 offset:140
	buffer_store_dword v121, off, s[0:3], 0 offset:136
.LBB59_748:
	s_or_b64 exec, exec, s[6:7]
	buffer_load_dword v121, off, s[0:3], 0 offset:144
	buffer_load_dword v122, off, s[0:3], 0 offset:148
	v_cmp_gt_u32_e32 vcc, 18, v0
	s_waitcnt vmcnt(0)
	ds_write_b64 v123, v[121:122]
	s_waitcnt lgkmcnt(0)
	; wave barrier
	s_and_saveexec_b64 s[6:7], vcc
	s_cbranch_execz .LBB59_758
; %bb.749:
	s_and_b64 vcc, exec, s[4:5]
	s_cbranch_vccnz .LBB59_751
; %bb.750:
	buffer_load_dword v121, v124, s[0:3], 0 offen
	buffer_load_dword v122, v124, s[0:3], 0 offen offset:4
	ds_read_b64 v[125:126], v123
	s_waitcnt vmcnt(0) lgkmcnt(0)
	v_mul_f64 v[121:122], v[121:122], v[125:126]
	s_cbranch_execz .LBB59_752
	s_branch .LBB59_753
.LBB59_751:
                                        ; implicit-def: $vgpr121_vgpr122
.LBB59_752:
	ds_read_b64 v[121:122], v123
.LBB59_753:
	v_cmp_ne_u32_e32 vcc, 17, v0
	s_and_saveexec_b64 s[8:9], vcc
	s_cbranch_execz .LBB59_757
; %bb.754:
	s_mov_b32 s10, 0
	v_add_u32_e32 v125, 0x1e8, v132
	v_add3_u32 v126, v132, s10, 8
	s_mov_b64 s[10:11], 0
	v_mov_b32_e32 v127, v0
.LBB59_755:                             ; =>This Inner Loop Header: Depth=1
	buffer_load_dword v128, v126, s[0:3], 0 offen
	buffer_load_dword v129, v126, s[0:3], 0 offen offset:4
	ds_read_b64 v[130:131], v125
	v_add_u32_e32 v127, 1, v127
	v_cmp_lt_u32_e32 vcc, 16, v127
	v_add_u32_e32 v125, 8, v125
	s_or_b64 s[10:11], vcc, s[10:11]
	v_add_u32_e32 v126, 8, v126
	s_waitcnt vmcnt(0) lgkmcnt(0)
	v_fma_f64 v[121:122], v[128:129], v[130:131], v[121:122]
	s_andn2_b64 exec, exec, s[10:11]
	s_cbranch_execnz .LBB59_755
; %bb.756:
	s_or_b64 exec, exec, s[10:11]
.LBB59_757:
	s_or_b64 exec, exec, s[8:9]
	v_mov_b32_e32 v125, 0
	ds_read_b64 v[125:126], v125 offset:144
	s_waitcnt lgkmcnt(0)
	v_mul_f64 v[121:122], v[121:122], v[125:126]
	buffer_store_dword v122, off, s[0:3], 0 offset:148
	buffer_store_dword v121, off, s[0:3], 0 offset:144
.LBB59_758:
	s_or_b64 exec, exec, s[6:7]
	buffer_load_dword v121, off, s[0:3], 0 offset:152
	buffer_load_dword v122, off, s[0:3], 0 offset:156
	v_cmp_gt_u32_e32 vcc, 19, v0
	s_waitcnt vmcnt(0)
	ds_write_b64 v123, v[121:122]
	s_waitcnt lgkmcnt(0)
	; wave barrier
	s_and_saveexec_b64 s[6:7], vcc
	s_cbranch_execz .LBB59_768
; %bb.759:
	s_and_b64 vcc, exec, s[4:5]
	s_cbranch_vccnz .LBB59_761
; %bb.760:
	buffer_load_dword v121, v124, s[0:3], 0 offen
	buffer_load_dword v122, v124, s[0:3], 0 offen offset:4
	ds_read_b64 v[125:126], v123
	s_waitcnt vmcnt(0) lgkmcnt(0)
	v_mul_f64 v[121:122], v[121:122], v[125:126]
	s_cbranch_execz .LBB59_762
	s_branch .LBB59_763
.LBB59_761:
                                        ; implicit-def: $vgpr121_vgpr122
.LBB59_762:
	ds_read_b64 v[121:122], v123
.LBB59_763:
	v_cmp_ne_u32_e32 vcc, 18, v0
	s_and_saveexec_b64 s[8:9], vcc
	s_cbranch_execz .LBB59_767
; %bb.764:
	s_mov_b32 s10, 0
	v_add_u32_e32 v125, 0x1e8, v132
	v_add3_u32 v126, v132, s10, 8
	s_mov_b64 s[10:11], 0
	v_mov_b32_e32 v127, v0
.LBB59_765:                             ; =>This Inner Loop Header: Depth=1
	buffer_load_dword v128, v126, s[0:3], 0 offen
	buffer_load_dword v129, v126, s[0:3], 0 offen offset:4
	ds_read_b64 v[130:131], v125
	v_add_u32_e32 v127, 1, v127
	v_cmp_lt_u32_e32 vcc, 17, v127
	v_add_u32_e32 v125, 8, v125
	s_or_b64 s[10:11], vcc, s[10:11]
	v_add_u32_e32 v126, 8, v126
	s_waitcnt vmcnt(0) lgkmcnt(0)
	v_fma_f64 v[121:122], v[128:129], v[130:131], v[121:122]
	s_andn2_b64 exec, exec, s[10:11]
	s_cbranch_execnz .LBB59_765
; %bb.766:
	s_or_b64 exec, exec, s[10:11]
.LBB59_767:
	s_or_b64 exec, exec, s[8:9]
	v_mov_b32_e32 v125, 0
	ds_read_b64 v[125:126], v125 offset:152
	s_waitcnt lgkmcnt(0)
	v_mul_f64 v[121:122], v[121:122], v[125:126]
	buffer_store_dword v122, off, s[0:3], 0 offset:156
	buffer_store_dword v121, off, s[0:3], 0 offset:152
.LBB59_768:
	s_or_b64 exec, exec, s[6:7]
	buffer_load_dword v121, off, s[0:3], 0 offset:160
	buffer_load_dword v122, off, s[0:3], 0 offset:164
	v_cmp_gt_u32_e32 vcc, 20, v0
	s_waitcnt vmcnt(0)
	ds_write_b64 v123, v[121:122]
	s_waitcnt lgkmcnt(0)
	; wave barrier
	s_and_saveexec_b64 s[6:7], vcc
	s_cbranch_execz .LBB59_778
; %bb.769:
	s_and_b64 vcc, exec, s[4:5]
	s_cbranch_vccnz .LBB59_771
; %bb.770:
	buffer_load_dword v121, v124, s[0:3], 0 offen
	buffer_load_dword v122, v124, s[0:3], 0 offen offset:4
	ds_read_b64 v[125:126], v123
	s_waitcnt vmcnt(0) lgkmcnt(0)
	v_mul_f64 v[121:122], v[121:122], v[125:126]
	s_cbranch_execz .LBB59_772
	s_branch .LBB59_773
.LBB59_771:
                                        ; implicit-def: $vgpr121_vgpr122
.LBB59_772:
	ds_read_b64 v[121:122], v123
.LBB59_773:
	v_cmp_ne_u32_e32 vcc, 19, v0
	s_and_saveexec_b64 s[8:9], vcc
	s_cbranch_execz .LBB59_777
; %bb.774:
	s_mov_b32 s10, 0
	v_add_u32_e32 v125, 0x1e8, v132
	v_add3_u32 v126, v132, s10, 8
	s_mov_b64 s[10:11], 0
	v_mov_b32_e32 v127, v0
.LBB59_775:                             ; =>This Inner Loop Header: Depth=1
	buffer_load_dword v128, v126, s[0:3], 0 offen
	buffer_load_dword v129, v126, s[0:3], 0 offen offset:4
	ds_read_b64 v[130:131], v125
	v_add_u32_e32 v127, 1, v127
	v_cmp_lt_u32_e32 vcc, 18, v127
	v_add_u32_e32 v125, 8, v125
	s_or_b64 s[10:11], vcc, s[10:11]
	v_add_u32_e32 v126, 8, v126
	s_waitcnt vmcnt(0) lgkmcnt(0)
	v_fma_f64 v[121:122], v[128:129], v[130:131], v[121:122]
	s_andn2_b64 exec, exec, s[10:11]
	s_cbranch_execnz .LBB59_775
; %bb.776:
	s_or_b64 exec, exec, s[10:11]
.LBB59_777:
	s_or_b64 exec, exec, s[8:9]
	v_mov_b32_e32 v125, 0
	ds_read_b64 v[125:126], v125 offset:160
	s_waitcnt lgkmcnt(0)
	v_mul_f64 v[121:122], v[121:122], v[125:126]
	buffer_store_dword v122, off, s[0:3], 0 offset:164
	buffer_store_dword v121, off, s[0:3], 0 offset:160
.LBB59_778:
	s_or_b64 exec, exec, s[6:7]
	buffer_load_dword v121, off, s[0:3], 0 offset:168
	buffer_load_dword v122, off, s[0:3], 0 offset:172
	v_cmp_gt_u32_e32 vcc, 21, v0
	s_waitcnt vmcnt(0)
	ds_write_b64 v123, v[121:122]
	s_waitcnt lgkmcnt(0)
	; wave barrier
	s_and_saveexec_b64 s[6:7], vcc
	s_cbranch_execz .LBB59_788
; %bb.779:
	s_and_b64 vcc, exec, s[4:5]
	s_cbranch_vccnz .LBB59_781
; %bb.780:
	buffer_load_dword v121, v124, s[0:3], 0 offen
	buffer_load_dword v122, v124, s[0:3], 0 offen offset:4
	ds_read_b64 v[125:126], v123
	s_waitcnt vmcnt(0) lgkmcnt(0)
	v_mul_f64 v[121:122], v[121:122], v[125:126]
	s_cbranch_execz .LBB59_782
	s_branch .LBB59_783
.LBB59_781:
                                        ; implicit-def: $vgpr121_vgpr122
.LBB59_782:
	ds_read_b64 v[121:122], v123
.LBB59_783:
	v_cmp_ne_u32_e32 vcc, 20, v0
	s_and_saveexec_b64 s[8:9], vcc
	s_cbranch_execz .LBB59_787
; %bb.784:
	s_mov_b32 s10, 0
	v_add_u32_e32 v125, 0x1e8, v132
	v_add3_u32 v126, v132, s10, 8
	s_mov_b64 s[10:11], 0
	v_mov_b32_e32 v127, v0
.LBB59_785:                             ; =>This Inner Loop Header: Depth=1
	buffer_load_dword v128, v126, s[0:3], 0 offen
	buffer_load_dword v129, v126, s[0:3], 0 offen offset:4
	ds_read_b64 v[130:131], v125
	v_add_u32_e32 v127, 1, v127
	v_cmp_lt_u32_e32 vcc, 19, v127
	v_add_u32_e32 v125, 8, v125
	s_or_b64 s[10:11], vcc, s[10:11]
	v_add_u32_e32 v126, 8, v126
	s_waitcnt vmcnt(0) lgkmcnt(0)
	v_fma_f64 v[121:122], v[128:129], v[130:131], v[121:122]
	s_andn2_b64 exec, exec, s[10:11]
	s_cbranch_execnz .LBB59_785
; %bb.786:
	s_or_b64 exec, exec, s[10:11]
.LBB59_787:
	s_or_b64 exec, exec, s[8:9]
	v_mov_b32_e32 v125, 0
	ds_read_b64 v[125:126], v125 offset:168
	s_waitcnt lgkmcnt(0)
	v_mul_f64 v[121:122], v[121:122], v[125:126]
	buffer_store_dword v122, off, s[0:3], 0 offset:172
	buffer_store_dword v121, off, s[0:3], 0 offset:168
.LBB59_788:
	s_or_b64 exec, exec, s[6:7]
	buffer_load_dword v121, off, s[0:3], 0 offset:176
	buffer_load_dword v122, off, s[0:3], 0 offset:180
	v_cmp_gt_u32_e32 vcc, 22, v0
	s_waitcnt vmcnt(0)
	ds_write_b64 v123, v[121:122]
	s_waitcnt lgkmcnt(0)
	; wave barrier
	s_and_saveexec_b64 s[6:7], vcc
	s_cbranch_execz .LBB59_798
; %bb.789:
	s_and_b64 vcc, exec, s[4:5]
	s_cbranch_vccnz .LBB59_791
; %bb.790:
	buffer_load_dword v121, v124, s[0:3], 0 offen
	buffer_load_dword v122, v124, s[0:3], 0 offen offset:4
	ds_read_b64 v[125:126], v123
	s_waitcnt vmcnt(0) lgkmcnt(0)
	v_mul_f64 v[121:122], v[121:122], v[125:126]
	s_cbranch_execz .LBB59_792
	s_branch .LBB59_793
.LBB59_791:
                                        ; implicit-def: $vgpr121_vgpr122
.LBB59_792:
	ds_read_b64 v[121:122], v123
.LBB59_793:
	v_cmp_ne_u32_e32 vcc, 21, v0
	s_and_saveexec_b64 s[8:9], vcc
	s_cbranch_execz .LBB59_797
; %bb.794:
	s_mov_b32 s10, 0
	v_add_u32_e32 v125, 0x1e8, v132
	v_add3_u32 v126, v132, s10, 8
	s_mov_b64 s[10:11], 0
	v_mov_b32_e32 v127, v0
.LBB59_795:                             ; =>This Inner Loop Header: Depth=1
	buffer_load_dword v128, v126, s[0:3], 0 offen
	buffer_load_dword v129, v126, s[0:3], 0 offen offset:4
	ds_read_b64 v[130:131], v125
	v_add_u32_e32 v127, 1, v127
	v_cmp_lt_u32_e32 vcc, 20, v127
	v_add_u32_e32 v125, 8, v125
	s_or_b64 s[10:11], vcc, s[10:11]
	v_add_u32_e32 v126, 8, v126
	s_waitcnt vmcnt(0) lgkmcnt(0)
	v_fma_f64 v[121:122], v[128:129], v[130:131], v[121:122]
	s_andn2_b64 exec, exec, s[10:11]
	s_cbranch_execnz .LBB59_795
; %bb.796:
	s_or_b64 exec, exec, s[10:11]
.LBB59_797:
	s_or_b64 exec, exec, s[8:9]
	v_mov_b32_e32 v125, 0
	ds_read_b64 v[125:126], v125 offset:176
	s_waitcnt lgkmcnt(0)
	v_mul_f64 v[121:122], v[121:122], v[125:126]
	buffer_store_dword v122, off, s[0:3], 0 offset:180
	buffer_store_dword v121, off, s[0:3], 0 offset:176
.LBB59_798:
	s_or_b64 exec, exec, s[6:7]
	buffer_load_dword v121, off, s[0:3], 0 offset:184
	buffer_load_dword v122, off, s[0:3], 0 offset:188
	v_cmp_gt_u32_e32 vcc, 23, v0
	s_waitcnt vmcnt(0)
	ds_write_b64 v123, v[121:122]
	s_waitcnt lgkmcnt(0)
	; wave barrier
	s_and_saveexec_b64 s[6:7], vcc
	s_cbranch_execz .LBB59_808
; %bb.799:
	s_and_b64 vcc, exec, s[4:5]
	s_cbranch_vccnz .LBB59_801
; %bb.800:
	buffer_load_dword v121, v124, s[0:3], 0 offen
	buffer_load_dword v122, v124, s[0:3], 0 offen offset:4
	ds_read_b64 v[125:126], v123
	s_waitcnt vmcnt(0) lgkmcnt(0)
	v_mul_f64 v[121:122], v[121:122], v[125:126]
	s_cbranch_execz .LBB59_802
	s_branch .LBB59_803
.LBB59_801:
                                        ; implicit-def: $vgpr121_vgpr122
.LBB59_802:
	ds_read_b64 v[121:122], v123
.LBB59_803:
	v_cmp_ne_u32_e32 vcc, 22, v0
	s_and_saveexec_b64 s[8:9], vcc
	s_cbranch_execz .LBB59_807
; %bb.804:
	s_mov_b32 s10, 0
	v_add_u32_e32 v125, 0x1e8, v132
	v_add3_u32 v126, v132, s10, 8
	s_mov_b64 s[10:11], 0
	v_mov_b32_e32 v127, v0
.LBB59_805:                             ; =>This Inner Loop Header: Depth=1
	buffer_load_dword v128, v126, s[0:3], 0 offen
	buffer_load_dword v129, v126, s[0:3], 0 offen offset:4
	ds_read_b64 v[130:131], v125
	v_add_u32_e32 v127, 1, v127
	v_cmp_lt_u32_e32 vcc, 21, v127
	v_add_u32_e32 v125, 8, v125
	s_or_b64 s[10:11], vcc, s[10:11]
	v_add_u32_e32 v126, 8, v126
	s_waitcnt vmcnt(0) lgkmcnt(0)
	v_fma_f64 v[121:122], v[128:129], v[130:131], v[121:122]
	s_andn2_b64 exec, exec, s[10:11]
	s_cbranch_execnz .LBB59_805
; %bb.806:
	s_or_b64 exec, exec, s[10:11]
.LBB59_807:
	s_or_b64 exec, exec, s[8:9]
	v_mov_b32_e32 v125, 0
	ds_read_b64 v[125:126], v125 offset:184
	s_waitcnt lgkmcnt(0)
	v_mul_f64 v[121:122], v[121:122], v[125:126]
	buffer_store_dword v122, off, s[0:3], 0 offset:188
	buffer_store_dword v121, off, s[0:3], 0 offset:184
.LBB59_808:
	s_or_b64 exec, exec, s[6:7]
	buffer_load_dword v121, off, s[0:3], 0 offset:192
	buffer_load_dword v122, off, s[0:3], 0 offset:196
	v_cmp_gt_u32_e32 vcc, 24, v0
	s_waitcnt vmcnt(0)
	ds_write_b64 v123, v[121:122]
	s_waitcnt lgkmcnt(0)
	; wave barrier
	s_and_saveexec_b64 s[6:7], vcc
	s_cbranch_execz .LBB59_818
; %bb.809:
	s_and_b64 vcc, exec, s[4:5]
	s_cbranch_vccnz .LBB59_811
; %bb.810:
	buffer_load_dword v121, v124, s[0:3], 0 offen
	buffer_load_dword v122, v124, s[0:3], 0 offen offset:4
	ds_read_b64 v[125:126], v123
	s_waitcnt vmcnt(0) lgkmcnt(0)
	v_mul_f64 v[121:122], v[121:122], v[125:126]
	s_cbranch_execz .LBB59_812
	s_branch .LBB59_813
.LBB59_811:
                                        ; implicit-def: $vgpr121_vgpr122
.LBB59_812:
	ds_read_b64 v[121:122], v123
.LBB59_813:
	v_cmp_ne_u32_e32 vcc, 23, v0
	s_and_saveexec_b64 s[8:9], vcc
	s_cbranch_execz .LBB59_817
; %bb.814:
	s_mov_b32 s10, 0
	v_add_u32_e32 v125, 0x1e8, v132
	v_add3_u32 v126, v132, s10, 8
	s_mov_b64 s[10:11], 0
	v_mov_b32_e32 v127, v0
.LBB59_815:                             ; =>This Inner Loop Header: Depth=1
	buffer_load_dword v128, v126, s[0:3], 0 offen
	buffer_load_dword v129, v126, s[0:3], 0 offen offset:4
	ds_read_b64 v[130:131], v125
	v_add_u32_e32 v127, 1, v127
	v_cmp_lt_u32_e32 vcc, 22, v127
	v_add_u32_e32 v125, 8, v125
	s_or_b64 s[10:11], vcc, s[10:11]
	v_add_u32_e32 v126, 8, v126
	s_waitcnt vmcnt(0) lgkmcnt(0)
	v_fma_f64 v[121:122], v[128:129], v[130:131], v[121:122]
	s_andn2_b64 exec, exec, s[10:11]
	s_cbranch_execnz .LBB59_815
; %bb.816:
	s_or_b64 exec, exec, s[10:11]
.LBB59_817:
	s_or_b64 exec, exec, s[8:9]
	v_mov_b32_e32 v125, 0
	ds_read_b64 v[125:126], v125 offset:192
	s_waitcnt lgkmcnt(0)
	v_mul_f64 v[121:122], v[121:122], v[125:126]
	buffer_store_dword v122, off, s[0:3], 0 offset:196
	buffer_store_dword v121, off, s[0:3], 0 offset:192
.LBB59_818:
	s_or_b64 exec, exec, s[6:7]
	buffer_load_dword v121, off, s[0:3], 0 offset:200
	buffer_load_dword v122, off, s[0:3], 0 offset:204
	v_cmp_gt_u32_e32 vcc, 25, v0
	s_waitcnt vmcnt(0)
	ds_write_b64 v123, v[121:122]
	s_waitcnt lgkmcnt(0)
	; wave barrier
	s_and_saveexec_b64 s[6:7], vcc
	s_cbranch_execz .LBB59_828
; %bb.819:
	s_and_b64 vcc, exec, s[4:5]
	s_cbranch_vccnz .LBB59_821
; %bb.820:
	buffer_load_dword v121, v124, s[0:3], 0 offen
	buffer_load_dword v122, v124, s[0:3], 0 offen offset:4
	ds_read_b64 v[125:126], v123
	s_waitcnt vmcnt(0) lgkmcnt(0)
	v_mul_f64 v[121:122], v[121:122], v[125:126]
	s_cbranch_execz .LBB59_822
	s_branch .LBB59_823
.LBB59_821:
                                        ; implicit-def: $vgpr121_vgpr122
.LBB59_822:
	ds_read_b64 v[121:122], v123
.LBB59_823:
	v_cmp_ne_u32_e32 vcc, 24, v0
	s_and_saveexec_b64 s[8:9], vcc
	s_cbranch_execz .LBB59_827
; %bb.824:
	s_mov_b32 s10, 0
	v_add_u32_e32 v125, 0x1e8, v132
	v_add3_u32 v126, v132, s10, 8
	s_mov_b64 s[10:11], 0
	v_mov_b32_e32 v127, v0
.LBB59_825:                             ; =>This Inner Loop Header: Depth=1
	buffer_load_dword v128, v126, s[0:3], 0 offen
	buffer_load_dword v129, v126, s[0:3], 0 offen offset:4
	ds_read_b64 v[130:131], v125
	v_add_u32_e32 v127, 1, v127
	v_cmp_lt_u32_e32 vcc, 23, v127
	v_add_u32_e32 v125, 8, v125
	s_or_b64 s[10:11], vcc, s[10:11]
	v_add_u32_e32 v126, 8, v126
	s_waitcnt vmcnt(0) lgkmcnt(0)
	v_fma_f64 v[121:122], v[128:129], v[130:131], v[121:122]
	s_andn2_b64 exec, exec, s[10:11]
	s_cbranch_execnz .LBB59_825
; %bb.826:
	s_or_b64 exec, exec, s[10:11]
.LBB59_827:
	s_or_b64 exec, exec, s[8:9]
	v_mov_b32_e32 v125, 0
	ds_read_b64 v[125:126], v125 offset:200
	s_waitcnt lgkmcnt(0)
	v_mul_f64 v[121:122], v[121:122], v[125:126]
	buffer_store_dword v122, off, s[0:3], 0 offset:204
	buffer_store_dword v121, off, s[0:3], 0 offset:200
.LBB59_828:
	s_or_b64 exec, exec, s[6:7]
	buffer_load_dword v121, off, s[0:3], 0 offset:208
	buffer_load_dword v122, off, s[0:3], 0 offset:212
	v_cmp_gt_u32_e32 vcc, 26, v0
	s_waitcnt vmcnt(0)
	ds_write_b64 v123, v[121:122]
	s_waitcnt lgkmcnt(0)
	; wave barrier
	s_and_saveexec_b64 s[6:7], vcc
	s_cbranch_execz .LBB59_838
; %bb.829:
	s_and_b64 vcc, exec, s[4:5]
	s_cbranch_vccnz .LBB59_831
; %bb.830:
	buffer_load_dword v121, v124, s[0:3], 0 offen
	buffer_load_dword v122, v124, s[0:3], 0 offen offset:4
	ds_read_b64 v[125:126], v123
	s_waitcnt vmcnt(0) lgkmcnt(0)
	v_mul_f64 v[121:122], v[121:122], v[125:126]
	s_cbranch_execz .LBB59_832
	s_branch .LBB59_833
.LBB59_831:
                                        ; implicit-def: $vgpr121_vgpr122
.LBB59_832:
	ds_read_b64 v[121:122], v123
.LBB59_833:
	v_cmp_ne_u32_e32 vcc, 25, v0
	s_and_saveexec_b64 s[8:9], vcc
	s_cbranch_execz .LBB59_837
; %bb.834:
	s_mov_b32 s10, 0
	v_add_u32_e32 v125, 0x1e8, v132
	v_add3_u32 v126, v132, s10, 8
	s_mov_b64 s[10:11], 0
	v_mov_b32_e32 v127, v0
.LBB59_835:                             ; =>This Inner Loop Header: Depth=1
	buffer_load_dword v128, v126, s[0:3], 0 offen
	buffer_load_dword v129, v126, s[0:3], 0 offen offset:4
	ds_read_b64 v[130:131], v125
	v_add_u32_e32 v127, 1, v127
	v_cmp_lt_u32_e32 vcc, 24, v127
	v_add_u32_e32 v125, 8, v125
	s_or_b64 s[10:11], vcc, s[10:11]
	v_add_u32_e32 v126, 8, v126
	s_waitcnt vmcnt(0) lgkmcnt(0)
	v_fma_f64 v[121:122], v[128:129], v[130:131], v[121:122]
	s_andn2_b64 exec, exec, s[10:11]
	s_cbranch_execnz .LBB59_835
; %bb.836:
	s_or_b64 exec, exec, s[10:11]
.LBB59_837:
	s_or_b64 exec, exec, s[8:9]
	v_mov_b32_e32 v125, 0
	ds_read_b64 v[125:126], v125 offset:208
	s_waitcnt lgkmcnt(0)
	v_mul_f64 v[121:122], v[121:122], v[125:126]
	buffer_store_dword v122, off, s[0:3], 0 offset:212
	buffer_store_dword v121, off, s[0:3], 0 offset:208
.LBB59_838:
	s_or_b64 exec, exec, s[6:7]
	buffer_load_dword v121, off, s[0:3], 0 offset:216
	buffer_load_dword v122, off, s[0:3], 0 offset:220
	v_cmp_gt_u32_e32 vcc, 27, v0
	s_waitcnt vmcnt(0)
	ds_write_b64 v123, v[121:122]
	s_waitcnt lgkmcnt(0)
	; wave barrier
	s_and_saveexec_b64 s[6:7], vcc
	s_cbranch_execz .LBB59_848
; %bb.839:
	s_and_b64 vcc, exec, s[4:5]
	s_cbranch_vccnz .LBB59_841
; %bb.840:
	buffer_load_dword v121, v124, s[0:3], 0 offen
	buffer_load_dword v122, v124, s[0:3], 0 offen offset:4
	ds_read_b64 v[125:126], v123
	s_waitcnt vmcnt(0) lgkmcnt(0)
	v_mul_f64 v[121:122], v[121:122], v[125:126]
	s_cbranch_execz .LBB59_842
	s_branch .LBB59_843
.LBB59_841:
                                        ; implicit-def: $vgpr121_vgpr122
.LBB59_842:
	ds_read_b64 v[121:122], v123
.LBB59_843:
	v_cmp_ne_u32_e32 vcc, 26, v0
	s_and_saveexec_b64 s[8:9], vcc
	s_cbranch_execz .LBB59_847
; %bb.844:
	s_mov_b32 s10, 0
	v_add_u32_e32 v125, 0x1e8, v132
	v_add3_u32 v126, v132, s10, 8
	s_mov_b64 s[10:11], 0
	v_mov_b32_e32 v127, v0
.LBB59_845:                             ; =>This Inner Loop Header: Depth=1
	buffer_load_dword v128, v126, s[0:3], 0 offen
	buffer_load_dword v129, v126, s[0:3], 0 offen offset:4
	ds_read_b64 v[130:131], v125
	v_add_u32_e32 v127, 1, v127
	v_cmp_lt_u32_e32 vcc, 25, v127
	v_add_u32_e32 v125, 8, v125
	s_or_b64 s[10:11], vcc, s[10:11]
	v_add_u32_e32 v126, 8, v126
	s_waitcnt vmcnt(0) lgkmcnt(0)
	v_fma_f64 v[121:122], v[128:129], v[130:131], v[121:122]
	s_andn2_b64 exec, exec, s[10:11]
	s_cbranch_execnz .LBB59_845
; %bb.846:
	s_or_b64 exec, exec, s[10:11]
.LBB59_847:
	s_or_b64 exec, exec, s[8:9]
	v_mov_b32_e32 v125, 0
	ds_read_b64 v[125:126], v125 offset:216
	s_waitcnt lgkmcnt(0)
	v_mul_f64 v[121:122], v[121:122], v[125:126]
	buffer_store_dword v122, off, s[0:3], 0 offset:220
	buffer_store_dword v121, off, s[0:3], 0 offset:216
.LBB59_848:
	s_or_b64 exec, exec, s[6:7]
	buffer_load_dword v121, off, s[0:3], 0 offset:224
	buffer_load_dword v122, off, s[0:3], 0 offset:228
	v_cmp_gt_u32_e32 vcc, 28, v0
	s_waitcnt vmcnt(0)
	ds_write_b64 v123, v[121:122]
	s_waitcnt lgkmcnt(0)
	; wave barrier
	s_and_saveexec_b64 s[6:7], vcc
	s_cbranch_execz .LBB59_858
; %bb.849:
	s_and_b64 vcc, exec, s[4:5]
	s_cbranch_vccnz .LBB59_851
; %bb.850:
	buffer_load_dword v121, v124, s[0:3], 0 offen
	buffer_load_dword v122, v124, s[0:3], 0 offen offset:4
	ds_read_b64 v[125:126], v123
	s_waitcnt vmcnt(0) lgkmcnt(0)
	v_mul_f64 v[121:122], v[121:122], v[125:126]
	s_cbranch_execz .LBB59_852
	s_branch .LBB59_853
.LBB59_851:
                                        ; implicit-def: $vgpr121_vgpr122
.LBB59_852:
	ds_read_b64 v[121:122], v123
.LBB59_853:
	v_cmp_ne_u32_e32 vcc, 27, v0
	s_and_saveexec_b64 s[8:9], vcc
	s_cbranch_execz .LBB59_857
; %bb.854:
	s_mov_b32 s10, 0
	v_add_u32_e32 v125, 0x1e8, v132
	v_add3_u32 v126, v132, s10, 8
	s_mov_b64 s[10:11], 0
	v_mov_b32_e32 v127, v0
.LBB59_855:                             ; =>This Inner Loop Header: Depth=1
	buffer_load_dword v128, v126, s[0:3], 0 offen
	buffer_load_dword v129, v126, s[0:3], 0 offen offset:4
	ds_read_b64 v[130:131], v125
	v_add_u32_e32 v127, 1, v127
	v_cmp_lt_u32_e32 vcc, 26, v127
	v_add_u32_e32 v125, 8, v125
	s_or_b64 s[10:11], vcc, s[10:11]
	v_add_u32_e32 v126, 8, v126
	s_waitcnt vmcnt(0) lgkmcnt(0)
	v_fma_f64 v[121:122], v[128:129], v[130:131], v[121:122]
	s_andn2_b64 exec, exec, s[10:11]
	s_cbranch_execnz .LBB59_855
; %bb.856:
	s_or_b64 exec, exec, s[10:11]
.LBB59_857:
	s_or_b64 exec, exec, s[8:9]
	v_mov_b32_e32 v125, 0
	ds_read_b64 v[125:126], v125 offset:224
	s_waitcnt lgkmcnt(0)
	v_mul_f64 v[121:122], v[121:122], v[125:126]
	buffer_store_dword v122, off, s[0:3], 0 offset:228
	buffer_store_dword v121, off, s[0:3], 0 offset:224
.LBB59_858:
	s_or_b64 exec, exec, s[6:7]
	buffer_load_dword v121, off, s[0:3], 0 offset:232
	buffer_load_dword v122, off, s[0:3], 0 offset:236
	v_cmp_gt_u32_e32 vcc, 29, v0
	s_waitcnt vmcnt(0)
	ds_write_b64 v123, v[121:122]
	s_waitcnt lgkmcnt(0)
	; wave barrier
	s_and_saveexec_b64 s[6:7], vcc
	s_cbranch_execz .LBB59_868
; %bb.859:
	s_and_b64 vcc, exec, s[4:5]
	s_cbranch_vccnz .LBB59_861
; %bb.860:
	buffer_load_dword v121, v124, s[0:3], 0 offen
	buffer_load_dword v122, v124, s[0:3], 0 offen offset:4
	ds_read_b64 v[125:126], v123
	s_waitcnt vmcnt(0) lgkmcnt(0)
	v_mul_f64 v[121:122], v[121:122], v[125:126]
	s_cbranch_execz .LBB59_862
	s_branch .LBB59_863
.LBB59_861:
                                        ; implicit-def: $vgpr121_vgpr122
.LBB59_862:
	ds_read_b64 v[121:122], v123
.LBB59_863:
	v_cmp_ne_u32_e32 vcc, 28, v0
	s_and_saveexec_b64 s[8:9], vcc
	s_cbranch_execz .LBB59_867
; %bb.864:
	s_mov_b32 s10, 0
	v_add_u32_e32 v125, 0x1e8, v132
	v_add3_u32 v126, v132, s10, 8
	s_mov_b64 s[10:11], 0
	v_mov_b32_e32 v127, v0
.LBB59_865:                             ; =>This Inner Loop Header: Depth=1
	buffer_load_dword v128, v126, s[0:3], 0 offen
	buffer_load_dword v129, v126, s[0:3], 0 offen offset:4
	ds_read_b64 v[130:131], v125
	v_add_u32_e32 v127, 1, v127
	v_cmp_lt_u32_e32 vcc, 27, v127
	v_add_u32_e32 v125, 8, v125
	s_or_b64 s[10:11], vcc, s[10:11]
	v_add_u32_e32 v126, 8, v126
	s_waitcnt vmcnt(0) lgkmcnt(0)
	v_fma_f64 v[121:122], v[128:129], v[130:131], v[121:122]
	s_andn2_b64 exec, exec, s[10:11]
	s_cbranch_execnz .LBB59_865
; %bb.866:
	s_or_b64 exec, exec, s[10:11]
.LBB59_867:
	s_or_b64 exec, exec, s[8:9]
	v_mov_b32_e32 v125, 0
	ds_read_b64 v[125:126], v125 offset:232
	s_waitcnt lgkmcnt(0)
	v_mul_f64 v[121:122], v[121:122], v[125:126]
	buffer_store_dword v122, off, s[0:3], 0 offset:236
	buffer_store_dword v121, off, s[0:3], 0 offset:232
.LBB59_868:
	s_or_b64 exec, exec, s[6:7]
	buffer_load_dword v121, off, s[0:3], 0 offset:240
	buffer_load_dword v122, off, s[0:3], 0 offset:244
	v_cmp_gt_u32_e32 vcc, 30, v0
	s_waitcnt vmcnt(0)
	ds_write_b64 v123, v[121:122]
	s_waitcnt lgkmcnt(0)
	; wave barrier
	s_and_saveexec_b64 s[6:7], vcc
	s_cbranch_execz .LBB59_878
; %bb.869:
	s_and_b64 vcc, exec, s[4:5]
	s_cbranch_vccnz .LBB59_871
; %bb.870:
	buffer_load_dword v121, v124, s[0:3], 0 offen
	buffer_load_dword v122, v124, s[0:3], 0 offen offset:4
	ds_read_b64 v[125:126], v123
	s_waitcnt vmcnt(0) lgkmcnt(0)
	v_mul_f64 v[121:122], v[121:122], v[125:126]
	s_cbranch_execz .LBB59_872
	s_branch .LBB59_873
.LBB59_871:
                                        ; implicit-def: $vgpr121_vgpr122
.LBB59_872:
	ds_read_b64 v[121:122], v123
.LBB59_873:
	v_cmp_ne_u32_e32 vcc, 29, v0
	s_and_saveexec_b64 s[8:9], vcc
	s_cbranch_execz .LBB59_877
; %bb.874:
	s_mov_b32 s10, 0
	v_add_u32_e32 v125, 0x1e8, v132
	v_add3_u32 v126, v132, s10, 8
	s_mov_b64 s[10:11], 0
	v_mov_b32_e32 v127, v0
.LBB59_875:                             ; =>This Inner Loop Header: Depth=1
	buffer_load_dword v128, v126, s[0:3], 0 offen
	buffer_load_dword v129, v126, s[0:3], 0 offen offset:4
	ds_read_b64 v[130:131], v125
	v_add_u32_e32 v127, 1, v127
	v_cmp_lt_u32_e32 vcc, 28, v127
	v_add_u32_e32 v125, 8, v125
	s_or_b64 s[10:11], vcc, s[10:11]
	v_add_u32_e32 v126, 8, v126
	s_waitcnt vmcnt(0) lgkmcnt(0)
	v_fma_f64 v[121:122], v[128:129], v[130:131], v[121:122]
	s_andn2_b64 exec, exec, s[10:11]
	s_cbranch_execnz .LBB59_875
; %bb.876:
	s_or_b64 exec, exec, s[10:11]
.LBB59_877:
	s_or_b64 exec, exec, s[8:9]
	v_mov_b32_e32 v125, 0
	ds_read_b64 v[125:126], v125 offset:240
	s_waitcnt lgkmcnt(0)
	v_mul_f64 v[121:122], v[121:122], v[125:126]
	buffer_store_dword v122, off, s[0:3], 0 offset:244
	buffer_store_dword v121, off, s[0:3], 0 offset:240
.LBB59_878:
	s_or_b64 exec, exec, s[6:7]
	buffer_load_dword v121, off, s[0:3], 0 offset:248
	buffer_load_dword v122, off, s[0:3], 0 offset:252
	v_cmp_gt_u32_e32 vcc, 31, v0
	s_waitcnt vmcnt(0)
	ds_write_b64 v123, v[121:122]
	s_waitcnt lgkmcnt(0)
	; wave barrier
	s_and_saveexec_b64 s[6:7], vcc
	s_cbranch_execz .LBB59_888
; %bb.879:
	s_and_b64 vcc, exec, s[4:5]
	s_cbranch_vccnz .LBB59_881
; %bb.880:
	buffer_load_dword v121, v124, s[0:3], 0 offen
	buffer_load_dword v122, v124, s[0:3], 0 offen offset:4
	ds_read_b64 v[125:126], v123
	s_waitcnt vmcnt(0) lgkmcnt(0)
	v_mul_f64 v[121:122], v[121:122], v[125:126]
	s_cbranch_execz .LBB59_882
	s_branch .LBB59_883
.LBB59_881:
                                        ; implicit-def: $vgpr121_vgpr122
.LBB59_882:
	ds_read_b64 v[121:122], v123
.LBB59_883:
	v_cmp_ne_u32_e32 vcc, 30, v0
	s_and_saveexec_b64 s[8:9], vcc
	s_cbranch_execz .LBB59_887
; %bb.884:
	s_mov_b32 s10, 0
	v_add_u32_e32 v125, 0x1e8, v132
	v_add3_u32 v126, v132, s10, 8
	s_mov_b64 s[10:11], 0
	v_mov_b32_e32 v127, v0
.LBB59_885:                             ; =>This Inner Loop Header: Depth=1
	buffer_load_dword v128, v126, s[0:3], 0 offen
	buffer_load_dword v129, v126, s[0:3], 0 offen offset:4
	ds_read_b64 v[130:131], v125
	v_add_u32_e32 v127, 1, v127
	v_cmp_lt_u32_e32 vcc, 29, v127
	v_add_u32_e32 v125, 8, v125
	s_or_b64 s[10:11], vcc, s[10:11]
	v_add_u32_e32 v126, 8, v126
	s_waitcnt vmcnt(0) lgkmcnt(0)
	v_fma_f64 v[121:122], v[128:129], v[130:131], v[121:122]
	s_andn2_b64 exec, exec, s[10:11]
	s_cbranch_execnz .LBB59_885
; %bb.886:
	s_or_b64 exec, exec, s[10:11]
.LBB59_887:
	s_or_b64 exec, exec, s[8:9]
	v_mov_b32_e32 v125, 0
	ds_read_b64 v[125:126], v125 offset:248
	s_waitcnt lgkmcnt(0)
	v_mul_f64 v[121:122], v[121:122], v[125:126]
	buffer_store_dword v122, off, s[0:3], 0 offset:252
	buffer_store_dword v121, off, s[0:3], 0 offset:248
.LBB59_888:
	s_or_b64 exec, exec, s[6:7]
	buffer_load_dword v121, off, s[0:3], 0 offset:256
	buffer_load_dword v122, off, s[0:3], 0 offset:260
	v_cmp_gt_u32_e32 vcc, 32, v0
	s_waitcnt vmcnt(0)
	ds_write_b64 v123, v[121:122]
	s_waitcnt lgkmcnt(0)
	; wave barrier
	s_and_saveexec_b64 s[6:7], vcc
	s_cbranch_execz .LBB59_898
; %bb.889:
	s_and_b64 vcc, exec, s[4:5]
	s_cbranch_vccnz .LBB59_891
; %bb.890:
	buffer_load_dword v121, v124, s[0:3], 0 offen
	buffer_load_dword v122, v124, s[0:3], 0 offen offset:4
	ds_read_b64 v[125:126], v123
	s_waitcnt vmcnt(0) lgkmcnt(0)
	v_mul_f64 v[121:122], v[121:122], v[125:126]
	s_cbranch_execz .LBB59_892
	s_branch .LBB59_893
.LBB59_891:
                                        ; implicit-def: $vgpr121_vgpr122
.LBB59_892:
	ds_read_b64 v[121:122], v123
.LBB59_893:
	v_cmp_ne_u32_e32 vcc, 31, v0
	s_and_saveexec_b64 s[8:9], vcc
	s_cbranch_execz .LBB59_897
; %bb.894:
	s_mov_b32 s10, 0
	v_add_u32_e32 v125, 0x1e8, v132
	v_add3_u32 v126, v132, s10, 8
	s_mov_b64 s[10:11], 0
	v_mov_b32_e32 v127, v0
.LBB59_895:                             ; =>This Inner Loop Header: Depth=1
	buffer_load_dword v128, v126, s[0:3], 0 offen
	buffer_load_dword v129, v126, s[0:3], 0 offen offset:4
	ds_read_b64 v[130:131], v125
	v_add_u32_e32 v127, 1, v127
	v_cmp_lt_u32_e32 vcc, 30, v127
	v_add_u32_e32 v125, 8, v125
	s_or_b64 s[10:11], vcc, s[10:11]
	v_add_u32_e32 v126, 8, v126
	s_waitcnt vmcnt(0) lgkmcnt(0)
	v_fma_f64 v[121:122], v[128:129], v[130:131], v[121:122]
	s_andn2_b64 exec, exec, s[10:11]
	s_cbranch_execnz .LBB59_895
; %bb.896:
	s_or_b64 exec, exec, s[10:11]
.LBB59_897:
	s_or_b64 exec, exec, s[8:9]
	v_mov_b32_e32 v125, 0
	ds_read_b64 v[125:126], v125 offset:256
	s_waitcnt lgkmcnt(0)
	v_mul_f64 v[121:122], v[121:122], v[125:126]
	buffer_store_dword v122, off, s[0:3], 0 offset:260
	buffer_store_dword v121, off, s[0:3], 0 offset:256
.LBB59_898:
	s_or_b64 exec, exec, s[6:7]
	buffer_load_dword v121, off, s[0:3], 0 offset:264
	buffer_load_dword v122, off, s[0:3], 0 offset:268
	v_cmp_gt_u32_e32 vcc, 33, v0
	s_waitcnt vmcnt(0)
	ds_write_b64 v123, v[121:122]
	s_waitcnt lgkmcnt(0)
	; wave barrier
	s_and_saveexec_b64 s[6:7], vcc
	s_cbranch_execz .LBB59_908
; %bb.899:
	s_and_b64 vcc, exec, s[4:5]
	s_cbranch_vccnz .LBB59_901
; %bb.900:
	buffer_load_dword v121, v124, s[0:3], 0 offen
	buffer_load_dword v122, v124, s[0:3], 0 offen offset:4
	ds_read_b64 v[125:126], v123
	s_waitcnt vmcnt(0) lgkmcnt(0)
	v_mul_f64 v[121:122], v[121:122], v[125:126]
	s_cbranch_execz .LBB59_902
	s_branch .LBB59_903
.LBB59_901:
                                        ; implicit-def: $vgpr121_vgpr122
.LBB59_902:
	ds_read_b64 v[121:122], v123
.LBB59_903:
	v_cmp_ne_u32_e32 vcc, 32, v0
	s_and_saveexec_b64 s[8:9], vcc
	s_cbranch_execz .LBB59_907
; %bb.904:
	s_mov_b32 s10, 0
	v_add_u32_e32 v125, 0x1e8, v132
	v_add3_u32 v126, v132, s10, 8
	s_mov_b64 s[10:11], 0
	v_mov_b32_e32 v127, v0
.LBB59_905:                             ; =>This Inner Loop Header: Depth=1
	buffer_load_dword v128, v126, s[0:3], 0 offen
	buffer_load_dword v129, v126, s[0:3], 0 offen offset:4
	ds_read_b64 v[130:131], v125
	v_add_u32_e32 v127, 1, v127
	v_cmp_lt_u32_e32 vcc, 31, v127
	v_add_u32_e32 v125, 8, v125
	s_or_b64 s[10:11], vcc, s[10:11]
	v_add_u32_e32 v126, 8, v126
	s_waitcnt vmcnt(0) lgkmcnt(0)
	v_fma_f64 v[121:122], v[128:129], v[130:131], v[121:122]
	s_andn2_b64 exec, exec, s[10:11]
	s_cbranch_execnz .LBB59_905
; %bb.906:
	s_or_b64 exec, exec, s[10:11]
.LBB59_907:
	s_or_b64 exec, exec, s[8:9]
	v_mov_b32_e32 v125, 0
	ds_read_b64 v[125:126], v125 offset:264
	s_waitcnt lgkmcnt(0)
	v_mul_f64 v[121:122], v[121:122], v[125:126]
	buffer_store_dword v122, off, s[0:3], 0 offset:268
	buffer_store_dword v121, off, s[0:3], 0 offset:264
.LBB59_908:
	s_or_b64 exec, exec, s[6:7]
	buffer_load_dword v121, off, s[0:3], 0 offset:272
	buffer_load_dword v122, off, s[0:3], 0 offset:276
	v_cmp_gt_u32_e32 vcc, 34, v0
	s_waitcnt vmcnt(0)
	ds_write_b64 v123, v[121:122]
	s_waitcnt lgkmcnt(0)
	; wave barrier
	s_and_saveexec_b64 s[6:7], vcc
	s_cbranch_execz .LBB59_918
; %bb.909:
	s_and_b64 vcc, exec, s[4:5]
	s_cbranch_vccnz .LBB59_911
; %bb.910:
	buffer_load_dword v121, v124, s[0:3], 0 offen
	buffer_load_dword v122, v124, s[0:3], 0 offen offset:4
	ds_read_b64 v[125:126], v123
	s_waitcnt vmcnt(0) lgkmcnt(0)
	v_mul_f64 v[121:122], v[121:122], v[125:126]
	s_cbranch_execz .LBB59_912
	s_branch .LBB59_913
.LBB59_911:
                                        ; implicit-def: $vgpr121_vgpr122
.LBB59_912:
	ds_read_b64 v[121:122], v123
.LBB59_913:
	v_cmp_ne_u32_e32 vcc, 33, v0
	s_and_saveexec_b64 s[8:9], vcc
	s_cbranch_execz .LBB59_917
; %bb.914:
	s_mov_b32 s10, 0
	v_add_u32_e32 v125, 0x1e8, v132
	v_add3_u32 v126, v132, s10, 8
	s_mov_b64 s[10:11], 0
	v_mov_b32_e32 v127, v0
.LBB59_915:                             ; =>This Inner Loop Header: Depth=1
	buffer_load_dword v128, v126, s[0:3], 0 offen
	buffer_load_dword v129, v126, s[0:3], 0 offen offset:4
	ds_read_b64 v[130:131], v125
	v_add_u32_e32 v127, 1, v127
	v_cmp_lt_u32_e32 vcc, 32, v127
	v_add_u32_e32 v125, 8, v125
	s_or_b64 s[10:11], vcc, s[10:11]
	v_add_u32_e32 v126, 8, v126
	s_waitcnt vmcnt(0) lgkmcnt(0)
	v_fma_f64 v[121:122], v[128:129], v[130:131], v[121:122]
	s_andn2_b64 exec, exec, s[10:11]
	s_cbranch_execnz .LBB59_915
; %bb.916:
	s_or_b64 exec, exec, s[10:11]
.LBB59_917:
	s_or_b64 exec, exec, s[8:9]
	v_mov_b32_e32 v125, 0
	ds_read_b64 v[125:126], v125 offset:272
	s_waitcnt lgkmcnt(0)
	v_mul_f64 v[121:122], v[121:122], v[125:126]
	buffer_store_dword v122, off, s[0:3], 0 offset:276
	buffer_store_dword v121, off, s[0:3], 0 offset:272
.LBB59_918:
	s_or_b64 exec, exec, s[6:7]
	buffer_load_dword v121, off, s[0:3], 0 offset:280
	buffer_load_dword v122, off, s[0:3], 0 offset:284
	v_cmp_gt_u32_e32 vcc, 35, v0
	s_waitcnt vmcnt(0)
	ds_write_b64 v123, v[121:122]
	s_waitcnt lgkmcnt(0)
	; wave barrier
	s_and_saveexec_b64 s[6:7], vcc
	s_cbranch_execz .LBB59_928
; %bb.919:
	s_and_b64 vcc, exec, s[4:5]
	s_cbranch_vccnz .LBB59_921
; %bb.920:
	buffer_load_dword v121, v124, s[0:3], 0 offen
	buffer_load_dword v122, v124, s[0:3], 0 offen offset:4
	ds_read_b64 v[125:126], v123
	s_waitcnt vmcnt(0) lgkmcnt(0)
	v_mul_f64 v[121:122], v[121:122], v[125:126]
	s_cbranch_execz .LBB59_922
	s_branch .LBB59_923
.LBB59_921:
                                        ; implicit-def: $vgpr121_vgpr122
.LBB59_922:
	ds_read_b64 v[121:122], v123
.LBB59_923:
	v_cmp_ne_u32_e32 vcc, 34, v0
	s_and_saveexec_b64 s[8:9], vcc
	s_cbranch_execz .LBB59_927
; %bb.924:
	s_mov_b32 s10, 0
	v_add_u32_e32 v125, 0x1e8, v132
	v_add3_u32 v126, v132, s10, 8
	s_mov_b64 s[10:11], 0
	v_mov_b32_e32 v127, v0
.LBB59_925:                             ; =>This Inner Loop Header: Depth=1
	buffer_load_dword v128, v126, s[0:3], 0 offen
	buffer_load_dword v129, v126, s[0:3], 0 offen offset:4
	ds_read_b64 v[130:131], v125
	v_add_u32_e32 v127, 1, v127
	v_cmp_lt_u32_e32 vcc, 33, v127
	v_add_u32_e32 v125, 8, v125
	s_or_b64 s[10:11], vcc, s[10:11]
	v_add_u32_e32 v126, 8, v126
	s_waitcnt vmcnt(0) lgkmcnt(0)
	v_fma_f64 v[121:122], v[128:129], v[130:131], v[121:122]
	s_andn2_b64 exec, exec, s[10:11]
	s_cbranch_execnz .LBB59_925
; %bb.926:
	s_or_b64 exec, exec, s[10:11]
.LBB59_927:
	s_or_b64 exec, exec, s[8:9]
	v_mov_b32_e32 v125, 0
	ds_read_b64 v[125:126], v125 offset:280
	s_waitcnt lgkmcnt(0)
	v_mul_f64 v[121:122], v[121:122], v[125:126]
	buffer_store_dword v122, off, s[0:3], 0 offset:284
	buffer_store_dword v121, off, s[0:3], 0 offset:280
.LBB59_928:
	s_or_b64 exec, exec, s[6:7]
	buffer_load_dword v121, off, s[0:3], 0 offset:288
	buffer_load_dword v122, off, s[0:3], 0 offset:292
	v_cmp_gt_u32_e32 vcc, 36, v0
	s_waitcnt vmcnt(0)
	ds_write_b64 v123, v[121:122]
	s_waitcnt lgkmcnt(0)
	; wave barrier
	s_and_saveexec_b64 s[6:7], vcc
	s_cbranch_execz .LBB59_938
; %bb.929:
	s_and_b64 vcc, exec, s[4:5]
	s_cbranch_vccnz .LBB59_931
; %bb.930:
	buffer_load_dword v121, v124, s[0:3], 0 offen
	buffer_load_dword v122, v124, s[0:3], 0 offen offset:4
	ds_read_b64 v[125:126], v123
	s_waitcnt vmcnt(0) lgkmcnt(0)
	v_mul_f64 v[121:122], v[121:122], v[125:126]
	s_cbranch_execz .LBB59_932
	s_branch .LBB59_933
.LBB59_931:
                                        ; implicit-def: $vgpr121_vgpr122
.LBB59_932:
	ds_read_b64 v[121:122], v123
.LBB59_933:
	v_cmp_ne_u32_e32 vcc, 35, v0
	s_and_saveexec_b64 s[8:9], vcc
	s_cbranch_execz .LBB59_937
; %bb.934:
	s_mov_b32 s10, 0
	v_add_u32_e32 v125, 0x1e8, v132
	v_add3_u32 v126, v132, s10, 8
	s_mov_b64 s[10:11], 0
	v_mov_b32_e32 v127, v0
.LBB59_935:                             ; =>This Inner Loop Header: Depth=1
	buffer_load_dword v128, v126, s[0:3], 0 offen
	buffer_load_dword v129, v126, s[0:3], 0 offen offset:4
	ds_read_b64 v[130:131], v125
	v_add_u32_e32 v127, 1, v127
	v_cmp_lt_u32_e32 vcc, 34, v127
	v_add_u32_e32 v125, 8, v125
	s_or_b64 s[10:11], vcc, s[10:11]
	v_add_u32_e32 v126, 8, v126
	s_waitcnt vmcnt(0) lgkmcnt(0)
	v_fma_f64 v[121:122], v[128:129], v[130:131], v[121:122]
	s_andn2_b64 exec, exec, s[10:11]
	s_cbranch_execnz .LBB59_935
; %bb.936:
	s_or_b64 exec, exec, s[10:11]
.LBB59_937:
	s_or_b64 exec, exec, s[8:9]
	v_mov_b32_e32 v125, 0
	ds_read_b64 v[125:126], v125 offset:288
	s_waitcnt lgkmcnt(0)
	v_mul_f64 v[121:122], v[121:122], v[125:126]
	buffer_store_dword v122, off, s[0:3], 0 offset:292
	buffer_store_dword v121, off, s[0:3], 0 offset:288
.LBB59_938:
	s_or_b64 exec, exec, s[6:7]
	buffer_load_dword v121, off, s[0:3], 0 offset:296
	buffer_load_dword v122, off, s[0:3], 0 offset:300
	v_cmp_gt_u32_e32 vcc, 37, v0
	s_waitcnt vmcnt(0)
	ds_write_b64 v123, v[121:122]
	s_waitcnt lgkmcnt(0)
	; wave barrier
	s_and_saveexec_b64 s[6:7], vcc
	s_cbranch_execz .LBB59_948
; %bb.939:
	s_and_b64 vcc, exec, s[4:5]
	s_cbranch_vccnz .LBB59_941
; %bb.940:
	buffer_load_dword v121, v124, s[0:3], 0 offen
	buffer_load_dword v122, v124, s[0:3], 0 offen offset:4
	ds_read_b64 v[125:126], v123
	s_waitcnt vmcnt(0) lgkmcnt(0)
	v_mul_f64 v[121:122], v[121:122], v[125:126]
	s_cbranch_execz .LBB59_942
	s_branch .LBB59_943
.LBB59_941:
                                        ; implicit-def: $vgpr121_vgpr122
.LBB59_942:
	ds_read_b64 v[121:122], v123
.LBB59_943:
	v_cmp_ne_u32_e32 vcc, 36, v0
	s_and_saveexec_b64 s[8:9], vcc
	s_cbranch_execz .LBB59_947
; %bb.944:
	s_mov_b32 s10, 0
	v_add_u32_e32 v125, 0x1e8, v132
	v_add3_u32 v126, v132, s10, 8
	s_mov_b64 s[10:11], 0
	v_mov_b32_e32 v127, v0
.LBB59_945:                             ; =>This Inner Loop Header: Depth=1
	buffer_load_dword v128, v126, s[0:3], 0 offen
	buffer_load_dword v129, v126, s[0:3], 0 offen offset:4
	ds_read_b64 v[130:131], v125
	v_add_u32_e32 v127, 1, v127
	v_cmp_lt_u32_e32 vcc, 35, v127
	v_add_u32_e32 v125, 8, v125
	s_or_b64 s[10:11], vcc, s[10:11]
	v_add_u32_e32 v126, 8, v126
	s_waitcnt vmcnt(0) lgkmcnt(0)
	v_fma_f64 v[121:122], v[128:129], v[130:131], v[121:122]
	s_andn2_b64 exec, exec, s[10:11]
	s_cbranch_execnz .LBB59_945
; %bb.946:
	s_or_b64 exec, exec, s[10:11]
.LBB59_947:
	s_or_b64 exec, exec, s[8:9]
	v_mov_b32_e32 v125, 0
	ds_read_b64 v[125:126], v125 offset:296
	s_waitcnt lgkmcnt(0)
	v_mul_f64 v[121:122], v[121:122], v[125:126]
	buffer_store_dword v122, off, s[0:3], 0 offset:300
	buffer_store_dword v121, off, s[0:3], 0 offset:296
.LBB59_948:
	s_or_b64 exec, exec, s[6:7]
	buffer_load_dword v121, off, s[0:3], 0 offset:304
	buffer_load_dword v122, off, s[0:3], 0 offset:308
	v_cmp_gt_u32_e32 vcc, 38, v0
	s_waitcnt vmcnt(0)
	ds_write_b64 v123, v[121:122]
	s_waitcnt lgkmcnt(0)
	; wave barrier
	s_and_saveexec_b64 s[6:7], vcc
	s_cbranch_execz .LBB59_958
; %bb.949:
	s_and_b64 vcc, exec, s[4:5]
	s_cbranch_vccnz .LBB59_951
; %bb.950:
	buffer_load_dword v121, v124, s[0:3], 0 offen
	buffer_load_dword v122, v124, s[0:3], 0 offen offset:4
	ds_read_b64 v[125:126], v123
	s_waitcnt vmcnt(0) lgkmcnt(0)
	v_mul_f64 v[121:122], v[121:122], v[125:126]
	s_cbranch_execz .LBB59_952
	s_branch .LBB59_953
.LBB59_951:
                                        ; implicit-def: $vgpr121_vgpr122
.LBB59_952:
	ds_read_b64 v[121:122], v123
.LBB59_953:
	v_cmp_ne_u32_e32 vcc, 37, v0
	s_and_saveexec_b64 s[8:9], vcc
	s_cbranch_execz .LBB59_957
; %bb.954:
	s_mov_b32 s10, 0
	v_add_u32_e32 v125, 0x1e8, v132
	v_add3_u32 v126, v132, s10, 8
	s_mov_b64 s[10:11], 0
	v_mov_b32_e32 v127, v0
.LBB59_955:                             ; =>This Inner Loop Header: Depth=1
	buffer_load_dword v128, v126, s[0:3], 0 offen
	buffer_load_dword v129, v126, s[0:3], 0 offen offset:4
	ds_read_b64 v[130:131], v125
	v_add_u32_e32 v127, 1, v127
	v_cmp_lt_u32_e32 vcc, 36, v127
	v_add_u32_e32 v125, 8, v125
	s_or_b64 s[10:11], vcc, s[10:11]
	v_add_u32_e32 v126, 8, v126
	s_waitcnt vmcnt(0) lgkmcnt(0)
	v_fma_f64 v[121:122], v[128:129], v[130:131], v[121:122]
	s_andn2_b64 exec, exec, s[10:11]
	s_cbranch_execnz .LBB59_955
; %bb.956:
	s_or_b64 exec, exec, s[10:11]
.LBB59_957:
	s_or_b64 exec, exec, s[8:9]
	v_mov_b32_e32 v125, 0
	ds_read_b64 v[125:126], v125 offset:304
	s_waitcnt lgkmcnt(0)
	v_mul_f64 v[121:122], v[121:122], v[125:126]
	buffer_store_dword v122, off, s[0:3], 0 offset:308
	buffer_store_dword v121, off, s[0:3], 0 offset:304
.LBB59_958:
	s_or_b64 exec, exec, s[6:7]
	buffer_load_dword v121, off, s[0:3], 0 offset:312
	buffer_load_dword v122, off, s[0:3], 0 offset:316
	v_cmp_gt_u32_e32 vcc, 39, v0
	s_waitcnt vmcnt(0)
	ds_write_b64 v123, v[121:122]
	s_waitcnt lgkmcnt(0)
	; wave barrier
	s_and_saveexec_b64 s[6:7], vcc
	s_cbranch_execz .LBB59_968
; %bb.959:
	s_and_b64 vcc, exec, s[4:5]
	s_cbranch_vccnz .LBB59_961
; %bb.960:
	buffer_load_dword v121, v124, s[0:3], 0 offen
	buffer_load_dword v122, v124, s[0:3], 0 offen offset:4
	ds_read_b64 v[125:126], v123
	s_waitcnt vmcnt(0) lgkmcnt(0)
	v_mul_f64 v[121:122], v[121:122], v[125:126]
	s_cbranch_execz .LBB59_962
	s_branch .LBB59_963
.LBB59_961:
                                        ; implicit-def: $vgpr121_vgpr122
.LBB59_962:
	ds_read_b64 v[121:122], v123
.LBB59_963:
	v_cmp_ne_u32_e32 vcc, 38, v0
	s_and_saveexec_b64 s[8:9], vcc
	s_cbranch_execz .LBB59_967
; %bb.964:
	s_mov_b32 s10, 0
	v_add_u32_e32 v125, 0x1e8, v132
	v_add3_u32 v126, v132, s10, 8
	s_mov_b64 s[10:11], 0
	v_mov_b32_e32 v127, v0
.LBB59_965:                             ; =>This Inner Loop Header: Depth=1
	buffer_load_dword v128, v126, s[0:3], 0 offen
	buffer_load_dword v129, v126, s[0:3], 0 offen offset:4
	ds_read_b64 v[130:131], v125
	v_add_u32_e32 v127, 1, v127
	v_cmp_lt_u32_e32 vcc, 37, v127
	v_add_u32_e32 v125, 8, v125
	s_or_b64 s[10:11], vcc, s[10:11]
	v_add_u32_e32 v126, 8, v126
	s_waitcnt vmcnt(0) lgkmcnt(0)
	v_fma_f64 v[121:122], v[128:129], v[130:131], v[121:122]
	s_andn2_b64 exec, exec, s[10:11]
	s_cbranch_execnz .LBB59_965
; %bb.966:
	s_or_b64 exec, exec, s[10:11]
.LBB59_967:
	s_or_b64 exec, exec, s[8:9]
	v_mov_b32_e32 v125, 0
	ds_read_b64 v[125:126], v125 offset:312
	s_waitcnt lgkmcnt(0)
	v_mul_f64 v[121:122], v[121:122], v[125:126]
	buffer_store_dword v122, off, s[0:3], 0 offset:316
	buffer_store_dword v121, off, s[0:3], 0 offset:312
.LBB59_968:
	s_or_b64 exec, exec, s[6:7]
	buffer_load_dword v121, off, s[0:3], 0 offset:320
	buffer_load_dword v122, off, s[0:3], 0 offset:324
	v_cmp_gt_u32_e32 vcc, 40, v0
	s_waitcnt vmcnt(0)
	ds_write_b64 v123, v[121:122]
	s_waitcnt lgkmcnt(0)
	; wave barrier
	s_and_saveexec_b64 s[6:7], vcc
	s_cbranch_execz .LBB59_978
; %bb.969:
	s_and_b64 vcc, exec, s[4:5]
	s_cbranch_vccnz .LBB59_971
; %bb.970:
	buffer_load_dword v121, v124, s[0:3], 0 offen
	buffer_load_dword v122, v124, s[0:3], 0 offen offset:4
	ds_read_b64 v[125:126], v123
	s_waitcnt vmcnt(0) lgkmcnt(0)
	v_mul_f64 v[121:122], v[121:122], v[125:126]
	s_cbranch_execz .LBB59_972
	s_branch .LBB59_973
.LBB59_971:
                                        ; implicit-def: $vgpr121_vgpr122
.LBB59_972:
	ds_read_b64 v[121:122], v123
.LBB59_973:
	v_cmp_ne_u32_e32 vcc, 39, v0
	s_and_saveexec_b64 s[8:9], vcc
	s_cbranch_execz .LBB59_977
; %bb.974:
	s_mov_b32 s10, 0
	v_add_u32_e32 v125, 0x1e8, v132
	v_add3_u32 v126, v132, s10, 8
	s_mov_b64 s[10:11], 0
	v_mov_b32_e32 v127, v0
.LBB59_975:                             ; =>This Inner Loop Header: Depth=1
	buffer_load_dword v128, v126, s[0:3], 0 offen
	buffer_load_dword v129, v126, s[0:3], 0 offen offset:4
	ds_read_b64 v[130:131], v125
	v_add_u32_e32 v127, 1, v127
	v_cmp_lt_u32_e32 vcc, 38, v127
	v_add_u32_e32 v125, 8, v125
	s_or_b64 s[10:11], vcc, s[10:11]
	v_add_u32_e32 v126, 8, v126
	s_waitcnt vmcnt(0) lgkmcnt(0)
	v_fma_f64 v[121:122], v[128:129], v[130:131], v[121:122]
	s_andn2_b64 exec, exec, s[10:11]
	s_cbranch_execnz .LBB59_975
; %bb.976:
	s_or_b64 exec, exec, s[10:11]
.LBB59_977:
	s_or_b64 exec, exec, s[8:9]
	v_mov_b32_e32 v125, 0
	ds_read_b64 v[125:126], v125 offset:320
	s_waitcnt lgkmcnt(0)
	v_mul_f64 v[121:122], v[121:122], v[125:126]
	buffer_store_dword v122, off, s[0:3], 0 offset:324
	buffer_store_dword v121, off, s[0:3], 0 offset:320
.LBB59_978:
	s_or_b64 exec, exec, s[6:7]
	buffer_load_dword v121, off, s[0:3], 0 offset:328
	buffer_load_dword v122, off, s[0:3], 0 offset:332
	v_cmp_gt_u32_e32 vcc, 41, v0
	s_waitcnt vmcnt(0)
	ds_write_b64 v123, v[121:122]
	s_waitcnt lgkmcnt(0)
	; wave barrier
	s_and_saveexec_b64 s[6:7], vcc
	s_cbranch_execz .LBB59_988
; %bb.979:
	s_and_b64 vcc, exec, s[4:5]
	s_cbranch_vccnz .LBB59_981
; %bb.980:
	buffer_load_dword v121, v124, s[0:3], 0 offen
	buffer_load_dword v122, v124, s[0:3], 0 offen offset:4
	ds_read_b64 v[125:126], v123
	s_waitcnt vmcnt(0) lgkmcnt(0)
	v_mul_f64 v[121:122], v[121:122], v[125:126]
	s_cbranch_execz .LBB59_982
	s_branch .LBB59_983
.LBB59_981:
                                        ; implicit-def: $vgpr121_vgpr122
.LBB59_982:
	ds_read_b64 v[121:122], v123
.LBB59_983:
	v_cmp_ne_u32_e32 vcc, 40, v0
	s_and_saveexec_b64 s[8:9], vcc
	s_cbranch_execz .LBB59_987
; %bb.984:
	s_mov_b32 s10, 0
	v_add_u32_e32 v125, 0x1e8, v132
	v_add3_u32 v126, v132, s10, 8
	s_mov_b64 s[10:11], 0
	v_mov_b32_e32 v127, v0
.LBB59_985:                             ; =>This Inner Loop Header: Depth=1
	buffer_load_dword v128, v126, s[0:3], 0 offen
	buffer_load_dword v129, v126, s[0:3], 0 offen offset:4
	ds_read_b64 v[130:131], v125
	v_add_u32_e32 v127, 1, v127
	v_cmp_lt_u32_e32 vcc, 39, v127
	v_add_u32_e32 v125, 8, v125
	s_or_b64 s[10:11], vcc, s[10:11]
	v_add_u32_e32 v126, 8, v126
	s_waitcnt vmcnt(0) lgkmcnt(0)
	v_fma_f64 v[121:122], v[128:129], v[130:131], v[121:122]
	s_andn2_b64 exec, exec, s[10:11]
	s_cbranch_execnz .LBB59_985
; %bb.986:
	s_or_b64 exec, exec, s[10:11]
.LBB59_987:
	s_or_b64 exec, exec, s[8:9]
	v_mov_b32_e32 v125, 0
	ds_read_b64 v[125:126], v125 offset:328
	s_waitcnt lgkmcnt(0)
	v_mul_f64 v[121:122], v[121:122], v[125:126]
	buffer_store_dword v122, off, s[0:3], 0 offset:332
	buffer_store_dword v121, off, s[0:3], 0 offset:328
.LBB59_988:
	s_or_b64 exec, exec, s[6:7]
	buffer_load_dword v121, off, s[0:3], 0 offset:336
	buffer_load_dword v122, off, s[0:3], 0 offset:340
	v_cmp_gt_u32_e32 vcc, 42, v0
	s_waitcnt vmcnt(0)
	ds_write_b64 v123, v[121:122]
	s_waitcnt lgkmcnt(0)
	; wave barrier
	s_and_saveexec_b64 s[6:7], vcc
	s_cbranch_execz .LBB59_998
; %bb.989:
	s_and_b64 vcc, exec, s[4:5]
	s_cbranch_vccnz .LBB59_991
; %bb.990:
	buffer_load_dword v121, v124, s[0:3], 0 offen
	buffer_load_dword v122, v124, s[0:3], 0 offen offset:4
	ds_read_b64 v[125:126], v123
	s_waitcnt vmcnt(0) lgkmcnt(0)
	v_mul_f64 v[121:122], v[121:122], v[125:126]
	s_cbranch_execz .LBB59_992
	s_branch .LBB59_993
.LBB59_991:
                                        ; implicit-def: $vgpr121_vgpr122
.LBB59_992:
	ds_read_b64 v[121:122], v123
.LBB59_993:
	v_cmp_ne_u32_e32 vcc, 41, v0
	s_and_saveexec_b64 s[8:9], vcc
	s_cbranch_execz .LBB59_997
; %bb.994:
	s_mov_b32 s10, 0
	v_add_u32_e32 v125, 0x1e8, v132
	v_add3_u32 v126, v132, s10, 8
	s_mov_b64 s[10:11], 0
	v_mov_b32_e32 v127, v0
.LBB59_995:                             ; =>This Inner Loop Header: Depth=1
	buffer_load_dword v128, v126, s[0:3], 0 offen
	buffer_load_dword v129, v126, s[0:3], 0 offen offset:4
	ds_read_b64 v[130:131], v125
	v_add_u32_e32 v127, 1, v127
	v_cmp_lt_u32_e32 vcc, 40, v127
	v_add_u32_e32 v125, 8, v125
	s_or_b64 s[10:11], vcc, s[10:11]
	v_add_u32_e32 v126, 8, v126
	s_waitcnt vmcnt(0) lgkmcnt(0)
	v_fma_f64 v[121:122], v[128:129], v[130:131], v[121:122]
	s_andn2_b64 exec, exec, s[10:11]
	s_cbranch_execnz .LBB59_995
; %bb.996:
	s_or_b64 exec, exec, s[10:11]
.LBB59_997:
	s_or_b64 exec, exec, s[8:9]
	v_mov_b32_e32 v125, 0
	ds_read_b64 v[125:126], v125 offset:336
	s_waitcnt lgkmcnt(0)
	v_mul_f64 v[121:122], v[121:122], v[125:126]
	buffer_store_dword v122, off, s[0:3], 0 offset:340
	buffer_store_dword v121, off, s[0:3], 0 offset:336
.LBB59_998:
	s_or_b64 exec, exec, s[6:7]
	buffer_load_dword v121, off, s[0:3], 0 offset:344
	buffer_load_dword v122, off, s[0:3], 0 offset:348
	v_cmp_gt_u32_e32 vcc, 43, v0
	s_waitcnt vmcnt(0)
	ds_write_b64 v123, v[121:122]
	s_waitcnt lgkmcnt(0)
	; wave barrier
	s_and_saveexec_b64 s[6:7], vcc
	s_cbranch_execz .LBB59_1008
; %bb.999:
	s_and_b64 vcc, exec, s[4:5]
	s_cbranch_vccnz .LBB59_1001
; %bb.1000:
	buffer_load_dword v121, v124, s[0:3], 0 offen
	buffer_load_dword v122, v124, s[0:3], 0 offen offset:4
	ds_read_b64 v[125:126], v123
	s_waitcnt vmcnt(0) lgkmcnt(0)
	v_mul_f64 v[121:122], v[121:122], v[125:126]
	s_cbranch_execz .LBB59_1002
	s_branch .LBB59_1003
.LBB59_1001:
                                        ; implicit-def: $vgpr121_vgpr122
.LBB59_1002:
	ds_read_b64 v[121:122], v123
.LBB59_1003:
	v_cmp_ne_u32_e32 vcc, 42, v0
	s_and_saveexec_b64 s[8:9], vcc
	s_cbranch_execz .LBB59_1007
; %bb.1004:
	s_mov_b32 s10, 0
	v_add_u32_e32 v125, 0x1e8, v132
	v_add3_u32 v126, v132, s10, 8
	s_mov_b64 s[10:11], 0
	v_mov_b32_e32 v127, v0
.LBB59_1005:                            ; =>This Inner Loop Header: Depth=1
	buffer_load_dword v128, v126, s[0:3], 0 offen
	buffer_load_dword v129, v126, s[0:3], 0 offen offset:4
	ds_read_b64 v[130:131], v125
	v_add_u32_e32 v127, 1, v127
	v_cmp_lt_u32_e32 vcc, 41, v127
	v_add_u32_e32 v125, 8, v125
	s_or_b64 s[10:11], vcc, s[10:11]
	v_add_u32_e32 v126, 8, v126
	s_waitcnt vmcnt(0) lgkmcnt(0)
	v_fma_f64 v[121:122], v[128:129], v[130:131], v[121:122]
	s_andn2_b64 exec, exec, s[10:11]
	s_cbranch_execnz .LBB59_1005
; %bb.1006:
	s_or_b64 exec, exec, s[10:11]
.LBB59_1007:
	s_or_b64 exec, exec, s[8:9]
	v_mov_b32_e32 v125, 0
	ds_read_b64 v[125:126], v125 offset:344
	s_waitcnt lgkmcnt(0)
	v_mul_f64 v[121:122], v[121:122], v[125:126]
	buffer_store_dword v122, off, s[0:3], 0 offset:348
	buffer_store_dword v121, off, s[0:3], 0 offset:344
.LBB59_1008:
	s_or_b64 exec, exec, s[6:7]
	buffer_load_dword v121, off, s[0:3], 0 offset:352
	buffer_load_dword v122, off, s[0:3], 0 offset:356
	v_cmp_gt_u32_e32 vcc, 44, v0
	s_waitcnt vmcnt(0)
	ds_write_b64 v123, v[121:122]
	s_waitcnt lgkmcnt(0)
	; wave barrier
	s_and_saveexec_b64 s[6:7], vcc
	s_cbranch_execz .LBB59_1018
; %bb.1009:
	s_and_b64 vcc, exec, s[4:5]
	s_cbranch_vccnz .LBB59_1011
; %bb.1010:
	buffer_load_dword v121, v124, s[0:3], 0 offen
	buffer_load_dword v122, v124, s[0:3], 0 offen offset:4
	ds_read_b64 v[125:126], v123
	s_waitcnt vmcnt(0) lgkmcnt(0)
	v_mul_f64 v[121:122], v[121:122], v[125:126]
	s_cbranch_execz .LBB59_1012
	s_branch .LBB59_1013
.LBB59_1011:
                                        ; implicit-def: $vgpr121_vgpr122
.LBB59_1012:
	ds_read_b64 v[121:122], v123
.LBB59_1013:
	v_cmp_ne_u32_e32 vcc, 43, v0
	s_and_saveexec_b64 s[8:9], vcc
	s_cbranch_execz .LBB59_1017
; %bb.1014:
	s_mov_b32 s10, 0
	v_add_u32_e32 v125, 0x1e8, v132
	v_add3_u32 v126, v132, s10, 8
	s_mov_b64 s[10:11], 0
	v_mov_b32_e32 v127, v0
.LBB59_1015:                            ; =>This Inner Loop Header: Depth=1
	buffer_load_dword v128, v126, s[0:3], 0 offen
	buffer_load_dword v129, v126, s[0:3], 0 offen offset:4
	ds_read_b64 v[130:131], v125
	v_add_u32_e32 v127, 1, v127
	v_cmp_lt_u32_e32 vcc, 42, v127
	v_add_u32_e32 v125, 8, v125
	s_or_b64 s[10:11], vcc, s[10:11]
	v_add_u32_e32 v126, 8, v126
	s_waitcnt vmcnt(0) lgkmcnt(0)
	v_fma_f64 v[121:122], v[128:129], v[130:131], v[121:122]
	s_andn2_b64 exec, exec, s[10:11]
	s_cbranch_execnz .LBB59_1015
; %bb.1016:
	s_or_b64 exec, exec, s[10:11]
.LBB59_1017:
	s_or_b64 exec, exec, s[8:9]
	v_mov_b32_e32 v125, 0
	ds_read_b64 v[125:126], v125 offset:352
	s_waitcnt lgkmcnt(0)
	v_mul_f64 v[121:122], v[121:122], v[125:126]
	buffer_store_dword v122, off, s[0:3], 0 offset:356
	buffer_store_dword v121, off, s[0:3], 0 offset:352
.LBB59_1018:
	;; [unrolled: 59-line block ×15, first 2 shown]
	s_or_b64 exec, exec, s[6:7]
	buffer_load_dword v121, off, s[0:3], 0 offset:464
	buffer_load_dword v122, off, s[0:3], 0 offset:468
	v_cmp_gt_u32_e64 s[6:7], 58, v0
	s_waitcnt vmcnt(0)
	ds_write_b64 v123, v[121:122]
	s_waitcnt lgkmcnt(0)
	; wave barrier
	s_and_saveexec_b64 s[8:9], s[6:7]
	s_cbranch_execz .LBB59_1158
; %bb.1149:
	s_and_b64 vcc, exec, s[4:5]
	s_cbranch_vccnz .LBB59_1151
; %bb.1150:
	buffer_load_dword v121, v124, s[0:3], 0 offen
	buffer_load_dword v122, v124, s[0:3], 0 offen offset:4
	ds_read_b64 v[125:126], v123
	s_waitcnt vmcnt(0) lgkmcnt(0)
	v_mul_f64 v[121:122], v[121:122], v[125:126]
	s_cbranch_execz .LBB59_1152
	s_branch .LBB59_1153
.LBB59_1151:
                                        ; implicit-def: $vgpr121_vgpr122
.LBB59_1152:
	ds_read_b64 v[121:122], v123
.LBB59_1153:
	v_cmp_ne_u32_e32 vcc, 57, v0
	s_and_saveexec_b64 s[10:11], vcc
	s_cbranch_execz .LBB59_1157
; %bb.1154:
	s_mov_b32 s12, 0
	v_add_u32_e32 v125, 0x1e8, v132
	v_add3_u32 v126, v132, s12, 8
	s_mov_b64 s[12:13], 0
	v_mov_b32_e32 v127, v0
.LBB59_1155:                            ; =>This Inner Loop Header: Depth=1
	buffer_load_dword v128, v126, s[0:3], 0 offen
	buffer_load_dword v129, v126, s[0:3], 0 offen offset:4
	ds_read_b64 v[130:131], v125
	v_add_u32_e32 v127, 1, v127
	v_cmp_lt_u32_e32 vcc, 56, v127
	v_add_u32_e32 v125, 8, v125
	s_or_b64 s[12:13], vcc, s[12:13]
	v_add_u32_e32 v126, 8, v126
	s_waitcnt vmcnt(0) lgkmcnt(0)
	v_fma_f64 v[121:122], v[128:129], v[130:131], v[121:122]
	s_andn2_b64 exec, exec, s[12:13]
	s_cbranch_execnz .LBB59_1155
; %bb.1156:
	s_or_b64 exec, exec, s[12:13]
.LBB59_1157:
	s_or_b64 exec, exec, s[10:11]
	v_mov_b32_e32 v125, 0
	ds_read_b64 v[125:126], v125 offset:464
	s_waitcnt lgkmcnt(0)
	v_mul_f64 v[121:122], v[121:122], v[125:126]
	buffer_store_dword v122, off, s[0:3], 0 offset:468
	buffer_store_dword v121, off, s[0:3], 0 offset:464
.LBB59_1158:
	s_or_b64 exec, exec, s[8:9]
	buffer_load_dword v121, off, s[0:3], 0 offset:472
	buffer_load_dword v122, off, s[0:3], 0 offset:476
	v_cmp_ne_u32_e32 vcc, 59, v0
	s_waitcnt vmcnt(0)
	ds_write_b64 v123, v[121:122]
	s_waitcnt lgkmcnt(0)
	; wave barrier
	s_and_saveexec_b64 s[8:9], vcc
	s_cbranch_execz .LBB59_1168
; %bb.1159:
	s_and_b64 vcc, exec, s[4:5]
	s_cbranch_vccnz .LBB59_1161
; %bb.1160:
	buffer_load_dword v121, v124, s[0:3], 0 offen
	buffer_load_dword v122, v124, s[0:3], 0 offen offset:4
	ds_read_b64 v[124:125], v123
	s_waitcnt vmcnt(0) lgkmcnt(0)
	v_mul_f64 v[121:122], v[121:122], v[124:125]
	s_cbranch_execz .LBB59_1162
	s_branch .LBB59_1163
.LBB59_1161:
                                        ; implicit-def: $vgpr121_vgpr122
.LBB59_1162:
	ds_read_b64 v[121:122], v123
.LBB59_1163:
	s_and_saveexec_b64 s[4:5], s[6:7]
	s_cbranch_execz .LBB59_1167
; %bb.1164:
	s_mov_b32 s6, 0
	v_add_u32_e32 v123, 0x1e8, v132
	v_add3_u32 v124, v132, s6, 8
	s_mov_b64 s[6:7], 0
.LBB59_1165:                            ; =>This Inner Loop Header: Depth=1
	buffer_load_dword v125, v124, s[0:3], 0 offen
	buffer_load_dword v126, v124, s[0:3], 0 offen offset:4
	ds_read_b64 v[127:128], v123
	v_add_u32_e32 v0, 1, v0
	v_cmp_lt_u32_e32 vcc, 57, v0
	v_add_u32_e32 v123, 8, v123
	s_or_b64 s[6:7], vcc, s[6:7]
	v_add_u32_e32 v124, 8, v124
	s_waitcnt vmcnt(0) lgkmcnt(0)
	v_fma_f64 v[121:122], v[125:126], v[127:128], v[121:122]
	s_andn2_b64 exec, exec, s[6:7]
	s_cbranch_execnz .LBB59_1165
; %bb.1166:
	s_or_b64 exec, exec, s[6:7]
.LBB59_1167:
	s_or_b64 exec, exec, s[4:5]
	v_mov_b32_e32 v0, 0
	ds_read_b64 v[123:124], v0 offset:472
	s_waitcnt lgkmcnt(0)
	v_mul_f64 v[121:122], v[121:122], v[123:124]
	buffer_store_dword v122, off, s[0:3], 0 offset:476
	buffer_store_dword v121, off, s[0:3], 0 offset:472
.LBB59_1168:
	s_or_b64 exec, exec, s[8:9]
.LBB59_1169:
	buffer_load_dword v121, off, s[0:3], 0
	buffer_load_dword v122, off, s[0:3], 0 offset:4
	buffer_load_dword v123, off, s[0:3], 0 offset:8
	;; [unrolled: 1-line block ×119, first 2 shown]
	s_waitcnt vmcnt(62)
	global_store_dwordx2 v[1:2], v[121:122], off
	global_store_dwordx2 v[3:4], v[123:124], off
	;; [unrolled: 1-line block ×29, first 2 shown]
	s_waitcnt vmcnt(62)
	global_store_dwordx2 v[65:66], v[179:180], off
	global_store_dwordx2 v[67:68], v[181:182], off
	;; [unrolled: 1-line block ×14, first 2 shown]
	s_waitcnt vmcnt(62)
	global_store_dwordx2 v[93:94], v[207:208], off
	global_store_dwordx2 v[95:96], v[209:210], off
	;; [unrolled: 1-line block ×7, first 2 shown]
	s_waitcnt vmcnt(62)
	global_store_dwordx2 v[107:108], v[221:222], off
	global_store_dwordx2 v[109:110], v[223:224], off
	global_store_dwordx2 v[111:112], v[225:226], off
	global_store_dwordx2 v[113:114], v[227:228], off
	s_waitcnt vmcnt(62)
	global_store_dwordx2 v[115:116], v[229:230], off
	global_store_dwordx2 v[117:118], v[231:232], off
	s_waitcnt vmcnt(62)
	global_store_dwordx2 v[119:120], v[233:234], off
	s_waitcnt vmcnt(61)
	;; [unrolled: 2-line block ×4, first 2 shown]
	global_store_dwordx2 v[39:40], v[239:240], off
.LBB59_1170:
	s_endpgm
	.section	.rodata,"a",@progbits
	.p2align	6, 0x0
	.amdhsa_kernel _ZN9rocsolver6v33100L18trti2_kernel_smallILi60EdPdEEv13rocblas_fill_17rocblas_diagonal_T1_iil
		.amdhsa_group_segment_fixed_size 960
		.amdhsa_private_segment_fixed_size 496
		.amdhsa_kernarg_size 32
		.amdhsa_user_sgpr_count 6
		.amdhsa_user_sgpr_private_segment_buffer 1
		.amdhsa_user_sgpr_dispatch_ptr 0
		.amdhsa_user_sgpr_queue_ptr 0
		.amdhsa_user_sgpr_kernarg_segment_ptr 1
		.amdhsa_user_sgpr_dispatch_id 0
		.amdhsa_user_sgpr_flat_scratch_init 0
		.amdhsa_user_sgpr_private_segment_size 0
		.amdhsa_uses_dynamic_stack 0
		.amdhsa_system_sgpr_private_segment_wavefront_offset 1
		.amdhsa_system_sgpr_workgroup_id_x 1
		.amdhsa_system_sgpr_workgroup_id_y 0
		.amdhsa_system_sgpr_workgroup_id_z 0
		.amdhsa_system_sgpr_workgroup_info 0
		.amdhsa_system_vgpr_workitem_id 0
		.amdhsa_next_free_vgpr 241
		.amdhsa_next_free_sgpr 73
		.amdhsa_reserve_vcc 1
		.amdhsa_reserve_flat_scratch 0
		.amdhsa_float_round_mode_32 0
		.amdhsa_float_round_mode_16_64 0
		.amdhsa_float_denorm_mode_32 3
		.amdhsa_float_denorm_mode_16_64 3
		.amdhsa_dx10_clamp 1
		.amdhsa_ieee_mode 1
		.amdhsa_fp16_overflow 0
		.amdhsa_exception_fp_ieee_invalid_op 0
		.amdhsa_exception_fp_denorm_src 0
		.amdhsa_exception_fp_ieee_div_zero 0
		.amdhsa_exception_fp_ieee_overflow 0
		.amdhsa_exception_fp_ieee_underflow 0
		.amdhsa_exception_fp_ieee_inexact 0
		.amdhsa_exception_int_div_zero 0
	.end_amdhsa_kernel
	.section	.text._ZN9rocsolver6v33100L18trti2_kernel_smallILi60EdPdEEv13rocblas_fill_17rocblas_diagonal_T1_iil,"axG",@progbits,_ZN9rocsolver6v33100L18trti2_kernel_smallILi60EdPdEEv13rocblas_fill_17rocblas_diagonal_T1_iil,comdat
.Lfunc_end59:
	.size	_ZN9rocsolver6v33100L18trti2_kernel_smallILi60EdPdEEv13rocblas_fill_17rocblas_diagonal_T1_iil, .Lfunc_end59-_ZN9rocsolver6v33100L18trti2_kernel_smallILi60EdPdEEv13rocblas_fill_17rocblas_diagonal_T1_iil
                                        ; -- End function
	.set _ZN9rocsolver6v33100L18trti2_kernel_smallILi60EdPdEEv13rocblas_fill_17rocblas_diagonal_T1_iil.num_vgpr, 241
	.set _ZN9rocsolver6v33100L18trti2_kernel_smallILi60EdPdEEv13rocblas_fill_17rocblas_diagonal_T1_iil.num_agpr, 0
	.set _ZN9rocsolver6v33100L18trti2_kernel_smallILi60EdPdEEv13rocblas_fill_17rocblas_diagonal_T1_iil.numbered_sgpr, 73
	.set _ZN9rocsolver6v33100L18trti2_kernel_smallILi60EdPdEEv13rocblas_fill_17rocblas_diagonal_T1_iil.num_named_barrier, 0
	.set _ZN9rocsolver6v33100L18trti2_kernel_smallILi60EdPdEEv13rocblas_fill_17rocblas_diagonal_T1_iil.private_seg_size, 496
	.set _ZN9rocsolver6v33100L18trti2_kernel_smallILi60EdPdEEv13rocblas_fill_17rocblas_diagonal_T1_iil.uses_vcc, 1
	.set _ZN9rocsolver6v33100L18trti2_kernel_smallILi60EdPdEEv13rocblas_fill_17rocblas_diagonal_T1_iil.uses_flat_scratch, 0
	.set _ZN9rocsolver6v33100L18trti2_kernel_smallILi60EdPdEEv13rocblas_fill_17rocblas_diagonal_T1_iil.has_dyn_sized_stack, 0
	.set _ZN9rocsolver6v33100L18trti2_kernel_smallILi60EdPdEEv13rocblas_fill_17rocblas_diagonal_T1_iil.has_recursion, 0
	.set _ZN9rocsolver6v33100L18trti2_kernel_smallILi60EdPdEEv13rocblas_fill_17rocblas_diagonal_T1_iil.has_indirect_call, 0
	.section	.AMDGPU.csdata,"",@progbits
; Kernel info:
; codeLenInByte = 35408
; TotalNumSgprs: 77
; NumVgprs: 241
; ScratchSize: 496
; MemoryBound: 0
; FloatMode: 240
; IeeeMode: 1
; LDSByteSize: 960 bytes/workgroup (compile time only)
; SGPRBlocks: 9
; VGPRBlocks: 60
; NumSGPRsForWavesPerEU: 77
; NumVGPRsForWavesPerEU: 241
; Occupancy: 1
; WaveLimiterHint : 0
; COMPUTE_PGM_RSRC2:SCRATCH_EN: 1
; COMPUTE_PGM_RSRC2:USER_SGPR: 6
; COMPUTE_PGM_RSRC2:TRAP_HANDLER: 0
; COMPUTE_PGM_RSRC2:TGID_X_EN: 1
; COMPUTE_PGM_RSRC2:TGID_Y_EN: 0
; COMPUTE_PGM_RSRC2:TGID_Z_EN: 0
; COMPUTE_PGM_RSRC2:TIDIG_COMP_CNT: 0
	.section	.text._ZN9rocsolver6v33100L18trti2_kernel_smallILi61EdPdEEv13rocblas_fill_17rocblas_diagonal_T1_iil,"axG",@progbits,_ZN9rocsolver6v33100L18trti2_kernel_smallILi61EdPdEEv13rocblas_fill_17rocblas_diagonal_T1_iil,comdat
	.globl	_ZN9rocsolver6v33100L18trti2_kernel_smallILi61EdPdEEv13rocblas_fill_17rocblas_diagonal_T1_iil ; -- Begin function _ZN9rocsolver6v33100L18trti2_kernel_smallILi61EdPdEEv13rocblas_fill_17rocblas_diagonal_T1_iil
	.p2align	8
	.type	_ZN9rocsolver6v33100L18trti2_kernel_smallILi61EdPdEEv13rocblas_fill_17rocblas_diagonal_T1_iil,@function
_ZN9rocsolver6v33100L18trti2_kernel_smallILi61EdPdEEv13rocblas_fill_17rocblas_diagonal_T1_iil: ; @_ZN9rocsolver6v33100L18trti2_kernel_smallILi61EdPdEEv13rocblas_fill_17rocblas_diagonal_T1_iil
; %bb.0:
	s_add_u32 s0, s0, s7
	s_addc_u32 s1, s1, 0
	v_cmp_gt_u32_e32 vcc, 61, v0
	s_and_saveexec_b64 s[8:9], vcc
	s_cbranch_execz .LBB60_1190
; %bb.1:
	s_load_dwordx8 s[8:15], s[4:5], 0x0
	s_ashr_i32 s7, s6, 31
	v_lshlrev_b32_e32 v172, 3, v0
	s_waitcnt lgkmcnt(0)
	s_ashr_i32 s5, s12, 31
	s_mov_b32 s4, s12
	s_mul_hi_u32 s12, s14, s6
	s_mul_i32 s7, s14, s7
	s_add_i32 s7, s12, s7
	s_mul_i32 s12, s15, s6
	s_add_i32 s7, s7, s12
	s_mul_i32 s6, s14, s6
	s_lshl_b64 s[6:7], s[6:7], 3
	s_add_u32 s6, s10, s6
	s_addc_u32 s7, s11, s7
	s_lshl_b64 s[4:5], s[4:5], 3
	s_add_u32 s4, s6, s4
	s_addc_u32 s5, s7, s5
	v_mov_b32_e32 v2, s5
	v_add_co_u32_e32 v1, vcc, s4, v172
	s_ashr_i32 s7, s13, 31
	s_mov_b32 s6, s13
	v_addc_co_u32_e32 v2, vcc, 0, v2, vcc
	s_lshl_b64 s[6:7], s[6:7], 3
	v_add_co_u32_e32 v3, vcc, s6, v1
	s_add_i32 s6, s13, s13
	v_add_u32_e32 v7, s6, v0
	v_ashrrev_i32_e32 v8, 31, v7
	v_mov_b32_e32 v4, s7
	v_lshlrev_b64 v[5:6], 3, v[7:8]
	v_addc_co_u32_e32 v4, vcc, v2, v4, vcc
	v_add_u32_e32 v9, s13, v7
	v_mov_b32_e32 v8, s5
	v_add_co_u32_e32 v5, vcc, s4, v5
	v_ashrrev_i32_e32 v10, 31, v9
	v_addc_co_u32_e32 v6, vcc, v8, v6, vcc
	v_lshlrev_b64 v[7:8], 3, v[9:10]
	v_add_u32_e32 v11, s13, v9
	v_mov_b32_e32 v10, s5
	v_add_co_u32_e32 v7, vcc, s4, v7
	v_ashrrev_i32_e32 v12, 31, v11
	v_addc_co_u32_e32 v8, vcc, v10, v8, vcc
	v_lshlrev_b64 v[9:10], 3, v[11:12]
	;; [unrolled: 6-line block ×17, first 2 shown]
	v_mov_b32_e32 v42, s5
	v_add_co_u32_e32 v39, vcc, s4, v39
	global_load_dwordx2 v[43:44], v172, s[4:5]
	global_load_dwordx2 v[45:46], v[3:4], off
	global_load_dwordx2 v[47:48], v[5:6], off
	global_load_dwordx2 v[49:50], v[7:8], off
	global_load_dwordx2 v[51:52], v[9:10], off
	global_load_dwordx2 v[53:54], v[11:12], off
	global_load_dwordx2 v[55:56], v[13:14], off
	global_load_dwordx2 v[57:58], v[15:16], off
	global_load_dwordx2 v[59:60], v[17:18], off
	global_load_dwordx2 v[61:62], v[19:20], off
	global_load_dwordx2 v[63:64], v[21:22], off
	global_load_dwordx2 v[65:66], v[23:24], off
	global_load_dwordx2 v[67:68], v[25:26], off
	global_load_dwordx2 v[69:70], v[27:28], off
	global_load_dwordx2 v[71:72], v[29:30], off
	global_load_dwordx2 v[73:74], v[31:32], off
	global_load_dwordx2 v[75:76], v[33:34], off
	v_addc_co_u32_e32 v40, vcc, v42, v40, vcc
	global_load_dwordx2 v[77:78], v[35:36], off
	global_load_dwordx2 v[79:80], v[37:38], off
	;; [unrolled: 1-line block ×3, first 2 shown]
	v_add_u32_e32 v83, s13, v41
	v_ashrrev_i32_e32 v84, 31, v83
	v_lshlrev_b64 v[41:42], 3, v[83:84]
	v_mov_b32_e32 v84, s5
	v_add_co_u32_e32 v41, vcc, s4, v41
	v_addc_co_u32_e32 v42, vcc, v84, v42, vcc
	global_load_dwordx2 v[123:124], v[41:42], off
	s_waitcnt vmcnt(20)
	buffer_store_dword v44, off, s[0:3], 0 offset:4
	buffer_store_dword v43, off, s[0:3], 0
	s_waitcnt vmcnt(21)
	buffer_store_dword v46, off, s[0:3], 0 offset:12
	buffer_store_dword v45, off, s[0:3], 0 offset:8
	s_waitcnt vmcnt(22)
	buffer_store_dword v48, off, s[0:3], 0 offset:20
	buffer_store_dword v47, off, s[0:3], 0 offset:16
	;; [unrolled: 3-line block ×19, first 2 shown]
	s_waitcnt vmcnt(40)
	buffer_store_dword v124, off, s[0:3], 0 offset:164
	v_add_u32_e32 v45, s13, v83
	v_ashrrev_i32_e32 v46, 31, v45
	v_lshlrev_b64 v[43:44], 3, v[45:46]
	v_add_u32_e32 v47, s13, v45
	v_mov_b32_e32 v46, s5
	v_add_co_u32_e32 v43, vcc, s4, v43
	v_ashrrev_i32_e32 v48, 31, v47
	v_addc_co_u32_e32 v44, vcc, v46, v44, vcc
	v_lshlrev_b64 v[45:46], 3, v[47:48]
	v_add_u32_e32 v49, s13, v47
	v_mov_b32_e32 v48, s5
	v_add_co_u32_e32 v45, vcc, s4, v45
	v_ashrrev_i32_e32 v50, 31, v49
	v_addc_co_u32_e32 v46, vcc, v48, v46, vcc
	;; [unrolled: 6-line block ×38, first 2 shown]
	v_lshlrev_b64 v[119:120], 3, v[121:122]
	v_mov_b32_e32 v122, s5
	v_add_co_u32_e32 v119, vcc, s4, v119
	v_add_u32_e32 v121, s13, v121
	v_addc_co_u32_e32 v120, vcc, v122, v120, vcc
	v_ashrrev_i32_e32 v122, 31, v121
	v_lshlrev_b64 v[121:122], 3, v[121:122]
	global_load_dwordx2 v[130:131], v[43:44], off
	global_load_dwordx2 v[128:129], v[45:46], off
	;; [unrolled: 1-line block ×39, first 2 shown]
	v_mov_b32_e32 v203, s5
	v_add_co_u32_e32 v121, vcc, s4, v121
	v_addc_co_u32_e32 v122, vcc, v203, v122, vcc
	global_load_dwordx2 v[203:204], v[121:122], off
	s_nop 0
	buffer_store_dword v123, off, s[0:3], 0 offset:160
	s_waitcnt vmcnt(40)
	buffer_store_dword v130, off, s[0:3], 0 offset:168
	buffer_store_dword v131, off, s[0:3], 0 offset:172
	s_waitcnt vmcnt(41)
	buffer_store_dword v128, off, s[0:3], 0 offset:176
	;; [unrolled: 3-line block ×24, first 2 shown]
	buffer_store_dword v164, off, s[0:3], 0 offset:352
	buffer_store_dword v173, off, s[0:3], 0 offset:360
	;; [unrolled: 1-line block ×3, first 2 shown]
	s_waitcnt vmcnt(62)
	buffer_store_dword v175, off, s[0:3], 0 offset:368
	buffer_store_dword v176, off, s[0:3], 0 offset:372
	;; [unrolled: 1-line block ×8, first 2 shown]
	s_waitcnt vmcnt(62)
	buffer_store_dword v184, off, s[0:3], 0 offset:404
	buffer_store_dword v183, off, s[0:3], 0 offset:400
	;; [unrolled: 1-line block ×16, first 2 shown]
	s_waitcnt vmcnt(62)
	buffer_store_dword v199, off, s[0:3], 0 offset:464
	buffer_store_dword v200, off, s[0:3], 0 offset:468
	;; [unrolled: 1-line block ×5, first 2 shown]
	v_mov_b32_e32 v123, 0
	s_cmpk_lg_i32 s9, 0x84
	v_mov_b32_e32 v124, 0xbff00000
	s_cselect_b64 s[10:11], -1, 0
	s_cmpk_eq_i32 s9, 0x84
	buffer_store_dword v204, off, s[0:3], 0 offset:484
	s_cbranch_scc1 .LBB60_3
; %bb.2:
	v_mov_b32_e32 v123, 0
	v_lshl_add_u32 v133, v0, 3, v123
	buffer_load_dword v123, v133, s[0:3], 0 offen
	buffer_load_dword v124, v133, s[0:3], 0 offen offset:4
	s_waitcnt vmcnt(0)
	v_div_scale_f64 v[125:126], s[4:5], v[123:124], v[123:124], 1.0
	v_rcp_f64_e32 v[127:128], v[125:126]
	v_fma_f64 v[129:130], -v[125:126], v[127:128], 1.0
	v_fma_f64 v[127:128], v[127:128], v[129:130], v[127:128]
	v_div_scale_f64 v[129:130], vcc, 1.0, v[123:124], 1.0
	v_fma_f64 v[131:132], -v[125:126], v[127:128], 1.0
	v_fma_f64 v[127:128], v[127:128], v[131:132], v[127:128]
	v_mul_f64 v[131:132], v[129:130], v[127:128]
	v_fma_f64 v[125:126], -v[125:126], v[131:132], v[129:130]
	v_div_fmas_f64 v[125:126], v[125:126], v[127:128], v[131:132]
	v_div_fixup_f64 v[123:124], v[125:126], v[123:124], 1.0
	buffer_store_dword v123, v133, s[0:3], 0 offen
	buffer_store_dword v124, v133, s[0:3], 0 offen offset:4
	v_xor_b32_e32 v124, 0x80000000, v124
.LBB60_3:
	s_cmpk_eq_i32 s8, 0x79
	v_add_u32_e32 v125, 0x1f0, v172
	v_mov_b32_e32 v126, v172
	s_mov_b64 s[4:5], -1
	ds_write_b64 v172, v[123:124]
	s_cbranch_scc1 .LBB60_597
; %bb.4:
	buffer_load_dword v123, off, s[0:3], 0 offset:472
	buffer_load_dword v124, off, s[0:3], 0 offset:476
	s_movk_i32 s12, 0x48
	s_movk_i32 s13, 0x50
	;; [unrolled: 1-line block ×50, first 2 shown]
	v_cmp_eq_u32_e64 s[4:5], 60, v0
	s_waitcnt vmcnt(0)
	ds_write_b64 v125, v[123:124]
	s_waitcnt lgkmcnt(0)
	; wave barrier
	s_and_saveexec_b64 s[6:7], s[4:5]
	s_cbranch_execz .LBB60_10
; %bb.5:
	s_and_b64 vcc, exec, s[10:11]
	s_cbranch_vccz .LBB60_7
; %bb.6:
	buffer_load_dword v123, v126, s[0:3], 0 offen
	buffer_load_dword v124, v126, s[0:3], 0 offen offset:4
	ds_read_b64 v[127:128], v125
	s_waitcnt vmcnt(0) lgkmcnt(0)
	v_mul_f64 v[123:124], v[123:124], v[127:128]
	s_cbranch_execz .LBB60_8
	s_branch .LBB60_9
.LBB60_7:
                                        ; implicit-def: $vgpr123_vgpr124
.LBB60_8:
	ds_read_b64 v[123:124], v125
.LBB60_9:
	v_mov_b32_e32 v127, 0
	ds_read_b64 v[127:128], v127 offset:472
	s_waitcnt lgkmcnt(0)
	v_mul_f64 v[123:124], v[123:124], v[127:128]
	buffer_store_dword v124, off, s[0:3], 0 offset:476
	buffer_store_dword v123, off, s[0:3], 0 offset:472
.LBB60_10:
	s_or_b64 exec, exec, s[6:7]
	buffer_load_dword v123, off, s[0:3], 0 offset:464
	buffer_load_dword v124, off, s[0:3], 0 offset:468
	s_or_b32 s14, 0, 8
	s_mov_b32 s15, 16
	s_mov_b32 s16, 24
	;; [unrolled: 1-line block ×9, first 2 shown]
	v_cmp_lt_u32_e64 s[6:7], 58, v0
	s_waitcnt vmcnt(0)
	ds_write_b64 v125, v[123:124]
	s_waitcnt lgkmcnt(0)
	; wave barrier
	s_and_saveexec_b64 s[8:9], s[6:7]
	s_cbranch_execz .LBB60_16
; %bb.11:
	s_andn2_b64 vcc, exec, s[10:11]
	s_cbranch_vccnz .LBB60_13
; %bb.12:
	buffer_load_dword v123, v126, s[0:3], 0 offen
	buffer_load_dword v124, v126, s[0:3], 0 offen offset:4
	ds_read_b64 v[127:128], v125
	s_waitcnt vmcnt(0) lgkmcnt(0)
	v_mul_f64 v[123:124], v[123:124], v[127:128]
	s_cbranch_execz .LBB60_14
	s_branch .LBB60_15
.LBB60_13:
                                        ; implicit-def: $vgpr123_vgpr124
.LBB60_14:
	ds_read_b64 v[123:124], v125
.LBB60_15:
	buffer_load_dword v131, off, s[0:3], 0 offset:472
	buffer_load_dword v132, off, s[0:3], 0 offset:476
	v_mov_b32_e32 v127, 0
	ds_read2_b64 v[127:130], v127 offset0:58 offset1:121
	s_waitcnt vmcnt(0) lgkmcnt(0)
	v_fma_f64 v[129:130], v[131:132], v[129:130], v[123:124]
	v_cndmask_b32_e64 v124, v124, v130, s[4:5]
	v_cndmask_b32_e64 v123, v123, v129, s[4:5]
	v_mul_f64 v[123:124], v[123:124], v[127:128]
	buffer_store_dword v124, off, s[0:3], 0 offset:468
	buffer_store_dword v123, off, s[0:3], 0 offset:464
.LBB60_16:
	s_or_b64 exec, exec, s[8:9]
	buffer_load_dword v123, off, s[0:3], 0 offset:456
	buffer_load_dword v124, off, s[0:3], 0 offset:460
	v_cmp_lt_u32_e64 s[4:5], 57, v0
	s_waitcnt vmcnt(0)
	ds_write_b64 v125, v[123:124]
	s_waitcnt lgkmcnt(0)
	; wave barrier
	s_and_saveexec_b64 s[8:9], s[4:5]
	s_cbranch_execz .LBB60_26
; %bb.17:
	s_andn2_b64 vcc, exec, s[10:11]
	s_cbranch_vccnz .LBB60_19
; %bb.18:
	buffer_load_dword v123, v126, s[0:3], 0 offen
	buffer_load_dword v124, v126, s[0:3], 0 offen offset:4
	ds_read_b64 v[127:128], v125
	s_waitcnt vmcnt(0) lgkmcnt(0)
	v_mul_f64 v[123:124], v[123:124], v[127:128]
	s_cbranch_execz .LBB60_20
	s_branch .LBB60_21
.LBB60_19:
                                        ; implicit-def: $vgpr123_vgpr124
.LBB60_20:
	ds_read_b64 v[123:124], v125
.LBB60_21:
	s_and_saveexec_b64 s[12:13], s[6:7]
	s_cbranch_execz .LBB60_25
; %bb.22:
	v_subrev_u32_e32 v127, 58, v0
	s_movk_i32 s73, 0x3c0
	s_mov_b64 s[6:7], 0
.LBB60_23:                              ; =>This Inner Loop Header: Depth=1
	v_mov_b32_e32 v129, s72
	buffer_load_dword v128, v129, s[0:3], 0 offen
	s_nop 0
	buffer_load_dword v129, v129, s[0:3], 0 offen offset:4
	v_mov_b32_e32 v130, s73
	ds_read_b64 v[130:131], v130
	v_add_u32_e32 v127, -1, v127
	s_add_i32 s73, s73, 8
	s_add_i32 s72, s72, 8
	v_cmp_eq_u32_e32 vcc, 0, v127
	s_or_b64 s[6:7], vcc, s[6:7]
	s_waitcnt vmcnt(0) lgkmcnt(0)
	v_fma_f64 v[123:124], v[128:129], v[130:131], v[123:124]
	s_andn2_b64 exec, exec, s[6:7]
	s_cbranch_execnz .LBB60_23
; %bb.24:
	s_or_b64 exec, exec, s[6:7]
.LBB60_25:
	s_or_b64 exec, exec, s[12:13]
	v_mov_b32_e32 v127, 0
	ds_read_b64 v[127:128], v127 offset:456
	s_waitcnt lgkmcnt(0)
	v_mul_f64 v[123:124], v[123:124], v[127:128]
	buffer_store_dword v124, off, s[0:3], 0 offset:460
	buffer_store_dword v123, off, s[0:3], 0 offset:456
.LBB60_26:
	s_or_b64 exec, exec, s[8:9]
	buffer_load_dword v123, off, s[0:3], 0 offset:448
	buffer_load_dword v124, off, s[0:3], 0 offset:452
	v_cmp_lt_u32_e64 s[6:7], 56, v0
	s_waitcnt vmcnt(0)
	ds_write_b64 v125, v[123:124]
	s_waitcnt lgkmcnt(0)
	; wave barrier
	s_and_saveexec_b64 s[8:9], s[6:7]
	s_cbranch_execz .LBB60_36
; %bb.27:
	s_andn2_b64 vcc, exec, s[10:11]
	s_cbranch_vccnz .LBB60_29
; %bb.28:
	buffer_load_dword v123, v126, s[0:3], 0 offen
	buffer_load_dword v124, v126, s[0:3], 0 offen offset:4
	ds_read_b64 v[127:128], v125
	s_waitcnt vmcnt(0) lgkmcnt(0)
	v_mul_f64 v[123:124], v[123:124], v[127:128]
	s_cbranch_execz .LBB60_30
	s_branch .LBB60_31
.LBB60_29:
                                        ; implicit-def: $vgpr123_vgpr124
.LBB60_30:
	ds_read_b64 v[123:124], v125
.LBB60_31:
	s_and_saveexec_b64 s[12:13], s[4:5]
	s_cbranch_execz .LBB60_35
; %bb.32:
	v_subrev_u32_e32 v127, 57, v0
	s_movk_i32 s72, 0x3b8
	s_mov_b64 s[4:5], 0
.LBB60_33:                              ; =>This Inner Loop Header: Depth=1
	v_mov_b32_e32 v129, s71
	buffer_load_dword v128, v129, s[0:3], 0 offen
	s_nop 0
	buffer_load_dword v129, v129, s[0:3], 0 offen offset:4
	v_mov_b32_e32 v130, s72
	ds_read_b64 v[130:131], v130
	v_add_u32_e32 v127, -1, v127
	s_add_i32 s72, s72, 8
	s_add_i32 s71, s71, 8
	v_cmp_eq_u32_e32 vcc, 0, v127
	s_or_b64 s[4:5], vcc, s[4:5]
	s_waitcnt vmcnt(0) lgkmcnt(0)
	v_fma_f64 v[123:124], v[128:129], v[130:131], v[123:124]
	s_andn2_b64 exec, exec, s[4:5]
	s_cbranch_execnz .LBB60_33
; %bb.34:
	s_or_b64 exec, exec, s[4:5]
.LBB60_35:
	s_or_b64 exec, exec, s[12:13]
	v_mov_b32_e32 v127, 0
	ds_read_b64 v[127:128], v127 offset:448
	s_waitcnt lgkmcnt(0)
	v_mul_f64 v[123:124], v[123:124], v[127:128]
	buffer_store_dword v124, off, s[0:3], 0 offset:452
	buffer_store_dword v123, off, s[0:3], 0 offset:448
.LBB60_36:
	;; [unrolled: 59-line block ×8, first 2 shown]
	s_or_b64 exec, exec, s[8:9]
	buffer_load_dword v123, off, s[0:3], 0 offset:392
	buffer_load_dword v124, off, s[0:3], 0 offset:396
	v_cmp_lt_u32_e64 s[4:5], 49, v0
	s_waitcnt vmcnt(0)
	ds_write_b64 v125, v[123:124]
	s_waitcnt lgkmcnt(0)
	; wave barrier
	s_and_saveexec_b64 s[8:9], s[4:5]
	s_cbranch_execz .LBB60_106
; %bb.97:
	s_andn2_b64 vcc, exec, s[10:11]
	s_cbranch_vccnz .LBB60_99
; %bb.98:
	buffer_load_dword v123, v126, s[0:3], 0 offen
	buffer_load_dword v124, v126, s[0:3], 0 offen offset:4
	ds_read_b64 v[127:128], v125
	s_waitcnt vmcnt(0) lgkmcnt(0)
	v_mul_f64 v[123:124], v[123:124], v[127:128]
	s_cbranch_execz .LBB60_100
	s_branch .LBB60_101
.LBB60_99:
                                        ; implicit-def: $vgpr123_vgpr124
.LBB60_100:
	ds_read_b64 v[123:124], v125
.LBB60_101:
	s_and_saveexec_b64 s[12:13], s[6:7]
	s_cbranch_execz .LBB60_105
; %bb.102:
	v_subrev_u32_e32 v127, 50, v0
	s_movk_i32 s65, 0x380
	s_mov_b64 s[6:7], 0
.LBB60_103:                             ; =>This Inner Loop Header: Depth=1
	v_mov_b32_e32 v129, s64
	buffer_load_dword v128, v129, s[0:3], 0 offen
	s_nop 0
	buffer_load_dword v129, v129, s[0:3], 0 offen offset:4
	v_mov_b32_e32 v130, s65
	ds_read_b64 v[130:131], v130
	v_add_u32_e32 v127, -1, v127
	s_add_i32 s65, s65, 8
	s_add_i32 s64, s64, 8
	v_cmp_eq_u32_e32 vcc, 0, v127
	s_or_b64 s[6:7], vcc, s[6:7]
	s_waitcnt vmcnt(0) lgkmcnt(0)
	v_fma_f64 v[123:124], v[128:129], v[130:131], v[123:124]
	s_andn2_b64 exec, exec, s[6:7]
	s_cbranch_execnz .LBB60_103
; %bb.104:
	s_or_b64 exec, exec, s[6:7]
.LBB60_105:
	s_or_b64 exec, exec, s[12:13]
	v_mov_b32_e32 v127, 0
	ds_read_b64 v[127:128], v127 offset:392
	s_waitcnt lgkmcnt(0)
	v_mul_f64 v[123:124], v[123:124], v[127:128]
	buffer_store_dword v124, off, s[0:3], 0 offset:396
	buffer_store_dword v123, off, s[0:3], 0 offset:392
.LBB60_106:
	s_or_b64 exec, exec, s[8:9]
	buffer_load_dword v123, off, s[0:3], 0 offset:384
	buffer_load_dword v124, off, s[0:3], 0 offset:388
	v_cmp_lt_u32_e64 s[6:7], 48, v0
	s_waitcnt vmcnt(0)
	ds_write_b64 v125, v[123:124]
	s_waitcnt lgkmcnt(0)
	; wave barrier
	s_and_saveexec_b64 s[8:9], s[6:7]
	s_cbranch_execz .LBB60_116
; %bb.107:
	s_andn2_b64 vcc, exec, s[10:11]
	s_cbranch_vccnz .LBB60_109
; %bb.108:
	buffer_load_dword v123, v126, s[0:3], 0 offen
	buffer_load_dword v124, v126, s[0:3], 0 offen offset:4
	ds_read_b64 v[127:128], v125
	s_waitcnt vmcnt(0) lgkmcnt(0)
	v_mul_f64 v[123:124], v[123:124], v[127:128]
	s_cbranch_execz .LBB60_110
	s_branch .LBB60_111
.LBB60_109:
                                        ; implicit-def: $vgpr123_vgpr124
.LBB60_110:
	ds_read_b64 v[123:124], v125
.LBB60_111:
	s_and_saveexec_b64 s[12:13], s[4:5]
	s_cbranch_execz .LBB60_115
; %bb.112:
	v_subrev_u32_e32 v127, 49, v0
	s_movk_i32 s64, 0x378
	s_mov_b64 s[4:5], 0
.LBB60_113:                             ; =>This Inner Loop Header: Depth=1
	v_mov_b32_e32 v129, s63
	buffer_load_dword v128, v129, s[0:3], 0 offen
	s_nop 0
	buffer_load_dword v129, v129, s[0:3], 0 offen offset:4
	v_mov_b32_e32 v130, s64
	ds_read_b64 v[130:131], v130
	v_add_u32_e32 v127, -1, v127
	s_add_i32 s64, s64, 8
	s_add_i32 s63, s63, 8
	v_cmp_eq_u32_e32 vcc, 0, v127
	s_or_b64 s[4:5], vcc, s[4:5]
	s_waitcnt vmcnt(0) lgkmcnt(0)
	v_fma_f64 v[123:124], v[128:129], v[130:131], v[123:124]
	s_andn2_b64 exec, exec, s[4:5]
	s_cbranch_execnz .LBB60_113
; %bb.114:
	s_or_b64 exec, exec, s[4:5]
.LBB60_115:
	s_or_b64 exec, exec, s[12:13]
	v_mov_b32_e32 v127, 0
	ds_read_b64 v[127:128], v127 offset:384
	s_waitcnt lgkmcnt(0)
	v_mul_f64 v[123:124], v[123:124], v[127:128]
	buffer_store_dword v124, off, s[0:3], 0 offset:388
	buffer_store_dword v123, off, s[0:3], 0 offset:384
.LBB60_116:
	;; [unrolled: 59-line block ×34, first 2 shown]
	s_or_b64 exec, exec, s[8:9]
	buffer_load_dword v123, off, s[0:3], 0 offset:120
	buffer_load_dword v124, off, s[0:3], 0 offset:124
	v_cmp_lt_u32_e64 s[4:5], 15, v0
	s_waitcnt vmcnt(0)
	ds_write_b64 v125, v[123:124]
	s_waitcnt lgkmcnt(0)
	; wave barrier
	s_and_saveexec_b64 s[8:9], s[4:5]
	s_cbranch_execz .LBB60_446
; %bb.437:
	s_andn2_b64 vcc, exec, s[10:11]
	s_cbranch_vccnz .LBB60_439
; %bb.438:
	buffer_load_dword v123, v126, s[0:3], 0 offen
	buffer_load_dword v124, v126, s[0:3], 0 offen offset:4
	ds_read_b64 v[127:128], v125
	s_waitcnt vmcnt(0) lgkmcnt(0)
	v_mul_f64 v[123:124], v[123:124], v[127:128]
	s_cbranch_execz .LBB60_440
	s_branch .LBB60_441
.LBB60_439:
                                        ; implicit-def: $vgpr123_vgpr124
.LBB60_440:
	ds_read_b64 v[123:124], v125
.LBB60_441:
	s_and_saveexec_b64 s[12:13], s[6:7]
	s_cbranch_execz .LBB60_445
; %bb.442:
	v_add_u32_e32 v127, -16, v0
	s_movk_i32 s30, 0x270
	s_mov_b64 s[6:7], 0
.LBB60_443:                             ; =>This Inner Loop Header: Depth=1
	v_mov_b32_e32 v129, s29
	buffer_load_dword v128, v129, s[0:3], 0 offen
	s_nop 0
	buffer_load_dword v129, v129, s[0:3], 0 offen offset:4
	v_mov_b32_e32 v130, s30
	ds_read_b64 v[130:131], v130
	v_add_u32_e32 v127, -1, v127
	s_add_i32 s30, s30, 8
	s_add_i32 s29, s29, 8
	v_cmp_eq_u32_e32 vcc, 0, v127
	s_or_b64 s[6:7], vcc, s[6:7]
	s_waitcnt vmcnt(0) lgkmcnt(0)
	v_fma_f64 v[123:124], v[128:129], v[130:131], v[123:124]
	s_andn2_b64 exec, exec, s[6:7]
	s_cbranch_execnz .LBB60_443
; %bb.444:
	s_or_b64 exec, exec, s[6:7]
.LBB60_445:
	s_or_b64 exec, exec, s[12:13]
	v_mov_b32_e32 v127, 0
	ds_read_b64 v[127:128], v127 offset:120
	s_waitcnt lgkmcnt(0)
	v_mul_f64 v[123:124], v[123:124], v[127:128]
	buffer_store_dword v124, off, s[0:3], 0 offset:124
	buffer_store_dword v123, off, s[0:3], 0 offset:120
.LBB60_446:
	s_or_b64 exec, exec, s[8:9]
	buffer_load_dword v123, off, s[0:3], 0 offset:112
	buffer_load_dword v124, off, s[0:3], 0 offset:116
	v_cmp_lt_u32_e64 s[6:7], 14, v0
	s_waitcnt vmcnt(0)
	ds_write_b64 v125, v[123:124]
	s_waitcnt lgkmcnt(0)
	; wave barrier
	s_and_saveexec_b64 s[8:9], s[6:7]
	s_cbranch_execz .LBB60_456
; %bb.447:
	s_andn2_b64 vcc, exec, s[10:11]
	s_cbranch_vccnz .LBB60_449
; %bb.448:
	buffer_load_dword v123, v126, s[0:3], 0 offen
	buffer_load_dword v124, v126, s[0:3], 0 offen offset:4
	ds_read_b64 v[127:128], v125
	s_waitcnt vmcnt(0) lgkmcnt(0)
	v_mul_f64 v[123:124], v[123:124], v[127:128]
	s_cbranch_execz .LBB60_450
	s_branch .LBB60_451
.LBB60_449:
                                        ; implicit-def: $vgpr123_vgpr124
.LBB60_450:
	ds_read_b64 v[123:124], v125
.LBB60_451:
	s_and_saveexec_b64 s[12:13], s[4:5]
	s_cbranch_execz .LBB60_455
; %bb.452:
	v_add_u32_e32 v127, -15, v0
	s_movk_i32 s29, 0x268
	s_mov_b64 s[4:5], 0
.LBB60_453:                             ; =>This Inner Loop Header: Depth=1
	v_mov_b32_e32 v129, s28
	buffer_load_dword v128, v129, s[0:3], 0 offen
	s_nop 0
	buffer_load_dword v129, v129, s[0:3], 0 offen offset:4
	v_mov_b32_e32 v130, s29
	ds_read_b64 v[130:131], v130
	v_add_u32_e32 v127, -1, v127
	s_add_i32 s29, s29, 8
	s_add_i32 s28, s28, 8
	v_cmp_eq_u32_e32 vcc, 0, v127
	s_or_b64 s[4:5], vcc, s[4:5]
	s_waitcnt vmcnt(0) lgkmcnt(0)
	v_fma_f64 v[123:124], v[128:129], v[130:131], v[123:124]
	s_andn2_b64 exec, exec, s[4:5]
	s_cbranch_execnz .LBB60_453
; %bb.454:
	s_or_b64 exec, exec, s[4:5]
.LBB60_455:
	s_or_b64 exec, exec, s[12:13]
	v_mov_b32_e32 v127, 0
	ds_read_b64 v[127:128], v127 offset:112
	s_waitcnt lgkmcnt(0)
	v_mul_f64 v[123:124], v[123:124], v[127:128]
	buffer_store_dword v124, off, s[0:3], 0 offset:116
	buffer_store_dword v123, off, s[0:3], 0 offset:112
.LBB60_456:
	;; [unrolled: 59-line block ×15, first 2 shown]
	s_or_b64 exec, exec, s[8:9]
	buffer_load_dword v123, off, s[0:3], 0
	buffer_load_dword v124, off, s[0:3], 0 offset:4
	v_cmp_ne_u32_e32 vcc, 0, v0
	s_waitcnt vmcnt(0)
	ds_write_b64 v125, v[123:124]
	s_waitcnt lgkmcnt(0)
	; wave barrier
	s_and_saveexec_b64 s[6:7], vcc
	s_cbranch_execz .LBB60_596
; %bb.587:
	s_andn2_b64 vcc, exec, s[10:11]
	s_cbranch_vccnz .LBB60_589
; %bb.588:
	buffer_load_dword v123, v126, s[0:3], 0 offen
	buffer_load_dword v124, v126, s[0:3], 0 offen offset:4
	ds_read_b64 v[127:128], v125
	s_waitcnt vmcnt(0) lgkmcnt(0)
	v_mul_f64 v[123:124], v[123:124], v[127:128]
	s_cbranch_execz .LBB60_590
	s_branch .LBB60_591
.LBB60_589:
                                        ; implicit-def: $vgpr123_vgpr124
.LBB60_590:
	ds_read_b64 v[123:124], v125
.LBB60_591:
	s_and_saveexec_b64 s[8:9], s[4:5]
	s_cbranch_execz .LBB60_595
; %bb.592:
	v_add_u32_e32 v127, -1, v0
	s_movk_i32 s12, 0x1f8
	s_mov_b64 s[4:5], 0
.LBB60_593:                             ; =>This Inner Loop Header: Depth=1
	v_mov_b32_e32 v129, s14
	buffer_load_dword v128, v129, s[0:3], 0 offen
	s_nop 0
	buffer_load_dword v129, v129, s[0:3], 0 offen offset:4
	v_mov_b32_e32 v130, s12
	ds_read_b64 v[130:131], v130
	v_add_u32_e32 v127, -1, v127
	s_add_i32 s12, s12, 8
	s_add_i32 s14, s14, 8
	v_cmp_eq_u32_e32 vcc, 0, v127
	s_or_b64 s[4:5], vcc, s[4:5]
	s_waitcnt vmcnt(0) lgkmcnt(0)
	v_fma_f64 v[123:124], v[128:129], v[130:131], v[123:124]
	s_andn2_b64 exec, exec, s[4:5]
	s_cbranch_execnz .LBB60_593
; %bb.594:
	s_or_b64 exec, exec, s[4:5]
.LBB60_595:
	s_or_b64 exec, exec, s[8:9]
	v_mov_b32_e32 v127, 0
	ds_read_b64 v[127:128], v127
	s_waitcnt lgkmcnt(0)
	v_mul_f64 v[123:124], v[123:124], v[127:128]
	buffer_store_dword v124, off, s[0:3], 0 offset:4
	buffer_store_dword v123, off, s[0:3], 0
.LBB60_596:
	s_or_b64 exec, exec, s[6:7]
	s_mov_b64 s[4:5], 0
.LBB60_597:
	s_and_b64 vcc, exec, s[4:5]
	s_cbranch_vccz .LBB60_1189
; %bb.598:
	buffer_load_dword v123, off, s[0:3], 0 offset:8
	buffer_load_dword v124, off, s[0:3], 0 offset:12
	v_cmp_eq_u32_e64 s[6:7], 0, v0
	s_waitcnt vmcnt(0)
	ds_write_b64 v125, v[123:124]
	s_waitcnt lgkmcnt(0)
	; wave barrier
	s_and_saveexec_b64 s[4:5], s[6:7]
	s_cbranch_execz .LBB60_604
; %bb.599:
	s_and_b64 vcc, exec, s[10:11]
	s_cbranch_vccz .LBB60_601
; %bb.600:
	buffer_load_dword v123, v126, s[0:3], 0 offen
	buffer_load_dword v124, v126, s[0:3], 0 offen offset:4
	ds_read_b64 v[127:128], v125
	s_waitcnt vmcnt(0) lgkmcnt(0)
	v_mul_f64 v[123:124], v[123:124], v[127:128]
	s_cbranch_execz .LBB60_602
	s_branch .LBB60_603
.LBB60_601:
                                        ; implicit-def: $vgpr123_vgpr124
.LBB60_602:
	ds_read_b64 v[123:124], v125
.LBB60_603:
	v_mov_b32_e32 v127, 0
	ds_read_b64 v[127:128], v127 offset:8
	s_waitcnt lgkmcnt(0)
	v_mul_f64 v[123:124], v[123:124], v[127:128]
	buffer_store_dword v124, off, s[0:3], 0 offset:12
	buffer_store_dword v123, off, s[0:3], 0 offset:8
.LBB60_604:
	s_or_b64 exec, exec, s[4:5]
	buffer_load_dword v123, off, s[0:3], 0 offset:16
	buffer_load_dword v124, off, s[0:3], 0 offset:20
	v_cndmask_b32_e64 v127, 0, 1, s[10:11]
	v_cmp_gt_u32_e32 vcc, 2, v0
	v_cmp_ne_u32_e64 s[4:5], 1, v127
	s_waitcnt vmcnt(0)
	ds_write_b64 v125, v[123:124]
	s_waitcnt lgkmcnt(0)
	; wave barrier
	s_and_saveexec_b64 s[8:9], vcc
	s_cbranch_execz .LBB60_610
; %bb.605:
	s_and_b64 vcc, exec, s[4:5]
	s_cbranch_vccnz .LBB60_607
; %bb.606:
	buffer_load_dword v123, v126, s[0:3], 0 offen
	buffer_load_dword v124, v126, s[0:3], 0 offen offset:4
	ds_read_b64 v[127:128], v125
	s_waitcnt vmcnt(0) lgkmcnt(0)
	v_mul_f64 v[123:124], v[123:124], v[127:128]
	s_cbranch_execz .LBB60_608
	s_branch .LBB60_609
.LBB60_607:
                                        ; implicit-def: $vgpr123_vgpr124
.LBB60_608:
	ds_read_b64 v[123:124], v125
.LBB60_609:
	buffer_load_dword v131, off, s[0:3], 0 offset:8
	buffer_load_dword v132, off, s[0:3], 0 offset:12
	v_mov_b32_e32 v127, 0
	ds_read2_b64 v[127:130], v127 offset0:2 offset1:63
	s_waitcnt vmcnt(0) lgkmcnt(0)
	v_fma_f64 v[129:130], v[131:132], v[129:130], v[123:124]
	v_cndmask_b32_e64 v124, v124, v130, s[6:7]
	v_cndmask_b32_e64 v123, v123, v129, s[6:7]
	v_mul_f64 v[123:124], v[123:124], v[127:128]
	buffer_store_dword v124, off, s[0:3], 0 offset:20
	buffer_store_dword v123, off, s[0:3], 0 offset:16
.LBB60_610:
	s_or_b64 exec, exec, s[8:9]
	buffer_load_dword v123, off, s[0:3], 0 offset:24
	buffer_load_dword v124, off, s[0:3], 0 offset:28
	v_cmp_gt_u32_e32 vcc, 3, v0
	s_waitcnt vmcnt(0)
	ds_write_b64 v125, v[123:124]
	s_waitcnt lgkmcnt(0)
	; wave barrier
	s_and_saveexec_b64 s[8:9], vcc
	s_cbranch_execz .LBB60_618
; %bb.611:
	s_and_b64 vcc, exec, s[4:5]
	s_cbranch_vccnz .LBB60_613
; %bb.612:
	buffer_load_dword v123, v126, s[0:3], 0 offen
	buffer_load_dword v124, v126, s[0:3], 0 offen offset:4
	ds_read_b64 v[127:128], v125
	s_waitcnt vmcnt(0) lgkmcnt(0)
	v_mul_f64 v[123:124], v[123:124], v[127:128]
	s_cbranch_execz .LBB60_614
	s_branch .LBB60_615
.LBB60_613:
                                        ; implicit-def: $vgpr123_vgpr124
.LBB60_614:
	ds_read_b64 v[123:124], v125
.LBB60_615:
	v_cmp_ne_u32_e32 vcc, 2, v0
	s_and_saveexec_b64 s[10:11], vcc
	s_cbranch_execz .LBB60_617
; %bb.616:
	buffer_load_dword v127, v126, s[0:3], 0 offen offset:8
	buffer_load_dword v128, v126, s[0:3], 0 offen offset:12
	buffer_load_dword v129, off, s[0:3], 0 offset:16
	buffer_load_dword v130, off, s[0:3], 0 offset:20
	ds_read_b64 v[131:132], v125 offset:8
	v_mov_b32_e32 v133, 0
	ds_read_b64 v[133:134], v133 offset:512
	s_waitcnt vmcnt(2) lgkmcnt(1)
	v_fma_f64 v[123:124], v[127:128], v[131:132], v[123:124]
	s_waitcnt vmcnt(0) lgkmcnt(0)
	v_fma_f64 v[127:128], v[129:130], v[133:134], v[123:124]
	v_cndmask_b32_e64 v124, v124, v128, s[6:7]
	v_cndmask_b32_e64 v123, v123, v127, s[6:7]
.LBB60_617:
	s_or_b64 exec, exec, s[10:11]
	v_mov_b32_e32 v127, 0
	ds_read_b64 v[127:128], v127 offset:24
	s_waitcnt lgkmcnt(0)
	v_mul_f64 v[123:124], v[123:124], v[127:128]
	buffer_store_dword v124, off, s[0:3], 0 offset:28
	buffer_store_dword v123, off, s[0:3], 0 offset:24
.LBB60_618:
	s_or_b64 exec, exec, s[8:9]
	buffer_load_dword v123, off, s[0:3], 0 offset:32
	buffer_load_dword v124, off, s[0:3], 0 offset:36
	v_cmp_gt_u32_e32 vcc, 4, v0
	s_waitcnt vmcnt(0)
	ds_write_b64 v125, v[123:124]
	s_waitcnt lgkmcnt(0)
	; wave barrier
	s_and_saveexec_b64 s[6:7], vcc
	s_cbranch_execz .LBB60_628
; %bb.619:
	s_and_b64 vcc, exec, s[4:5]
	s_cbranch_vccnz .LBB60_621
; %bb.620:
	buffer_load_dword v123, v126, s[0:3], 0 offen
	buffer_load_dword v124, v126, s[0:3], 0 offen offset:4
	ds_read_b64 v[127:128], v125
	s_waitcnt vmcnt(0) lgkmcnt(0)
	v_mul_f64 v[123:124], v[123:124], v[127:128]
	s_cbranch_execz .LBB60_622
	s_branch .LBB60_623
.LBB60_621:
                                        ; implicit-def: $vgpr123_vgpr124
.LBB60_622:
	ds_read_b64 v[123:124], v125
.LBB60_623:
	v_cmp_ne_u32_e32 vcc, 3, v0
	s_and_saveexec_b64 s[8:9], vcc
	s_cbranch_execz .LBB60_627
; %bb.624:
	s_mov_b32 s10, 0
	v_add_u32_e32 v127, 0x1f8, v172
	v_add3_u32 v128, v172, s10, 8
	s_mov_b64 s[10:11], 0
	v_mov_b32_e32 v129, v0
.LBB60_625:                             ; =>This Inner Loop Header: Depth=1
	buffer_load_dword v130, v128, s[0:3], 0 offen
	buffer_load_dword v131, v128, s[0:3], 0 offen offset:4
	ds_read_b64 v[132:133], v127
	v_add_u32_e32 v129, 1, v129
	v_cmp_lt_u32_e32 vcc, 2, v129
	v_add_u32_e32 v127, 8, v127
	s_or_b64 s[10:11], vcc, s[10:11]
	v_add_u32_e32 v128, 8, v128
	s_waitcnt vmcnt(0) lgkmcnt(0)
	v_fma_f64 v[123:124], v[130:131], v[132:133], v[123:124]
	s_andn2_b64 exec, exec, s[10:11]
	s_cbranch_execnz .LBB60_625
; %bb.626:
	s_or_b64 exec, exec, s[10:11]
.LBB60_627:
	s_or_b64 exec, exec, s[8:9]
	v_mov_b32_e32 v127, 0
	ds_read_b64 v[127:128], v127 offset:32
	s_waitcnt lgkmcnt(0)
	v_mul_f64 v[123:124], v[123:124], v[127:128]
	buffer_store_dword v124, off, s[0:3], 0 offset:36
	buffer_store_dword v123, off, s[0:3], 0 offset:32
.LBB60_628:
	s_or_b64 exec, exec, s[6:7]
	buffer_load_dword v123, off, s[0:3], 0 offset:40
	buffer_load_dword v124, off, s[0:3], 0 offset:44
	v_cmp_gt_u32_e32 vcc, 5, v0
	s_waitcnt vmcnt(0)
	ds_write_b64 v125, v[123:124]
	s_waitcnt lgkmcnt(0)
	; wave barrier
	s_and_saveexec_b64 s[6:7], vcc
	s_cbranch_execz .LBB60_638
; %bb.629:
	s_and_b64 vcc, exec, s[4:5]
	s_cbranch_vccnz .LBB60_631
; %bb.630:
	buffer_load_dword v123, v126, s[0:3], 0 offen
	buffer_load_dword v124, v126, s[0:3], 0 offen offset:4
	ds_read_b64 v[127:128], v125
	s_waitcnt vmcnt(0) lgkmcnt(0)
	v_mul_f64 v[123:124], v[123:124], v[127:128]
	s_cbranch_execz .LBB60_632
	s_branch .LBB60_633
.LBB60_631:
                                        ; implicit-def: $vgpr123_vgpr124
.LBB60_632:
	ds_read_b64 v[123:124], v125
.LBB60_633:
	v_cmp_ne_u32_e32 vcc, 4, v0
	s_and_saveexec_b64 s[8:9], vcc
	s_cbranch_execz .LBB60_637
; %bb.634:
	s_mov_b32 s10, 0
	v_add_u32_e32 v127, 0x1f8, v172
	v_add3_u32 v128, v172, s10, 8
	s_mov_b64 s[10:11], 0
	v_mov_b32_e32 v129, v0
.LBB60_635:                             ; =>This Inner Loop Header: Depth=1
	buffer_load_dword v130, v128, s[0:3], 0 offen
	buffer_load_dword v131, v128, s[0:3], 0 offen offset:4
	ds_read_b64 v[132:133], v127
	v_add_u32_e32 v129, 1, v129
	v_cmp_lt_u32_e32 vcc, 3, v129
	v_add_u32_e32 v127, 8, v127
	s_or_b64 s[10:11], vcc, s[10:11]
	v_add_u32_e32 v128, 8, v128
	s_waitcnt vmcnt(0) lgkmcnt(0)
	v_fma_f64 v[123:124], v[130:131], v[132:133], v[123:124]
	s_andn2_b64 exec, exec, s[10:11]
	s_cbranch_execnz .LBB60_635
; %bb.636:
	s_or_b64 exec, exec, s[10:11]
.LBB60_637:
	s_or_b64 exec, exec, s[8:9]
	v_mov_b32_e32 v127, 0
	ds_read_b64 v[127:128], v127 offset:40
	s_waitcnt lgkmcnt(0)
	v_mul_f64 v[123:124], v[123:124], v[127:128]
	buffer_store_dword v124, off, s[0:3], 0 offset:44
	buffer_store_dword v123, off, s[0:3], 0 offset:40
.LBB60_638:
	s_or_b64 exec, exec, s[6:7]
	buffer_load_dword v123, off, s[0:3], 0 offset:48
	buffer_load_dword v124, off, s[0:3], 0 offset:52
	v_cmp_gt_u32_e32 vcc, 6, v0
	s_waitcnt vmcnt(0)
	ds_write_b64 v125, v[123:124]
	s_waitcnt lgkmcnt(0)
	; wave barrier
	s_and_saveexec_b64 s[6:7], vcc
	s_cbranch_execz .LBB60_648
; %bb.639:
	s_and_b64 vcc, exec, s[4:5]
	s_cbranch_vccnz .LBB60_641
; %bb.640:
	buffer_load_dword v123, v126, s[0:3], 0 offen
	buffer_load_dword v124, v126, s[0:3], 0 offen offset:4
	ds_read_b64 v[127:128], v125
	s_waitcnt vmcnt(0) lgkmcnt(0)
	v_mul_f64 v[123:124], v[123:124], v[127:128]
	s_cbranch_execz .LBB60_642
	s_branch .LBB60_643
.LBB60_641:
                                        ; implicit-def: $vgpr123_vgpr124
.LBB60_642:
	ds_read_b64 v[123:124], v125
.LBB60_643:
	v_cmp_ne_u32_e32 vcc, 5, v0
	s_and_saveexec_b64 s[8:9], vcc
	s_cbranch_execz .LBB60_647
; %bb.644:
	s_mov_b32 s10, 0
	v_add_u32_e32 v127, 0x1f8, v172
	v_add3_u32 v128, v172, s10, 8
	s_mov_b64 s[10:11], 0
	v_mov_b32_e32 v129, v0
.LBB60_645:                             ; =>This Inner Loop Header: Depth=1
	buffer_load_dword v130, v128, s[0:3], 0 offen
	buffer_load_dword v131, v128, s[0:3], 0 offen offset:4
	ds_read_b64 v[132:133], v127
	v_add_u32_e32 v129, 1, v129
	v_cmp_lt_u32_e32 vcc, 4, v129
	v_add_u32_e32 v127, 8, v127
	s_or_b64 s[10:11], vcc, s[10:11]
	v_add_u32_e32 v128, 8, v128
	s_waitcnt vmcnt(0) lgkmcnt(0)
	v_fma_f64 v[123:124], v[130:131], v[132:133], v[123:124]
	s_andn2_b64 exec, exec, s[10:11]
	s_cbranch_execnz .LBB60_645
; %bb.646:
	s_or_b64 exec, exec, s[10:11]
.LBB60_647:
	s_or_b64 exec, exec, s[8:9]
	v_mov_b32_e32 v127, 0
	ds_read_b64 v[127:128], v127 offset:48
	s_waitcnt lgkmcnt(0)
	v_mul_f64 v[123:124], v[123:124], v[127:128]
	buffer_store_dword v124, off, s[0:3], 0 offset:52
	buffer_store_dword v123, off, s[0:3], 0 offset:48
.LBB60_648:
	s_or_b64 exec, exec, s[6:7]
	buffer_load_dword v123, off, s[0:3], 0 offset:56
	buffer_load_dword v124, off, s[0:3], 0 offset:60
	v_cmp_gt_u32_e32 vcc, 7, v0
	s_waitcnt vmcnt(0)
	ds_write_b64 v125, v[123:124]
	s_waitcnt lgkmcnt(0)
	; wave barrier
	s_and_saveexec_b64 s[6:7], vcc
	s_cbranch_execz .LBB60_658
; %bb.649:
	s_and_b64 vcc, exec, s[4:5]
	s_cbranch_vccnz .LBB60_651
; %bb.650:
	buffer_load_dword v123, v126, s[0:3], 0 offen
	buffer_load_dword v124, v126, s[0:3], 0 offen offset:4
	ds_read_b64 v[127:128], v125
	s_waitcnt vmcnt(0) lgkmcnt(0)
	v_mul_f64 v[123:124], v[123:124], v[127:128]
	s_cbranch_execz .LBB60_652
	s_branch .LBB60_653
.LBB60_651:
                                        ; implicit-def: $vgpr123_vgpr124
.LBB60_652:
	ds_read_b64 v[123:124], v125
.LBB60_653:
	v_cmp_ne_u32_e32 vcc, 6, v0
	s_and_saveexec_b64 s[8:9], vcc
	s_cbranch_execz .LBB60_657
; %bb.654:
	s_mov_b32 s10, 0
	v_add_u32_e32 v127, 0x1f8, v172
	v_add3_u32 v128, v172, s10, 8
	s_mov_b64 s[10:11], 0
	v_mov_b32_e32 v129, v0
.LBB60_655:                             ; =>This Inner Loop Header: Depth=1
	buffer_load_dword v130, v128, s[0:3], 0 offen
	buffer_load_dword v131, v128, s[0:3], 0 offen offset:4
	ds_read_b64 v[132:133], v127
	v_add_u32_e32 v129, 1, v129
	v_cmp_lt_u32_e32 vcc, 5, v129
	v_add_u32_e32 v127, 8, v127
	s_or_b64 s[10:11], vcc, s[10:11]
	v_add_u32_e32 v128, 8, v128
	s_waitcnt vmcnt(0) lgkmcnt(0)
	v_fma_f64 v[123:124], v[130:131], v[132:133], v[123:124]
	s_andn2_b64 exec, exec, s[10:11]
	s_cbranch_execnz .LBB60_655
; %bb.656:
	s_or_b64 exec, exec, s[10:11]
.LBB60_657:
	s_or_b64 exec, exec, s[8:9]
	v_mov_b32_e32 v127, 0
	ds_read_b64 v[127:128], v127 offset:56
	s_waitcnt lgkmcnt(0)
	v_mul_f64 v[123:124], v[123:124], v[127:128]
	buffer_store_dword v124, off, s[0:3], 0 offset:60
	buffer_store_dword v123, off, s[0:3], 0 offset:56
.LBB60_658:
	s_or_b64 exec, exec, s[6:7]
	buffer_load_dword v123, off, s[0:3], 0 offset:64
	buffer_load_dword v124, off, s[0:3], 0 offset:68
	v_cmp_gt_u32_e32 vcc, 8, v0
	s_waitcnt vmcnt(0)
	ds_write_b64 v125, v[123:124]
	s_waitcnt lgkmcnt(0)
	; wave barrier
	s_and_saveexec_b64 s[6:7], vcc
	s_cbranch_execz .LBB60_668
; %bb.659:
	s_and_b64 vcc, exec, s[4:5]
	s_cbranch_vccnz .LBB60_661
; %bb.660:
	buffer_load_dword v123, v126, s[0:3], 0 offen
	buffer_load_dword v124, v126, s[0:3], 0 offen offset:4
	ds_read_b64 v[127:128], v125
	s_waitcnt vmcnt(0) lgkmcnt(0)
	v_mul_f64 v[123:124], v[123:124], v[127:128]
	s_cbranch_execz .LBB60_662
	s_branch .LBB60_663
.LBB60_661:
                                        ; implicit-def: $vgpr123_vgpr124
.LBB60_662:
	ds_read_b64 v[123:124], v125
.LBB60_663:
	v_cmp_ne_u32_e32 vcc, 7, v0
	s_and_saveexec_b64 s[8:9], vcc
	s_cbranch_execz .LBB60_667
; %bb.664:
	s_mov_b32 s10, 0
	v_add_u32_e32 v127, 0x1f8, v172
	v_add3_u32 v128, v172, s10, 8
	s_mov_b64 s[10:11], 0
	v_mov_b32_e32 v129, v0
.LBB60_665:                             ; =>This Inner Loop Header: Depth=1
	buffer_load_dword v130, v128, s[0:3], 0 offen
	buffer_load_dword v131, v128, s[0:3], 0 offen offset:4
	ds_read_b64 v[132:133], v127
	v_add_u32_e32 v129, 1, v129
	v_cmp_lt_u32_e32 vcc, 6, v129
	v_add_u32_e32 v127, 8, v127
	s_or_b64 s[10:11], vcc, s[10:11]
	v_add_u32_e32 v128, 8, v128
	s_waitcnt vmcnt(0) lgkmcnt(0)
	v_fma_f64 v[123:124], v[130:131], v[132:133], v[123:124]
	s_andn2_b64 exec, exec, s[10:11]
	s_cbranch_execnz .LBB60_665
; %bb.666:
	s_or_b64 exec, exec, s[10:11]
.LBB60_667:
	s_or_b64 exec, exec, s[8:9]
	v_mov_b32_e32 v127, 0
	ds_read_b64 v[127:128], v127 offset:64
	s_waitcnt lgkmcnt(0)
	v_mul_f64 v[123:124], v[123:124], v[127:128]
	buffer_store_dword v124, off, s[0:3], 0 offset:68
	buffer_store_dword v123, off, s[0:3], 0 offset:64
.LBB60_668:
	s_or_b64 exec, exec, s[6:7]
	buffer_load_dword v123, off, s[0:3], 0 offset:72
	buffer_load_dword v124, off, s[0:3], 0 offset:76
	v_cmp_gt_u32_e32 vcc, 9, v0
	s_waitcnt vmcnt(0)
	ds_write_b64 v125, v[123:124]
	s_waitcnt lgkmcnt(0)
	; wave barrier
	s_and_saveexec_b64 s[6:7], vcc
	s_cbranch_execz .LBB60_678
; %bb.669:
	s_and_b64 vcc, exec, s[4:5]
	s_cbranch_vccnz .LBB60_671
; %bb.670:
	buffer_load_dword v123, v126, s[0:3], 0 offen
	buffer_load_dword v124, v126, s[0:3], 0 offen offset:4
	ds_read_b64 v[127:128], v125
	s_waitcnt vmcnt(0) lgkmcnt(0)
	v_mul_f64 v[123:124], v[123:124], v[127:128]
	s_cbranch_execz .LBB60_672
	s_branch .LBB60_673
.LBB60_671:
                                        ; implicit-def: $vgpr123_vgpr124
.LBB60_672:
	ds_read_b64 v[123:124], v125
.LBB60_673:
	v_cmp_ne_u32_e32 vcc, 8, v0
	s_and_saveexec_b64 s[8:9], vcc
	s_cbranch_execz .LBB60_677
; %bb.674:
	s_mov_b32 s10, 0
	v_add_u32_e32 v127, 0x1f8, v172
	v_add3_u32 v128, v172, s10, 8
	s_mov_b64 s[10:11], 0
	v_mov_b32_e32 v129, v0
.LBB60_675:                             ; =>This Inner Loop Header: Depth=1
	buffer_load_dword v130, v128, s[0:3], 0 offen
	buffer_load_dword v131, v128, s[0:3], 0 offen offset:4
	ds_read_b64 v[132:133], v127
	v_add_u32_e32 v129, 1, v129
	v_cmp_lt_u32_e32 vcc, 7, v129
	v_add_u32_e32 v127, 8, v127
	s_or_b64 s[10:11], vcc, s[10:11]
	v_add_u32_e32 v128, 8, v128
	s_waitcnt vmcnt(0) lgkmcnt(0)
	v_fma_f64 v[123:124], v[130:131], v[132:133], v[123:124]
	s_andn2_b64 exec, exec, s[10:11]
	s_cbranch_execnz .LBB60_675
; %bb.676:
	s_or_b64 exec, exec, s[10:11]
.LBB60_677:
	s_or_b64 exec, exec, s[8:9]
	v_mov_b32_e32 v127, 0
	ds_read_b64 v[127:128], v127 offset:72
	s_waitcnt lgkmcnt(0)
	v_mul_f64 v[123:124], v[123:124], v[127:128]
	buffer_store_dword v124, off, s[0:3], 0 offset:76
	buffer_store_dword v123, off, s[0:3], 0 offset:72
.LBB60_678:
	s_or_b64 exec, exec, s[6:7]
	buffer_load_dword v123, off, s[0:3], 0 offset:80
	buffer_load_dword v124, off, s[0:3], 0 offset:84
	v_cmp_gt_u32_e32 vcc, 10, v0
	s_waitcnt vmcnt(0)
	ds_write_b64 v125, v[123:124]
	s_waitcnt lgkmcnt(0)
	; wave barrier
	s_and_saveexec_b64 s[6:7], vcc
	s_cbranch_execz .LBB60_688
; %bb.679:
	s_and_b64 vcc, exec, s[4:5]
	s_cbranch_vccnz .LBB60_681
; %bb.680:
	buffer_load_dword v123, v126, s[0:3], 0 offen
	buffer_load_dword v124, v126, s[0:3], 0 offen offset:4
	ds_read_b64 v[127:128], v125
	s_waitcnt vmcnt(0) lgkmcnt(0)
	v_mul_f64 v[123:124], v[123:124], v[127:128]
	s_cbranch_execz .LBB60_682
	s_branch .LBB60_683
.LBB60_681:
                                        ; implicit-def: $vgpr123_vgpr124
.LBB60_682:
	ds_read_b64 v[123:124], v125
.LBB60_683:
	v_cmp_ne_u32_e32 vcc, 9, v0
	s_and_saveexec_b64 s[8:9], vcc
	s_cbranch_execz .LBB60_687
; %bb.684:
	s_mov_b32 s10, 0
	v_add_u32_e32 v127, 0x1f8, v172
	v_add3_u32 v128, v172, s10, 8
	s_mov_b64 s[10:11], 0
	v_mov_b32_e32 v129, v0
.LBB60_685:                             ; =>This Inner Loop Header: Depth=1
	buffer_load_dword v130, v128, s[0:3], 0 offen
	buffer_load_dword v131, v128, s[0:3], 0 offen offset:4
	ds_read_b64 v[132:133], v127
	v_add_u32_e32 v129, 1, v129
	v_cmp_lt_u32_e32 vcc, 8, v129
	v_add_u32_e32 v127, 8, v127
	s_or_b64 s[10:11], vcc, s[10:11]
	v_add_u32_e32 v128, 8, v128
	s_waitcnt vmcnt(0) lgkmcnt(0)
	v_fma_f64 v[123:124], v[130:131], v[132:133], v[123:124]
	s_andn2_b64 exec, exec, s[10:11]
	s_cbranch_execnz .LBB60_685
; %bb.686:
	s_or_b64 exec, exec, s[10:11]
.LBB60_687:
	s_or_b64 exec, exec, s[8:9]
	v_mov_b32_e32 v127, 0
	ds_read_b64 v[127:128], v127 offset:80
	s_waitcnt lgkmcnt(0)
	v_mul_f64 v[123:124], v[123:124], v[127:128]
	buffer_store_dword v124, off, s[0:3], 0 offset:84
	buffer_store_dword v123, off, s[0:3], 0 offset:80
.LBB60_688:
	s_or_b64 exec, exec, s[6:7]
	buffer_load_dword v123, off, s[0:3], 0 offset:88
	buffer_load_dword v124, off, s[0:3], 0 offset:92
	v_cmp_gt_u32_e32 vcc, 11, v0
	s_waitcnt vmcnt(0)
	ds_write_b64 v125, v[123:124]
	s_waitcnt lgkmcnt(0)
	; wave barrier
	s_and_saveexec_b64 s[6:7], vcc
	s_cbranch_execz .LBB60_698
; %bb.689:
	s_and_b64 vcc, exec, s[4:5]
	s_cbranch_vccnz .LBB60_691
; %bb.690:
	buffer_load_dword v123, v126, s[0:3], 0 offen
	buffer_load_dword v124, v126, s[0:3], 0 offen offset:4
	ds_read_b64 v[127:128], v125
	s_waitcnt vmcnt(0) lgkmcnt(0)
	v_mul_f64 v[123:124], v[123:124], v[127:128]
	s_cbranch_execz .LBB60_692
	s_branch .LBB60_693
.LBB60_691:
                                        ; implicit-def: $vgpr123_vgpr124
.LBB60_692:
	ds_read_b64 v[123:124], v125
.LBB60_693:
	v_cmp_ne_u32_e32 vcc, 10, v0
	s_and_saveexec_b64 s[8:9], vcc
	s_cbranch_execz .LBB60_697
; %bb.694:
	s_mov_b32 s10, 0
	v_add_u32_e32 v127, 0x1f8, v172
	v_add3_u32 v128, v172, s10, 8
	s_mov_b64 s[10:11], 0
	v_mov_b32_e32 v129, v0
.LBB60_695:                             ; =>This Inner Loop Header: Depth=1
	buffer_load_dword v130, v128, s[0:3], 0 offen
	buffer_load_dword v131, v128, s[0:3], 0 offen offset:4
	ds_read_b64 v[132:133], v127
	v_add_u32_e32 v129, 1, v129
	v_cmp_lt_u32_e32 vcc, 9, v129
	v_add_u32_e32 v127, 8, v127
	s_or_b64 s[10:11], vcc, s[10:11]
	v_add_u32_e32 v128, 8, v128
	s_waitcnt vmcnt(0) lgkmcnt(0)
	v_fma_f64 v[123:124], v[130:131], v[132:133], v[123:124]
	s_andn2_b64 exec, exec, s[10:11]
	s_cbranch_execnz .LBB60_695
; %bb.696:
	s_or_b64 exec, exec, s[10:11]
.LBB60_697:
	s_or_b64 exec, exec, s[8:9]
	v_mov_b32_e32 v127, 0
	ds_read_b64 v[127:128], v127 offset:88
	s_waitcnt lgkmcnt(0)
	v_mul_f64 v[123:124], v[123:124], v[127:128]
	buffer_store_dword v124, off, s[0:3], 0 offset:92
	buffer_store_dword v123, off, s[0:3], 0 offset:88
.LBB60_698:
	s_or_b64 exec, exec, s[6:7]
	buffer_load_dword v123, off, s[0:3], 0 offset:96
	buffer_load_dword v124, off, s[0:3], 0 offset:100
	v_cmp_gt_u32_e32 vcc, 12, v0
	s_waitcnt vmcnt(0)
	ds_write_b64 v125, v[123:124]
	s_waitcnt lgkmcnt(0)
	; wave barrier
	s_and_saveexec_b64 s[6:7], vcc
	s_cbranch_execz .LBB60_708
; %bb.699:
	s_and_b64 vcc, exec, s[4:5]
	s_cbranch_vccnz .LBB60_701
; %bb.700:
	buffer_load_dword v123, v126, s[0:3], 0 offen
	buffer_load_dword v124, v126, s[0:3], 0 offen offset:4
	ds_read_b64 v[127:128], v125
	s_waitcnt vmcnt(0) lgkmcnt(0)
	v_mul_f64 v[123:124], v[123:124], v[127:128]
	s_cbranch_execz .LBB60_702
	s_branch .LBB60_703
.LBB60_701:
                                        ; implicit-def: $vgpr123_vgpr124
.LBB60_702:
	ds_read_b64 v[123:124], v125
.LBB60_703:
	v_cmp_ne_u32_e32 vcc, 11, v0
	s_and_saveexec_b64 s[8:9], vcc
	s_cbranch_execz .LBB60_707
; %bb.704:
	s_mov_b32 s10, 0
	v_add_u32_e32 v127, 0x1f8, v172
	v_add3_u32 v128, v172, s10, 8
	s_mov_b64 s[10:11], 0
	v_mov_b32_e32 v129, v0
.LBB60_705:                             ; =>This Inner Loop Header: Depth=1
	buffer_load_dword v130, v128, s[0:3], 0 offen
	buffer_load_dword v131, v128, s[0:3], 0 offen offset:4
	ds_read_b64 v[132:133], v127
	v_add_u32_e32 v129, 1, v129
	v_cmp_lt_u32_e32 vcc, 10, v129
	v_add_u32_e32 v127, 8, v127
	s_or_b64 s[10:11], vcc, s[10:11]
	v_add_u32_e32 v128, 8, v128
	s_waitcnt vmcnt(0) lgkmcnt(0)
	v_fma_f64 v[123:124], v[130:131], v[132:133], v[123:124]
	s_andn2_b64 exec, exec, s[10:11]
	s_cbranch_execnz .LBB60_705
; %bb.706:
	s_or_b64 exec, exec, s[10:11]
.LBB60_707:
	s_or_b64 exec, exec, s[8:9]
	v_mov_b32_e32 v127, 0
	ds_read_b64 v[127:128], v127 offset:96
	s_waitcnt lgkmcnt(0)
	v_mul_f64 v[123:124], v[123:124], v[127:128]
	buffer_store_dword v124, off, s[0:3], 0 offset:100
	buffer_store_dword v123, off, s[0:3], 0 offset:96
.LBB60_708:
	s_or_b64 exec, exec, s[6:7]
	buffer_load_dword v123, off, s[0:3], 0 offset:104
	buffer_load_dword v124, off, s[0:3], 0 offset:108
	v_cmp_gt_u32_e32 vcc, 13, v0
	s_waitcnt vmcnt(0)
	ds_write_b64 v125, v[123:124]
	s_waitcnt lgkmcnt(0)
	; wave barrier
	s_and_saveexec_b64 s[6:7], vcc
	s_cbranch_execz .LBB60_718
; %bb.709:
	s_and_b64 vcc, exec, s[4:5]
	s_cbranch_vccnz .LBB60_711
; %bb.710:
	buffer_load_dword v123, v126, s[0:3], 0 offen
	buffer_load_dword v124, v126, s[0:3], 0 offen offset:4
	ds_read_b64 v[127:128], v125
	s_waitcnt vmcnt(0) lgkmcnt(0)
	v_mul_f64 v[123:124], v[123:124], v[127:128]
	s_cbranch_execz .LBB60_712
	s_branch .LBB60_713
.LBB60_711:
                                        ; implicit-def: $vgpr123_vgpr124
.LBB60_712:
	ds_read_b64 v[123:124], v125
.LBB60_713:
	v_cmp_ne_u32_e32 vcc, 12, v0
	s_and_saveexec_b64 s[8:9], vcc
	s_cbranch_execz .LBB60_717
; %bb.714:
	s_mov_b32 s10, 0
	v_add_u32_e32 v127, 0x1f8, v172
	v_add3_u32 v128, v172, s10, 8
	s_mov_b64 s[10:11], 0
	v_mov_b32_e32 v129, v0
.LBB60_715:                             ; =>This Inner Loop Header: Depth=1
	buffer_load_dword v130, v128, s[0:3], 0 offen
	buffer_load_dword v131, v128, s[0:3], 0 offen offset:4
	ds_read_b64 v[132:133], v127
	v_add_u32_e32 v129, 1, v129
	v_cmp_lt_u32_e32 vcc, 11, v129
	v_add_u32_e32 v127, 8, v127
	s_or_b64 s[10:11], vcc, s[10:11]
	v_add_u32_e32 v128, 8, v128
	s_waitcnt vmcnt(0) lgkmcnt(0)
	v_fma_f64 v[123:124], v[130:131], v[132:133], v[123:124]
	s_andn2_b64 exec, exec, s[10:11]
	s_cbranch_execnz .LBB60_715
; %bb.716:
	s_or_b64 exec, exec, s[10:11]
.LBB60_717:
	s_or_b64 exec, exec, s[8:9]
	v_mov_b32_e32 v127, 0
	ds_read_b64 v[127:128], v127 offset:104
	s_waitcnt lgkmcnt(0)
	v_mul_f64 v[123:124], v[123:124], v[127:128]
	buffer_store_dword v124, off, s[0:3], 0 offset:108
	buffer_store_dword v123, off, s[0:3], 0 offset:104
.LBB60_718:
	s_or_b64 exec, exec, s[6:7]
	buffer_load_dword v123, off, s[0:3], 0 offset:112
	buffer_load_dword v124, off, s[0:3], 0 offset:116
	v_cmp_gt_u32_e32 vcc, 14, v0
	s_waitcnt vmcnt(0)
	ds_write_b64 v125, v[123:124]
	s_waitcnt lgkmcnt(0)
	; wave barrier
	s_and_saveexec_b64 s[6:7], vcc
	s_cbranch_execz .LBB60_728
; %bb.719:
	s_and_b64 vcc, exec, s[4:5]
	s_cbranch_vccnz .LBB60_721
; %bb.720:
	buffer_load_dword v123, v126, s[0:3], 0 offen
	buffer_load_dword v124, v126, s[0:3], 0 offen offset:4
	ds_read_b64 v[127:128], v125
	s_waitcnt vmcnt(0) lgkmcnt(0)
	v_mul_f64 v[123:124], v[123:124], v[127:128]
	s_cbranch_execz .LBB60_722
	s_branch .LBB60_723
.LBB60_721:
                                        ; implicit-def: $vgpr123_vgpr124
.LBB60_722:
	ds_read_b64 v[123:124], v125
.LBB60_723:
	v_cmp_ne_u32_e32 vcc, 13, v0
	s_and_saveexec_b64 s[8:9], vcc
	s_cbranch_execz .LBB60_727
; %bb.724:
	s_mov_b32 s10, 0
	v_add_u32_e32 v127, 0x1f8, v172
	v_add3_u32 v128, v172, s10, 8
	s_mov_b64 s[10:11], 0
	v_mov_b32_e32 v129, v0
.LBB60_725:                             ; =>This Inner Loop Header: Depth=1
	buffer_load_dword v130, v128, s[0:3], 0 offen
	buffer_load_dword v131, v128, s[0:3], 0 offen offset:4
	ds_read_b64 v[132:133], v127
	v_add_u32_e32 v129, 1, v129
	v_cmp_lt_u32_e32 vcc, 12, v129
	v_add_u32_e32 v127, 8, v127
	s_or_b64 s[10:11], vcc, s[10:11]
	v_add_u32_e32 v128, 8, v128
	s_waitcnt vmcnt(0) lgkmcnt(0)
	v_fma_f64 v[123:124], v[130:131], v[132:133], v[123:124]
	s_andn2_b64 exec, exec, s[10:11]
	s_cbranch_execnz .LBB60_725
; %bb.726:
	s_or_b64 exec, exec, s[10:11]
.LBB60_727:
	s_or_b64 exec, exec, s[8:9]
	v_mov_b32_e32 v127, 0
	ds_read_b64 v[127:128], v127 offset:112
	s_waitcnt lgkmcnt(0)
	v_mul_f64 v[123:124], v[123:124], v[127:128]
	buffer_store_dword v124, off, s[0:3], 0 offset:116
	buffer_store_dword v123, off, s[0:3], 0 offset:112
.LBB60_728:
	s_or_b64 exec, exec, s[6:7]
	buffer_load_dword v123, off, s[0:3], 0 offset:120
	buffer_load_dword v124, off, s[0:3], 0 offset:124
	v_cmp_gt_u32_e32 vcc, 15, v0
	s_waitcnt vmcnt(0)
	ds_write_b64 v125, v[123:124]
	s_waitcnt lgkmcnt(0)
	; wave barrier
	s_and_saveexec_b64 s[6:7], vcc
	s_cbranch_execz .LBB60_738
; %bb.729:
	s_and_b64 vcc, exec, s[4:5]
	s_cbranch_vccnz .LBB60_731
; %bb.730:
	buffer_load_dword v123, v126, s[0:3], 0 offen
	buffer_load_dword v124, v126, s[0:3], 0 offen offset:4
	ds_read_b64 v[127:128], v125
	s_waitcnt vmcnt(0) lgkmcnt(0)
	v_mul_f64 v[123:124], v[123:124], v[127:128]
	s_cbranch_execz .LBB60_732
	s_branch .LBB60_733
.LBB60_731:
                                        ; implicit-def: $vgpr123_vgpr124
.LBB60_732:
	ds_read_b64 v[123:124], v125
.LBB60_733:
	v_cmp_ne_u32_e32 vcc, 14, v0
	s_and_saveexec_b64 s[8:9], vcc
	s_cbranch_execz .LBB60_737
; %bb.734:
	s_mov_b32 s10, 0
	v_add_u32_e32 v127, 0x1f8, v172
	v_add3_u32 v128, v172, s10, 8
	s_mov_b64 s[10:11], 0
	v_mov_b32_e32 v129, v0
.LBB60_735:                             ; =>This Inner Loop Header: Depth=1
	buffer_load_dword v130, v128, s[0:3], 0 offen
	buffer_load_dword v131, v128, s[0:3], 0 offen offset:4
	ds_read_b64 v[132:133], v127
	v_add_u32_e32 v129, 1, v129
	v_cmp_lt_u32_e32 vcc, 13, v129
	v_add_u32_e32 v127, 8, v127
	s_or_b64 s[10:11], vcc, s[10:11]
	v_add_u32_e32 v128, 8, v128
	s_waitcnt vmcnt(0) lgkmcnt(0)
	v_fma_f64 v[123:124], v[130:131], v[132:133], v[123:124]
	s_andn2_b64 exec, exec, s[10:11]
	s_cbranch_execnz .LBB60_735
; %bb.736:
	s_or_b64 exec, exec, s[10:11]
.LBB60_737:
	s_or_b64 exec, exec, s[8:9]
	v_mov_b32_e32 v127, 0
	ds_read_b64 v[127:128], v127 offset:120
	s_waitcnt lgkmcnt(0)
	v_mul_f64 v[123:124], v[123:124], v[127:128]
	buffer_store_dword v124, off, s[0:3], 0 offset:124
	buffer_store_dword v123, off, s[0:3], 0 offset:120
.LBB60_738:
	s_or_b64 exec, exec, s[6:7]
	buffer_load_dword v123, off, s[0:3], 0 offset:128
	buffer_load_dword v124, off, s[0:3], 0 offset:132
	v_cmp_gt_u32_e32 vcc, 16, v0
	s_waitcnt vmcnt(0)
	ds_write_b64 v125, v[123:124]
	s_waitcnt lgkmcnt(0)
	; wave barrier
	s_and_saveexec_b64 s[6:7], vcc
	s_cbranch_execz .LBB60_748
; %bb.739:
	s_and_b64 vcc, exec, s[4:5]
	s_cbranch_vccnz .LBB60_741
; %bb.740:
	buffer_load_dword v123, v126, s[0:3], 0 offen
	buffer_load_dword v124, v126, s[0:3], 0 offen offset:4
	ds_read_b64 v[127:128], v125
	s_waitcnt vmcnt(0) lgkmcnt(0)
	v_mul_f64 v[123:124], v[123:124], v[127:128]
	s_cbranch_execz .LBB60_742
	s_branch .LBB60_743
.LBB60_741:
                                        ; implicit-def: $vgpr123_vgpr124
.LBB60_742:
	ds_read_b64 v[123:124], v125
.LBB60_743:
	v_cmp_ne_u32_e32 vcc, 15, v0
	s_and_saveexec_b64 s[8:9], vcc
	s_cbranch_execz .LBB60_747
; %bb.744:
	s_mov_b32 s10, 0
	v_add_u32_e32 v127, 0x1f8, v172
	v_add3_u32 v128, v172, s10, 8
	s_mov_b64 s[10:11], 0
	v_mov_b32_e32 v129, v0
.LBB60_745:                             ; =>This Inner Loop Header: Depth=1
	buffer_load_dword v130, v128, s[0:3], 0 offen
	buffer_load_dword v131, v128, s[0:3], 0 offen offset:4
	ds_read_b64 v[132:133], v127
	v_add_u32_e32 v129, 1, v129
	v_cmp_lt_u32_e32 vcc, 14, v129
	v_add_u32_e32 v127, 8, v127
	s_or_b64 s[10:11], vcc, s[10:11]
	v_add_u32_e32 v128, 8, v128
	s_waitcnt vmcnt(0) lgkmcnt(0)
	v_fma_f64 v[123:124], v[130:131], v[132:133], v[123:124]
	s_andn2_b64 exec, exec, s[10:11]
	s_cbranch_execnz .LBB60_745
; %bb.746:
	s_or_b64 exec, exec, s[10:11]
.LBB60_747:
	s_or_b64 exec, exec, s[8:9]
	v_mov_b32_e32 v127, 0
	ds_read_b64 v[127:128], v127 offset:128
	s_waitcnt lgkmcnt(0)
	v_mul_f64 v[123:124], v[123:124], v[127:128]
	buffer_store_dword v124, off, s[0:3], 0 offset:132
	buffer_store_dword v123, off, s[0:3], 0 offset:128
.LBB60_748:
	s_or_b64 exec, exec, s[6:7]
	buffer_load_dword v123, off, s[0:3], 0 offset:136
	buffer_load_dword v124, off, s[0:3], 0 offset:140
	v_cmp_gt_u32_e32 vcc, 17, v0
	s_waitcnt vmcnt(0)
	ds_write_b64 v125, v[123:124]
	s_waitcnt lgkmcnt(0)
	; wave barrier
	s_and_saveexec_b64 s[6:7], vcc
	s_cbranch_execz .LBB60_758
; %bb.749:
	s_and_b64 vcc, exec, s[4:5]
	s_cbranch_vccnz .LBB60_751
; %bb.750:
	buffer_load_dword v123, v126, s[0:3], 0 offen
	buffer_load_dword v124, v126, s[0:3], 0 offen offset:4
	ds_read_b64 v[127:128], v125
	s_waitcnt vmcnt(0) lgkmcnt(0)
	v_mul_f64 v[123:124], v[123:124], v[127:128]
	s_cbranch_execz .LBB60_752
	s_branch .LBB60_753
.LBB60_751:
                                        ; implicit-def: $vgpr123_vgpr124
.LBB60_752:
	ds_read_b64 v[123:124], v125
.LBB60_753:
	v_cmp_ne_u32_e32 vcc, 16, v0
	s_and_saveexec_b64 s[8:9], vcc
	s_cbranch_execz .LBB60_757
; %bb.754:
	s_mov_b32 s10, 0
	v_add_u32_e32 v127, 0x1f8, v172
	v_add3_u32 v128, v172, s10, 8
	s_mov_b64 s[10:11], 0
	v_mov_b32_e32 v129, v0
.LBB60_755:                             ; =>This Inner Loop Header: Depth=1
	buffer_load_dword v130, v128, s[0:3], 0 offen
	buffer_load_dword v131, v128, s[0:3], 0 offen offset:4
	ds_read_b64 v[132:133], v127
	v_add_u32_e32 v129, 1, v129
	v_cmp_lt_u32_e32 vcc, 15, v129
	v_add_u32_e32 v127, 8, v127
	s_or_b64 s[10:11], vcc, s[10:11]
	v_add_u32_e32 v128, 8, v128
	s_waitcnt vmcnt(0) lgkmcnt(0)
	v_fma_f64 v[123:124], v[130:131], v[132:133], v[123:124]
	s_andn2_b64 exec, exec, s[10:11]
	s_cbranch_execnz .LBB60_755
; %bb.756:
	s_or_b64 exec, exec, s[10:11]
.LBB60_757:
	s_or_b64 exec, exec, s[8:9]
	v_mov_b32_e32 v127, 0
	ds_read_b64 v[127:128], v127 offset:136
	s_waitcnt lgkmcnt(0)
	v_mul_f64 v[123:124], v[123:124], v[127:128]
	buffer_store_dword v124, off, s[0:3], 0 offset:140
	buffer_store_dword v123, off, s[0:3], 0 offset:136
.LBB60_758:
	s_or_b64 exec, exec, s[6:7]
	buffer_load_dword v123, off, s[0:3], 0 offset:144
	buffer_load_dword v124, off, s[0:3], 0 offset:148
	v_cmp_gt_u32_e32 vcc, 18, v0
	s_waitcnt vmcnt(0)
	ds_write_b64 v125, v[123:124]
	s_waitcnt lgkmcnt(0)
	; wave barrier
	s_and_saveexec_b64 s[6:7], vcc
	s_cbranch_execz .LBB60_768
; %bb.759:
	s_and_b64 vcc, exec, s[4:5]
	s_cbranch_vccnz .LBB60_761
; %bb.760:
	buffer_load_dword v123, v126, s[0:3], 0 offen
	buffer_load_dword v124, v126, s[0:3], 0 offen offset:4
	ds_read_b64 v[127:128], v125
	s_waitcnt vmcnt(0) lgkmcnt(0)
	v_mul_f64 v[123:124], v[123:124], v[127:128]
	s_cbranch_execz .LBB60_762
	s_branch .LBB60_763
.LBB60_761:
                                        ; implicit-def: $vgpr123_vgpr124
.LBB60_762:
	ds_read_b64 v[123:124], v125
.LBB60_763:
	v_cmp_ne_u32_e32 vcc, 17, v0
	s_and_saveexec_b64 s[8:9], vcc
	s_cbranch_execz .LBB60_767
; %bb.764:
	s_mov_b32 s10, 0
	v_add_u32_e32 v127, 0x1f8, v172
	v_add3_u32 v128, v172, s10, 8
	s_mov_b64 s[10:11], 0
	v_mov_b32_e32 v129, v0
.LBB60_765:                             ; =>This Inner Loop Header: Depth=1
	buffer_load_dword v130, v128, s[0:3], 0 offen
	buffer_load_dword v131, v128, s[0:3], 0 offen offset:4
	ds_read_b64 v[132:133], v127
	v_add_u32_e32 v129, 1, v129
	v_cmp_lt_u32_e32 vcc, 16, v129
	v_add_u32_e32 v127, 8, v127
	s_or_b64 s[10:11], vcc, s[10:11]
	v_add_u32_e32 v128, 8, v128
	s_waitcnt vmcnt(0) lgkmcnt(0)
	v_fma_f64 v[123:124], v[130:131], v[132:133], v[123:124]
	s_andn2_b64 exec, exec, s[10:11]
	s_cbranch_execnz .LBB60_765
; %bb.766:
	s_or_b64 exec, exec, s[10:11]
.LBB60_767:
	s_or_b64 exec, exec, s[8:9]
	v_mov_b32_e32 v127, 0
	ds_read_b64 v[127:128], v127 offset:144
	s_waitcnt lgkmcnt(0)
	v_mul_f64 v[123:124], v[123:124], v[127:128]
	buffer_store_dword v124, off, s[0:3], 0 offset:148
	buffer_store_dword v123, off, s[0:3], 0 offset:144
.LBB60_768:
	s_or_b64 exec, exec, s[6:7]
	buffer_load_dword v123, off, s[0:3], 0 offset:152
	buffer_load_dword v124, off, s[0:3], 0 offset:156
	v_cmp_gt_u32_e32 vcc, 19, v0
	s_waitcnt vmcnt(0)
	ds_write_b64 v125, v[123:124]
	s_waitcnt lgkmcnt(0)
	; wave barrier
	s_and_saveexec_b64 s[6:7], vcc
	s_cbranch_execz .LBB60_778
; %bb.769:
	s_and_b64 vcc, exec, s[4:5]
	s_cbranch_vccnz .LBB60_771
; %bb.770:
	buffer_load_dword v123, v126, s[0:3], 0 offen
	buffer_load_dword v124, v126, s[0:3], 0 offen offset:4
	ds_read_b64 v[127:128], v125
	s_waitcnt vmcnt(0) lgkmcnt(0)
	v_mul_f64 v[123:124], v[123:124], v[127:128]
	s_cbranch_execz .LBB60_772
	s_branch .LBB60_773
.LBB60_771:
                                        ; implicit-def: $vgpr123_vgpr124
.LBB60_772:
	ds_read_b64 v[123:124], v125
.LBB60_773:
	v_cmp_ne_u32_e32 vcc, 18, v0
	s_and_saveexec_b64 s[8:9], vcc
	s_cbranch_execz .LBB60_777
; %bb.774:
	s_mov_b32 s10, 0
	v_add_u32_e32 v127, 0x1f8, v172
	v_add3_u32 v128, v172, s10, 8
	s_mov_b64 s[10:11], 0
	v_mov_b32_e32 v129, v0
.LBB60_775:                             ; =>This Inner Loop Header: Depth=1
	buffer_load_dword v130, v128, s[0:3], 0 offen
	buffer_load_dword v131, v128, s[0:3], 0 offen offset:4
	ds_read_b64 v[132:133], v127
	v_add_u32_e32 v129, 1, v129
	v_cmp_lt_u32_e32 vcc, 17, v129
	v_add_u32_e32 v127, 8, v127
	s_or_b64 s[10:11], vcc, s[10:11]
	v_add_u32_e32 v128, 8, v128
	s_waitcnt vmcnt(0) lgkmcnt(0)
	v_fma_f64 v[123:124], v[130:131], v[132:133], v[123:124]
	s_andn2_b64 exec, exec, s[10:11]
	s_cbranch_execnz .LBB60_775
; %bb.776:
	s_or_b64 exec, exec, s[10:11]
.LBB60_777:
	s_or_b64 exec, exec, s[8:9]
	v_mov_b32_e32 v127, 0
	ds_read_b64 v[127:128], v127 offset:152
	s_waitcnt lgkmcnt(0)
	v_mul_f64 v[123:124], v[123:124], v[127:128]
	buffer_store_dword v124, off, s[0:3], 0 offset:156
	buffer_store_dword v123, off, s[0:3], 0 offset:152
.LBB60_778:
	s_or_b64 exec, exec, s[6:7]
	buffer_load_dword v123, off, s[0:3], 0 offset:160
	buffer_load_dword v124, off, s[0:3], 0 offset:164
	v_cmp_gt_u32_e32 vcc, 20, v0
	s_waitcnt vmcnt(0)
	ds_write_b64 v125, v[123:124]
	s_waitcnt lgkmcnt(0)
	; wave barrier
	s_and_saveexec_b64 s[6:7], vcc
	s_cbranch_execz .LBB60_788
; %bb.779:
	s_and_b64 vcc, exec, s[4:5]
	s_cbranch_vccnz .LBB60_781
; %bb.780:
	buffer_load_dword v123, v126, s[0:3], 0 offen
	buffer_load_dword v124, v126, s[0:3], 0 offen offset:4
	ds_read_b64 v[127:128], v125
	s_waitcnt vmcnt(0) lgkmcnt(0)
	v_mul_f64 v[123:124], v[123:124], v[127:128]
	s_cbranch_execz .LBB60_782
	s_branch .LBB60_783
.LBB60_781:
                                        ; implicit-def: $vgpr123_vgpr124
.LBB60_782:
	ds_read_b64 v[123:124], v125
.LBB60_783:
	v_cmp_ne_u32_e32 vcc, 19, v0
	s_and_saveexec_b64 s[8:9], vcc
	s_cbranch_execz .LBB60_787
; %bb.784:
	s_mov_b32 s10, 0
	v_add_u32_e32 v127, 0x1f8, v172
	v_add3_u32 v128, v172, s10, 8
	s_mov_b64 s[10:11], 0
	v_mov_b32_e32 v129, v0
.LBB60_785:                             ; =>This Inner Loop Header: Depth=1
	buffer_load_dword v130, v128, s[0:3], 0 offen
	buffer_load_dword v131, v128, s[0:3], 0 offen offset:4
	ds_read_b64 v[132:133], v127
	v_add_u32_e32 v129, 1, v129
	v_cmp_lt_u32_e32 vcc, 18, v129
	v_add_u32_e32 v127, 8, v127
	s_or_b64 s[10:11], vcc, s[10:11]
	v_add_u32_e32 v128, 8, v128
	s_waitcnt vmcnt(0) lgkmcnt(0)
	v_fma_f64 v[123:124], v[130:131], v[132:133], v[123:124]
	s_andn2_b64 exec, exec, s[10:11]
	s_cbranch_execnz .LBB60_785
; %bb.786:
	s_or_b64 exec, exec, s[10:11]
.LBB60_787:
	s_or_b64 exec, exec, s[8:9]
	v_mov_b32_e32 v127, 0
	ds_read_b64 v[127:128], v127 offset:160
	s_waitcnt lgkmcnt(0)
	v_mul_f64 v[123:124], v[123:124], v[127:128]
	buffer_store_dword v124, off, s[0:3], 0 offset:164
	buffer_store_dword v123, off, s[0:3], 0 offset:160
.LBB60_788:
	s_or_b64 exec, exec, s[6:7]
	buffer_load_dword v123, off, s[0:3], 0 offset:168
	buffer_load_dword v124, off, s[0:3], 0 offset:172
	v_cmp_gt_u32_e32 vcc, 21, v0
	s_waitcnt vmcnt(0)
	ds_write_b64 v125, v[123:124]
	s_waitcnt lgkmcnt(0)
	; wave barrier
	s_and_saveexec_b64 s[6:7], vcc
	s_cbranch_execz .LBB60_798
; %bb.789:
	s_and_b64 vcc, exec, s[4:5]
	s_cbranch_vccnz .LBB60_791
; %bb.790:
	buffer_load_dword v123, v126, s[0:3], 0 offen
	buffer_load_dword v124, v126, s[0:3], 0 offen offset:4
	ds_read_b64 v[127:128], v125
	s_waitcnt vmcnt(0) lgkmcnt(0)
	v_mul_f64 v[123:124], v[123:124], v[127:128]
	s_cbranch_execz .LBB60_792
	s_branch .LBB60_793
.LBB60_791:
                                        ; implicit-def: $vgpr123_vgpr124
.LBB60_792:
	ds_read_b64 v[123:124], v125
.LBB60_793:
	v_cmp_ne_u32_e32 vcc, 20, v0
	s_and_saveexec_b64 s[8:9], vcc
	s_cbranch_execz .LBB60_797
; %bb.794:
	s_mov_b32 s10, 0
	v_add_u32_e32 v127, 0x1f8, v172
	v_add3_u32 v128, v172, s10, 8
	s_mov_b64 s[10:11], 0
	v_mov_b32_e32 v129, v0
.LBB60_795:                             ; =>This Inner Loop Header: Depth=1
	buffer_load_dword v130, v128, s[0:3], 0 offen
	buffer_load_dword v131, v128, s[0:3], 0 offen offset:4
	ds_read_b64 v[132:133], v127
	v_add_u32_e32 v129, 1, v129
	v_cmp_lt_u32_e32 vcc, 19, v129
	v_add_u32_e32 v127, 8, v127
	s_or_b64 s[10:11], vcc, s[10:11]
	v_add_u32_e32 v128, 8, v128
	s_waitcnt vmcnt(0) lgkmcnt(0)
	v_fma_f64 v[123:124], v[130:131], v[132:133], v[123:124]
	s_andn2_b64 exec, exec, s[10:11]
	s_cbranch_execnz .LBB60_795
; %bb.796:
	s_or_b64 exec, exec, s[10:11]
.LBB60_797:
	s_or_b64 exec, exec, s[8:9]
	v_mov_b32_e32 v127, 0
	ds_read_b64 v[127:128], v127 offset:168
	s_waitcnt lgkmcnt(0)
	v_mul_f64 v[123:124], v[123:124], v[127:128]
	buffer_store_dword v124, off, s[0:3], 0 offset:172
	buffer_store_dword v123, off, s[0:3], 0 offset:168
.LBB60_798:
	s_or_b64 exec, exec, s[6:7]
	buffer_load_dword v123, off, s[0:3], 0 offset:176
	buffer_load_dword v124, off, s[0:3], 0 offset:180
	v_cmp_gt_u32_e32 vcc, 22, v0
	s_waitcnt vmcnt(0)
	ds_write_b64 v125, v[123:124]
	s_waitcnt lgkmcnt(0)
	; wave barrier
	s_and_saveexec_b64 s[6:7], vcc
	s_cbranch_execz .LBB60_808
; %bb.799:
	s_and_b64 vcc, exec, s[4:5]
	s_cbranch_vccnz .LBB60_801
; %bb.800:
	buffer_load_dword v123, v126, s[0:3], 0 offen
	buffer_load_dword v124, v126, s[0:3], 0 offen offset:4
	ds_read_b64 v[127:128], v125
	s_waitcnt vmcnt(0) lgkmcnt(0)
	v_mul_f64 v[123:124], v[123:124], v[127:128]
	s_cbranch_execz .LBB60_802
	s_branch .LBB60_803
.LBB60_801:
                                        ; implicit-def: $vgpr123_vgpr124
.LBB60_802:
	ds_read_b64 v[123:124], v125
.LBB60_803:
	v_cmp_ne_u32_e32 vcc, 21, v0
	s_and_saveexec_b64 s[8:9], vcc
	s_cbranch_execz .LBB60_807
; %bb.804:
	s_mov_b32 s10, 0
	v_add_u32_e32 v127, 0x1f8, v172
	v_add3_u32 v128, v172, s10, 8
	s_mov_b64 s[10:11], 0
	v_mov_b32_e32 v129, v0
.LBB60_805:                             ; =>This Inner Loop Header: Depth=1
	buffer_load_dword v130, v128, s[0:3], 0 offen
	buffer_load_dword v131, v128, s[0:3], 0 offen offset:4
	ds_read_b64 v[132:133], v127
	v_add_u32_e32 v129, 1, v129
	v_cmp_lt_u32_e32 vcc, 20, v129
	v_add_u32_e32 v127, 8, v127
	s_or_b64 s[10:11], vcc, s[10:11]
	v_add_u32_e32 v128, 8, v128
	s_waitcnt vmcnt(0) lgkmcnt(0)
	v_fma_f64 v[123:124], v[130:131], v[132:133], v[123:124]
	s_andn2_b64 exec, exec, s[10:11]
	s_cbranch_execnz .LBB60_805
; %bb.806:
	s_or_b64 exec, exec, s[10:11]
.LBB60_807:
	s_or_b64 exec, exec, s[8:9]
	v_mov_b32_e32 v127, 0
	ds_read_b64 v[127:128], v127 offset:176
	s_waitcnt lgkmcnt(0)
	v_mul_f64 v[123:124], v[123:124], v[127:128]
	buffer_store_dword v124, off, s[0:3], 0 offset:180
	buffer_store_dword v123, off, s[0:3], 0 offset:176
.LBB60_808:
	s_or_b64 exec, exec, s[6:7]
	buffer_load_dword v123, off, s[0:3], 0 offset:184
	buffer_load_dword v124, off, s[0:3], 0 offset:188
	v_cmp_gt_u32_e32 vcc, 23, v0
	s_waitcnt vmcnt(0)
	ds_write_b64 v125, v[123:124]
	s_waitcnt lgkmcnt(0)
	; wave barrier
	s_and_saveexec_b64 s[6:7], vcc
	s_cbranch_execz .LBB60_818
; %bb.809:
	s_and_b64 vcc, exec, s[4:5]
	s_cbranch_vccnz .LBB60_811
; %bb.810:
	buffer_load_dword v123, v126, s[0:3], 0 offen
	buffer_load_dword v124, v126, s[0:3], 0 offen offset:4
	ds_read_b64 v[127:128], v125
	s_waitcnt vmcnt(0) lgkmcnt(0)
	v_mul_f64 v[123:124], v[123:124], v[127:128]
	s_cbranch_execz .LBB60_812
	s_branch .LBB60_813
.LBB60_811:
                                        ; implicit-def: $vgpr123_vgpr124
.LBB60_812:
	ds_read_b64 v[123:124], v125
.LBB60_813:
	v_cmp_ne_u32_e32 vcc, 22, v0
	s_and_saveexec_b64 s[8:9], vcc
	s_cbranch_execz .LBB60_817
; %bb.814:
	s_mov_b32 s10, 0
	v_add_u32_e32 v127, 0x1f8, v172
	v_add3_u32 v128, v172, s10, 8
	s_mov_b64 s[10:11], 0
	v_mov_b32_e32 v129, v0
.LBB60_815:                             ; =>This Inner Loop Header: Depth=1
	buffer_load_dword v130, v128, s[0:3], 0 offen
	buffer_load_dword v131, v128, s[0:3], 0 offen offset:4
	ds_read_b64 v[132:133], v127
	v_add_u32_e32 v129, 1, v129
	v_cmp_lt_u32_e32 vcc, 21, v129
	v_add_u32_e32 v127, 8, v127
	s_or_b64 s[10:11], vcc, s[10:11]
	v_add_u32_e32 v128, 8, v128
	s_waitcnt vmcnt(0) lgkmcnt(0)
	v_fma_f64 v[123:124], v[130:131], v[132:133], v[123:124]
	s_andn2_b64 exec, exec, s[10:11]
	s_cbranch_execnz .LBB60_815
; %bb.816:
	s_or_b64 exec, exec, s[10:11]
.LBB60_817:
	s_or_b64 exec, exec, s[8:9]
	v_mov_b32_e32 v127, 0
	ds_read_b64 v[127:128], v127 offset:184
	s_waitcnt lgkmcnt(0)
	v_mul_f64 v[123:124], v[123:124], v[127:128]
	buffer_store_dword v124, off, s[0:3], 0 offset:188
	buffer_store_dword v123, off, s[0:3], 0 offset:184
.LBB60_818:
	s_or_b64 exec, exec, s[6:7]
	buffer_load_dword v123, off, s[0:3], 0 offset:192
	buffer_load_dword v124, off, s[0:3], 0 offset:196
	v_cmp_gt_u32_e32 vcc, 24, v0
	s_waitcnt vmcnt(0)
	ds_write_b64 v125, v[123:124]
	s_waitcnt lgkmcnt(0)
	; wave barrier
	s_and_saveexec_b64 s[6:7], vcc
	s_cbranch_execz .LBB60_828
; %bb.819:
	s_and_b64 vcc, exec, s[4:5]
	s_cbranch_vccnz .LBB60_821
; %bb.820:
	buffer_load_dword v123, v126, s[0:3], 0 offen
	buffer_load_dword v124, v126, s[0:3], 0 offen offset:4
	ds_read_b64 v[127:128], v125
	s_waitcnt vmcnt(0) lgkmcnt(0)
	v_mul_f64 v[123:124], v[123:124], v[127:128]
	s_cbranch_execz .LBB60_822
	s_branch .LBB60_823
.LBB60_821:
                                        ; implicit-def: $vgpr123_vgpr124
.LBB60_822:
	ds_read_b64 v[123:124], v125
.LBB60_823:
	v_cmp_ne_u32_e32 vcc, 23, v0
	s_and_saveexec_b64 s[8:9], vcc
	s_cbranch_execz .LBB60_827
; %bb.824:
	s_mov_b32 s10, 0
	v_add_u32_e32 v127, 0x1f8, v172
	v_add3_u32 v128, v172, s10, 8
	s_mov_b64 s[10:11], 0
	v_mov_b32_e32 v129, v0
.LBB60_825:                             ; =>This Inner Loop Header: Depth=1
	buffer_load_dword v130, v128, s[0:3], 0 offen
	buffer_load_dword v131, v128, s[0:3], 0 offen offset:4
	ds_read_b64 v[132:133], v127
	v_add_u32_e32 v129, 1, v129
	v_cmp_lt_u32_e32 vcc, 22, v129
	v_add_u32_e32 v127, 8, v127
	s_or_b64 s[10:11], vcc, s[10:11]
	v_add_u32_e32 v128, 8, v128
	s_waitcnt vmcnt(0) lgkmcnt(0)
	v_fma_f64 v[123:124], v[130:131], v[132:133], v[123:124]
	s_andn2_b64 exec, exec, s[10:11]
	s_cbranch_execnz .LBB60_825
; %bb.826:
	s_or_b64 exec, exec, s[10:11]
.LBB60_827:
	s_or_b64 exec, exec, s[8:9]
	v_mov_b32_e32 v127, 0
	ds_read_b64 v[127:128], v127 offset:192
	s_waitcnt lgkmcnt(0)
	v_mul_f64 v[123:124], v[123:124], v[127:128]
	buffer_store_dword v124, off, s[0:3], 0 offset:196
	buffer_store_dword v123, off, s[0:3], 0 offset:192
.LBB60_828:
	s_or_b64 exec, exec, s[6:7]
	buffer_load_dword v123, off, s[0:3], 0 offset:200
	buffer_load_dword v124, off, s[0:3], 0 offset:204
	v_cmp_gt_u32_e32 vcc, 25, v0
	s_waitcnt vmcnt(0)
	ds_write_b64 v125, v[123:124]
	s_waitcnt lgkmcnt(0)
	; wave barrier
	s_and_saveexec_b64 s[6:7], vcc
	s_cbranch_execz .LBB60_838
; %bb.829:
	s_and_b64 vcc, exec, s[4:5]
	s_cbranch_vccnz .LBB60_831
; %bb.830:
	buffer_load_dword v123, v126, s[0:3], 0 offen
	buffer_load_dword v124, v126, s[0:3], 0 offen offset:4
	ds_read_b64 v[127:128], v125
	s_waitcnt vmcnt(0) lgkmcnt(0)
	v_mul_f64 v[123:124], v[123:124], v[127:128]
	s_cbranch_execz .LBB60_832
	s_branch .LBB60_833
.LBB60_831:
                                        ; implicit-def: $vgpr123_vgpr124
.LBB60_832:
	ds_read_b64 v[123:124], v125
.LBB60_833:
	v_cmp_ne_u32_e32 vcc, 24, v0
	s_and_saveexec_b64 s[8:9], vcc
	s_cbranch_execz .LBB60_837
; %bb.834:
	s_mov_b32 s10, 0
	v_add_u32_e32 v127, 0x1f8, v172
	v_add3_u32 v128, v172, s10, 8
	s_mov_b64 s[10:11], 0
	v_mov_b32_e32 v129, v0
.LBB60_835:                             ; =>This Inner Loop Header: Depth=1
	buffer_load_dword v130, v128, s[0:3], 0 offen
	buffer_load_dword v131, v128, s[0:3], 0 offen offset:4
	ds_read_b64 v[132:133], v127
	v_add_u32_e32 v129, 1, v129
	v_cmp_lt_u32_e32 vcc, 23, v129
	v_add_u32_e32 v127, 8, v127
	s_or_b64 s[10:11], vcc, s[10:11]
	v_add_u32_e32 v128, 8, v128
	s_waitcnt vmcnt(0) lgkmcnt(0)
	v_fma_f64 v[123:124], v[130:131], v[132:133], v[123:124]
	s_andn2_b64 exec, exec, s[10:11]
	s_cbranch_execnz .LBB60_835
; %bb.836:
	s_or_b64 exec, exec, s[10:11]
.LBB60_837:
	s_or_b64 exec, exec, s[8:9]
	v_mov_b32_e32 v127, 0
	ds_read_b64 v[127:128], v127 offset:200
	s_waitcnt lgkmcnt(0)
	v_mul_f64 v[123:124], v[123:124], v[127:128]
	buffer_store_dword v124, off, s[0:3], 0 offset:204
	buffer_store_dword v123, off, s[0:3], 0 offset:200
.LBB60_838:
	s_or_b64 exec, exec, s[6:7]
	buffer_load_dword v123, off, s[0:3], 0 offset:208
	buffer_load_dword v124, off, s[0:3], 0 offset:212
	v_cmp_gt_u32_e32 vcc, 26, v0
	s_waitcnt vmcnt(0)
	ds_write_b64 v125, v[123:124]
	s_waitcnt lgkmcnt(0)
	; wave barrier
	s_and_saveexec_b64 s[6:7], vcc
	s_cbranch_execz .LBB60_848
; %bb.839:
	s_and_b64 vcc, exec, s[4:5]
	s_cbranch_vccnz .LBB60_841
; %bb.840:
	buffer_load_dword v123, v126, s[0:3], 0 offen
	buffer_load_dword v124, v126, s[0:3], 0 offen offset:4
	ds_read_b64 v[127:128], v125
	s_waitcnt vmcnt(0) lgkmcnt(0)
	v_mul_f64 v[123:124], v[123:124], v[127:128]
	s_cbranch_execz .LBB60_842
	s_branch .LBB60_843
.LBB60_841:
                                        ; implicit-def: $vgpr123_vgpr124
.LBB60_842:
	ds_read_b64 v[123:124], v125
.LBB60_843:
	v_cmp_ne_u32_e32 vcc, 25, v0
	s_and_saveexec_b64 s[8:9], vcc
	s_cbranch_execz .LBB60_847
; %bb.844:
	s_mov_b32 s10, 0
	v_add_u32_e32 v127, 0x1f8, v172
	v_add3_u32 v128, v172, s10, 8
	s_mov_b64 s[10:11], 0
	v_mov_b32_e32 v129, v0
.LBB60_845:                             ; =>This Inner Loop Header: Depth=1
	buffer_load_dword v130, v128, s[0:3], 0 offen
	buffer_load_dword v131, v128, s[0:3], 0 offen offset:4
	ds_read_b64 v[132:133], v127
	v_add_u32_e32 v129, 1, v129
	v_cmp_lt_u32_e32 vcc, 24, v129
	v_add_u32_e32 v127, 8, v127
	s_or_b64 s[10:11], vcc, s[10:11]
	v_add_u32_e32 v128, 8, v128
	s_waitcnt vmcnt(0) lgkmcnt(0)
	v_fma_f64 v[123:124], v[130:131], v[132:133], v[123:124]
	s_andn2_b64 exec, exec, s[10:11]
	s_cbranch_execnz .LBB60_845
; %bb.846:
	s_or_b64 exec, exec, s[10:11]
.LBB60_847:
	s_or_b64 exec, exec, s[8:9]
	v_mov_b32_e32 v127, 0
	ds_read_b64 v[127:128], v127 offset:208
	s_waitcnt lgkmcnt(0)
	v_mul_f64 v[123:124], v[123:124], v[127:128]
	buffer_store_dword v124, off, s[0:3], 0 offset:212
	buffer_store_dword v123, off, s[0:3], 0 offset:208
.LBB60_848:
	s_or_b64 exec, exec, s[6:7]
	buffer_load_dword v123, off, s[0:3], 0 offset:216
	buffer_load_dword v124, off, s[0:3], 0 offset:220
	v_cmp_gt_u32_e32 vcc, 27, v0
	s_waitcnt vmcnt(0)
	ds_write_b64 v125, v[123:124]
	s_waitcnt lgkmcnt(0)
	; wave barrier
	s_and_saveexec_b64 s[6:7], vcc
	s_cbranch_execz .LBB60_858
; %bb.849:
	s_and_b64 vcc, exec, s[4:5]
	s_cbranch_vccnz .LBB60_851
; %bb.850:
	buffer_load_dword v123, v126, s[0:3], 0 offen
	buffer_load_dword v124, v126, s[0:3], 0 offen offset:4
	ds_read_b64 v[127:128], v125
	s_waitcnt vmcnt(0) lgkmcnt(0)
	v_mul_f64 v[123:124], v[123:124], v[127:128]
	s_cbranch_execz .LBB60_852
	s_branch .LBB60_853
.LBB60_851:
                                        ; implicit-def: $vgpr123_vgpr124
.LBB60_852:
	ds_read_b64 v[123:124], v125
.LBB60_853:
	v_cmp_ne_u32_e32 vcc, 26, v0
	s_and_saveexec_b64 s[8:9], vcc
	s_cbranch_execz .LBB60_857
; %bb.854:
	s_mov_b32 s10, 0
	v_add_u32_e32 v127, 0x1f8, v172
	v_add3_u32 v128, v172, s10, 8
	s_mov_b64 s[10:11], 0
	v_mov_b32_e32 v129, v0
.LBB60_855:                             ; =>This Inner Loop Header: Depth=1
	buffer_load_dword v130, v128, s[0:3], 0 offen
	buffer_load_dword v131, v128, s[0:3], 0 offen offset:4
	ds_read_b64 v[132:133], v127
	v_add_u32_e32 v129, 1, v129
	v_cmp_lt_u32_e32 vcc, 25, v129
	v_add_u32_e32 v127, 8, v127
	s_or_b64 s[10:11], vcc, s[10:11]
	v_add_u32_e32 v128, 8, v128
	s_waitcnt vmcnt(0) lgkmcnt(0)
	v_fma_f64 v[123:124], v[130:131], v[132:133], v[123:124]
	s_andn2_b64 exec, exec, s[10:11]
	s_cbranch_execnz .LBB60_855
; %bb.856:
	s_or_b64 exec, exec, s[10:11]
.LBB60_857:
	s_or_b64 exec, exec, s[8:9]
	v_mov_b32_e32 v127, 0
	ds_read_b64 v[127:128], v127 offset:216
	s_waitcnt lgkmcnt(0)
	v_mul_f64 v[123:124], v[123:124], v[127:128]
	buffer_store_dword v124, off, s[0:3], 0 offset:220
	buffer_store_dword v123, off, s[0:3], 0 offset:216
.LBB60_858:
	s_or_b64 exec, exec, s[6:7]
	buffer_load_dword v123, off, s[0:3], 0 offset:224
	buffer_load_dword v124, off, s[0:3], 0 offset:228
	v_cmp_gt_u32_e32 vcc, 28, v0
	s_waitcnt vmcnt(0)
	ds_write_b64 v125, v[123:124]
	s_waitcnt lgkmcnt(0)
	; wave barrier
	s_and_saveexec_b64 s[6:7], vcc
	s_cbranch_execz .LBB60_868
; %bb.859:
	s_and_b64 vcc, exec, s[4:5]
	s_cbranch_vccnz .LBB60_861
; %bb.860:
	buffer_load_dword v123, v126, s[0:3], 0 offen
	buffer_load_dword v124, v126, s[0:3], 0 offen offset:4
	ds_read_b64 v[127:128], v125
	s_waitcnt vmcnt(0) lgkmcnt(0)
	v_mul_f64 v[123:124], v[123:124], v[127:128]
	s_cbranch_execz .LBB60_862
	s_branch .LBB60_863
.LBB60_861:
                                        ; implicit-def: $vgpr123_vgpr124
.LBB60_862:
	ds_read_b64 v[123:124], v125
.LBB60_863:
	v_cmp_ne_u32_e32 vcc, 27, v0
	s_and_saveexec_b64 s[8:9], vcc
	s_cbranch_execz .LBB60_867
; %bb.864:
	s_mov_b32 s10, 0
	v_add_u32_e32 v127, 0x1f8, v172
	v_add3_u32 v128, v172, s10, 8
	s_mov_b64 s[10:11], 0
	v_mov_b32_e32 v129, v0
.LBB60_865:                             ; =>This Inner Loop Header: Depth=1
	buffer_load_dword v130, v128, s[0:3], 0 offen
	buffer_load_dword v131, v128, s[0:3], 0 offen offset:4
	ds_read_b64 v[132:133], v127
	v_add_u32_e32 v129, 1, v129
	v_cmp_lt_u32_e32 vcc, 26, v129
	v_add_u32_e32 v127, 8, v127
	s_or_b64 s[10:11], vcc, s[10:11]
	v_add_u32_e32 v128, 8, v128
	s_waitcnt vmcnt(0) lgkmcnt(0)
	v_fma_f64 v[123:124], v[130:131], v[132:133], v[123:124]
	s_andn2_b64 exec, exec, s[10:11]
	s_cbranch_execnz .LBB60_865
; %bb.866:
	s_or_b64 exec, exec, s[10:11]
.LBB60_867:
	s_or_b64 exec, exec, s[8:9]
	v_mov_b32_e32 v127, 0
	ds_read_b64 v[127:128], v127 offset:224
	s_waitcnt lgkmcnt(0)
	v_mul_f64 v[123:124], v[123:124], v[127:128]
	buffer_store_dword v124, off, s[0:3], 0 offset:228
	buffer_store_dword v123, off, s[0:3], 0 offset:224
.LBB60_868:
	s_or_b64 exec, exec, s[6:7]
	buffer_load_dword v123, off, s[0:3], 0 offset:232
	buffer_load_dword v124, off, s[0:3], 0 offset:236
	v_cmp_gt_u32_e32 vcc, 29, v0
	s_waitcnt vmcnt(0)
	ds_write_b64 v125, v[123:124]
	s_waitcnt lgkmcnt(0)
	; wave barrier
	s_and_saveexec_b64 s[6:7], vcc
	s_cbranch_execz .LBB60_878
; %bb.869:
	s_and_b64 vcc, exec, s[4:5]
	s_cbranch_vccnz .LBB60_871
; %bb.870:
	buffer_load_dword v123, v126, s[0:3], 0 offen
	buffer_load_dword v124, v126, s[0:3], 0 offen offset:4
	ds_read_b64 v[127:128], v125
	s_waitcnt vmcnt(0) lgkmcnt(0)
	v_mul_f64 v[123:124], v[123:124], v[127:128]
	s_cbranch_execz .LBB60_872
	s_branch .LBB60_873
.LBB60_871:
                                        ; implicit-def: $vgpr123_vgpr124
.LBB60_872:
	ds_read_b64 v[123:124], v125
.LBB60_873:
	v_cmp_ne_u32_e32 vcc, 28, v0
	s_and_saveexec_b64 s[8:9], vcc
	s_cbranch_execz .LBB60_877
; %bb.874:
	s_mov_b32 s10, 0
	v_add_u32_e32 v127, 0x1f8, v172
	v_add3_u32 v128, v172, s10, 8
	s_mov_b64 s[10:11], 0
	v_mov_b32_e32 v129, v0
.LBB60_875:                             ; =>This Inner Loop Header: Depth=1
	buffer_load_dword v130, v128, s[0:3], 0 offen
	buffer_load_dword v131, v128, s[0:3], 0 offen offset:4
	ds_read_b64 v[132:133], v127
	v_add_u32_e32 v129, 1, v129
	v_cmp_lt_u32_e32 vcc, 27, v129
	v_add_u32_e32 v127, 8, v127
	s_or_b64 s[10:11], vcc, s[10:11]
	v_add_u32_e32 v128, 8, v128
	s_waitcnt vmcnt(0) lgkmcnt(0)
	v_fma_f64 v[123:124], v[130:131], v[132:133], v[123:124]
	s_andn2_b64 exec, exec, s[10:11]
	s_cbranch_execnz .LBB60_875
; %bb.876:
	s_or_b64 exec, exec, s[10:11]
.LBB60_877:
	s_or_b64 exec, exec, s[8:9]
	v_mov_b32_e32 v127, 0
	ds_read_b64 v[127:128], v127 offset:232
	s_waitcnt lgkmcnt(0)
	v_mul_f64 v[123:124], v[123:124], v[127:128]
	buffer_store_dword v124, off, s[0:3], 0 offset:236
	buffer_store_dword v123, off, s[0:3], 0 offset:232
.LBB60_878:
	s_or_b64 exec, exec, s[6:7]
	buffer_load_dword v123, off, s[0:3], 0 offset:240
	buffer_load_dword v124, off, s[0:3], 0 offset:244
	v_cmp_gt_u32_e32 vcc, 30, v0
	s_waitcnt vmcnt(0)
	ds_write_b64 v125, v[123:124]
	s_waitcnt lgkmcnt(0)
	; wave barrier
	s_and_saveexec_b64 s[6:7], vcc
	s_cbranch_execz .LBB60_888
; %bb.879:
	s_and_b64 vcc, exec, s[4:5]
	s_cbranch_vccnz .LBB60_881
; %bb.880:
	buffer_load_dword v123, v126, s[0:3], 0 offen
	buffer_load_dword v124, v126, s[0:3], 0 offen offset:4
	ds_read_b64 v[127:128], v125
	s_waitcnt vmcnt(0) lgkmcnt(0)
	v_mul_f64 v[123:124], v[123:124], v[127:128]
	s_cbranch_execz .LBB60_882
	s_branch .LBB60_883
.LBB60_881:
                                        ; implicit-def: $vgpr123_vgpr124
.LBB60_882:
	ds_read_b64 v[123:124], v125
.LBB60_883:
	v_cmp_ne_u32_e32 vcc, 29, v0
	s_and_saveexec_b64 s[8:9], vcc
	s_cbranch_execz .LBB60_887
; %bb.884:
	s_mov_b32 s10, 0
	v_add_u32_e32 v127, 0x1f8, v172
	v_add3_u32 v128, v172, s10, 8
	s_mov_b64 s[10:11], 0
	v_mov_b32_e32 v129, v0
.LBB60_885:                             ; =>This Inner Loop Header: Depth=1
	buffer_load_dword v130, v128, s[0:3], 0 offen
	buffer_load_dword v131, v128, s[0:3], 0 offen offset:4
	ds_read_b64 v[132:133], v127
	v_add_u32_e32 v129, 1, v129
	v_cmp_lt_u32_e32 vcc, 28, v129
	v_add_u32_e32 v127, 8, v127
	s_or_b64 s[10:11], vcc, s[10:11]
	v_add_u32_e32 v128, 8, v128
	s_waitcnt vmcnt(0) lgkmcnt(0)
	v_fma_f64 v[123:124], v[130:131], v[132:133], v[123:124]
	s_andn2_b64 exec, exec, s[10:11]
	s_cbranch_execnz .LBB60_885
; %bb.886:
	s_or_b64 exec, exec, s[10:11]
.LBB60_887:
	s_or_b64 exec, exec, s[8:9]
	v_mov_b32_e32 v127, 0
	ds_read_b64 v[127:128], v127 offset:240
	s_waitcnt lgkmcnt(0)
	v_mul_f64 v[123:124], v[123:124], v[127:128]
	buffer_store_dword v124, off, s[0:3], 0 offset:244
	buffer_store_dword v123, off, s[0:3], 0 offset:240
.LBB60_888:
	s_or_b64 exec, exec, s[6:7]
	buffer_load_dword v123, off, s[0:3], 0 offset:248
	buffer_load_dword v124, off, s[0:3], 0 offset:252
	v_cmp_gt_u32_e32 vcc, 31, v0
	s_waitcnt vmcnt(0)
	ds_write_b64 v125, v[123:124]
	s_waitcnt lgkmcnt(0)
	; wave barrier
	s_and_saveexec_b64 s[6:7], vcc
	s_cbranch_execz .LBB60_898
; %bb.889:
	s_and_b64 vcc, exec, s[4:5]
	s_cbranch_vccnz .LBB60_891
; %bb.890:
	buffer_load_dword v123, v126, s[0:3], 0 offen
	buffer_load_dword v124, v126, s[0:3], 0 offen offset:4
	ds_read_b64 v[127:128], v125
	s_waitcnt vmcnt(0) lgkmcnt(0)
	v_mul_f64 v[123:124], v[123:124], v[127:128]
	s_cbranch_execz .LBB60_892
	s_branch .LBB60_893
.LBB60_891:
                                        ; implicit-def: $vgpr123_vgpr124
.LBB60_892:
	ds_read_b64 v[123:124], v125
.LBB60_893:
	v_cmp_ne_u32_e32 vcc, 30, v0
	s_and_saveexec_b64 s[8:9], vcc
	s_cbranch_execz .LBB60_897
; %bb.894:
	s_mov_b32 s10, 0
	v_add_u32_e32 v127, 0x1f8, v172
	v_add3_u32 v128, v172, s10, 8
	s_mov_b64 s[10:11], 0
	v_mov_b32_e32 v129, v0
.LBB60_895:                             ; =>This Inner Loop Header: Depth=1
	buffer_load_dword v130, v128, s[0:3], 0 offen
	buffer_load_dword v131, v128, s[0:3], 0 offen offset:4
	ds_read_b64 v[132:133], v127
	v_add_u32_e32 v129, 1, v129
	v_cmp_lt_u32_e32 vcc, 29, v129
	v_add_u32_e32 v127, 8, v127
	s_or_b64 s[10:11], vcc, s[10:11]
	v_add_u32_e32 v128, 8, v128
	s_waitcnt vmcnt(0) lgkmcnt(0)
	v_fma_f64 v[123:124], v[130:131], v[132:133], v[123:124]
	s_andn2_b64 exec, exec, s[10:11]
	s_cbranch_execnz .LBB60_895
; %bb.896:
	s_or_b64 exec, exec, s[10:11]
.LBB60_897:
	s_or_b64 exec, exec, s[8:9]
	v_mov_b32_e32 v127, 0
	ds_read_b64 v[127:128], v127 offset:248
	s_waitcnt lgkmcnt(0)
	v_mul_f64 v[123:124], v[123:124], v[127:128]
	buffer_store_dword v124, off, s[0:3], 0 offset:252
	buffer_store_dword v123, off, s[0:3], 0 offset:248
.LBB60_898:
	s_or_b64 exec, exec, s[6:7]
	buffer_load_dword v123, off, s[0:3], 0 offset:256
	buffer_load_dword v124, off, s[0:3], 0 offset:260
	v_cmp_gt_u32_e32 vcc, 32, v0
	s_waitcnt vmcnt(0)
	ds_write_b64 v125, v[123:124]
	s_waitcnt lgkmcnt(0)
	; wave barrier
	s_and_saveexec_b64 s[6:7], vcc
	s_cbranch_execz .LBB60_908
; %bb.899:
	s_and_b64 vcc, exec, s[4:5]
	s_cbranch_vccnz .LBB60_901
; %bb.900:
	buffer_load_dword v123, v126, s[0:3], 0 offen
	buffer_load_dword v124, v126, s[0:3], 0 offen offset:4
	ds_read_b64 v[127:128], v125
	s_waitcnt vmcnt(0) lgkmcnt(0)
	v_mul_f64 v[123:124], v[123:124], v[127:128]
	s_cbranch_execz .LBB60_902
	s_branch .LBB60_903
.LBB60_901:
                                        ; implicit-def: $vgpr123_vgpr124
.LBB60_902:
	ds_read_b64 v[123:124], v125
.LBB60_903:
	v_cmp_ne_u32_e32 vcc, 31, v0
	s_and_saveexec_b64 s[8:9], vcc
	s_cbranch_execz .LBB60_907
; %bb.904:
	s_mov_b32 s10, 0
	v_add_u32_e32 v127, 0x1f8, v172
	v_add3_u32 v128, v172, s10, 8
	s_mov_b64 s[10:11], 0
	v_mov_b32_e32 v129, v0
.LBB60_905:                             ; =>This Inner Loop Header: Depth=1
	buffer_load_dword v130, v128, s[0:3], 0 offen
	buffer_load_dword v131, v128, s[0:3], 0 offen offset:4
	ds_read_b64 v[132:133], v127
	v_add_u32_e32 v129, 1, v129
	v_cmp_lt_u32_e32 vcc, 30, v129
	v_add_u32_e32 v127, 8, v127
	s_or_b64 s[10:11], vcc, s[10:11]
	v_add_u32_e32 v128, 8, v128
	s_waitcnt vmcnt(0) lgkmcnt(0)
	v_fma_f64 v[123:124], v[130:131], v[132:133], v[123:124]
	s_andn2_b64 exec, exec, s[10:11]
	s_cbranch_execnz .LBB60_905
; %bb.906:
	s_or_b64 exec, exec, s[10:11]
.LBB60_907:
	s_or_b64 exec, exec, s[8:9]
	v_mov_b32_e32 v127, 0
	ds_read_b64 v[127:128], v127 offset:256
	s_waitcnt lgkmcnt(0)
	v_mul_f64 v[123:124], v[123:124], v[127:128]
	buffer_store_dword v124, off, s[0:3], 0 offset:260
	buffer_store_dword v123, off, s[0:3], 0 offset:256
.LBB60_908:
	s_or_b64 exec, exec, s[6:7]
	buffer_load_dword v123, off, s[0:3], 0 offset:264
	buffer_load_dword v124, off, s[0:3], 0 offset:268
	v_cmp_gt_u32_e32 vcc, 33, v0
	s_waitcnt vmcnt(0)
	ds_write_b64 v125, v[123:124]
	s_waitcnt lgkmcnt(0)
	; wave barrier
	s_and_saveexec_b64 s[6:7], vcc
	s_cbranch_execz .LBB60_918
; %bb.909:
	s_and_b64 vcc, exec, s[4:5]
	s_cbranch_vccnz .LBB60_911
; %bb.910:
	buffer_load_dword v123, v126, s[0:3], 0 offen
	buffer_load_dword v124, v126, s[0:3], 0 offen offset:4
	ds_read_b64 v[127:128], v125
	s_waitcnt vmcnt(0) lgkmcnt(0)
	v_mul_f64 v[123:124], v[123:124], v[127:128]
	s_cbranch_execz .LBB60_912
	s_branch .LBB60_913
.LBB60_911:
                                        ; implicit-def: $vgpr123_vgpr124
.LBB60_912:
	ds_read_b64 v[123:124], v125
.LBB60_913:
	v_cmp_ne_u32_e32 vcc, 32, v0
	s_and_saveexec_b64 s[8:9], vcc
	s_cbranch_execz .LBB60_917
; %bb.914:
	s_mov_b32 s10, 0
	v_add_u32_e32 v127, 0x1f8, v172
	v_add3_u32 v128, v172, s10, 8
	s_mov_b64 s[10:11], 0
	v_mov_b32_e32 v129, v0
.LBB60_915:                             ; =>This Inner Loop Header: Depth=1
	buffer_load_dword v130, v128, s[0:3], 0 offen
	buffer_load_dword v131, v128, s[0:3], 0 offen offset:4
	ds_read_b64 v[132:133], v127
	v_add_u32_e32 v129, 1, v129
	v_cmp_lt_u32_e32 vcc, 31, v129
	v_add_u32_e32 v127, 8, v127
	s_or_b64 s[10:11], vcc, s[10:11]
	v_add_u32_e32 v128, 8, v128
	s_waitcnt vmcnt(0) lgkmcnt(0)
	v_fma_f64 v[123:124], v[130:131], v[132:133], v[123:124]
	s_andn2_b64 exec, exec, s[10:11]
	s_cbranch_execnz .LBB60_915
; %bb.916:
	s_or_b64 exec, exec, s[10:11]
.LBB60_917:
	s_or_b64 exec, exec, s[8:9]
	v_mov_b32_e32 v127, 0
	ds_read_b64 v[127:128], v127 offset:264
	s_waitcnt lgkmcnt(0)
	v_mul_f64 v[123:124], v[123:124], v[127:128]
	buffer_store_dword v124, off, s[0:3], 0 offset:268
	buffer_store_dword v123, off, s[0:3], 0 offset:264
.LBB60_918:
	s_or_b64 exec, exec, s[6:7]
	buffer_load_dword v123, off, s[0:3], 0 offset:272
	buffer_load_dword v124, off, s[0:3], 0 offset:276
	v_cmp_gt_u32_e32 vcc, 34, v0
	s_waitcnt vmcnt(0)
	ds_write_b64 v125, v[123:124]
	s_waitcnt lgkmcnt(0)
	; wave barrier
	s_and_saveexec_b64 s[6:7], vcc
	s_cbranch_execz .LBB60_928
; %bb.919:
	s_and_b64 vcc, exec, s[4:5]
	s_cbranch_vccnz .LBB60_921
; %bb.920:
	buffer_load_dword v123, v126, s[0:3], 0 offen
	buffer_load_dword v124, v126, s[0:3], 0 offen offset:4
	ds_read_b64 v[127:128], v125
	s_waitcnt vmcnt(0) lgkmcnt(0)
	v_mul_f64 v[123:124], v[123:124], v[127:128]
	s_cbranch_execz .LBB60_922
	s_branch .LBB60_923
.LBB60_921:
                                        ; implicit-def: $vgpr123_vgpr124
.LBB60_922:
	ds_read_b64 v[123:124], v125
.LBB60_923:
	v_cmp_ne_u32_e32 vcc, 33, v0
	s_and_saveexec_b64 s[8:9], vcc
	s_cbranch_execz .LBB60_927
; %bb.924:
	s_mov_b32 s10, 0
	v_add_u32_e32 v127, 0x1f8, v172
	v_add3_u32 v128, v172, s10, 8
	s_mov_b64 s[10:11], 0
	v_mov_b32_e32 v129, v0
.LBB60_925:                             ; =>This Inner Loop Header: Depth=1
	buffer_load_dword v130, v128, s[0:3], 0 offen
	buffer_load_dword v131, v128, s[0:3], 0 offen offset:4
	ds_read_b64 v[132:133], v127
	v_add_u32_e32 v129, 1, v129
	v_cmp_lt_u32_e32 vcc, 32, v129
	v_add_u32_e32 v127, 8, v127
	s_or_b64 s[10:11], vcc, s[10:11]
	v_add_u32_e32 v128, 8, v128
	s_waitcnt vmcnt(0) lgkmcnt(0)
	v_fma_f64 v[123:124], v[130:131], v[132:133], v[123:124]
	s_andn2_b64 exec, exec, s[10:11]
	s_cbranch_execnz .LBB60_925
; %bb.926:
	s_or_b64 exec, exec, s[10:11]
.LBB60_927:
	s_or_b64 exec, exec, s[8:9]
	v_mov_b32_e32 v127, 0
	ds_read_b64 v[127:128], v127 offset:272
	s_waitcnt lgkmcnt(0)
	v_mul_f64 v[123:124], v[123:124], v[127:128]
	buffer_store_dword v124, off, s[0:3], 0 offset:276
	buffer_store_dword v123, off, s[0:3], 0 offset:272
.LBB60_928:
	s_or_b64 exec, exec, s[6:7]
	buffer_load_dword v123, off, s[0:3], 0 offset:280
	buffer_load_dword v124, off, s[0:3], 0 offset:284
	v_cmp_gt_u32_e32 vcc, 35, v0
	s_waitcnt vmcnt(0)
	ds_write_b64 v125, v[123:124]
	s_waitcnt lgkmcnt(0)
	; wave barrier
	s_and_saveexec_b64 s[6:7], vcc
	s_cbranch_execz .LBB60_938
; %bb.929:
	s_and_b64 vcc, exec, s[4:5]
	s_cbranch_vccnz .LBB60_931
; %bb.930:
	buffer_load_dword v123, v126, s[0:3], 0 offen
	buffer_load_dword v124, v126, s[0:3], 0 offen offset:4
	ds_read_b64 v[127:128], v125
	s_waitcnt vmcnt(0) lgkmcnt(0)
	v_mul_f64 v[123:124], v[123:124], v[127:128]
	s_cbranch_execz .LBB60_932
	s_branch .LBB60_933
.LBB60_931:
                                        ; implicit-def: $vgpr123_vgpr124
.LBB60_932:
	ds_read_b64 v[123:124], v125
.LBB60_933:
	v_cmp_ne_u32_e32 vcc, 34, v0
	s_and_saveexec_b64 s[8:9], vcc
	s_cbranch_execz .LBB60_937
; %bb.934:
	s_mov_b32 s10, 0
	v_add_u32_e32 v127, 0x1f8, v172
	v_add3_u32 v128, v172, s10, 8
	s_mov_b64 s[10:11], 0
	v_mov_b32_e32 v129, v0
.LBB60_935:                             ; =>This Inner Loop Header: Depth=1
	buffer_load_dword v130, v128, s[0:3], 0 offen
	buffer_load_dword v131, v128, s[0:3], 0 offen offset:4
	ds_read_b64 v[132:133], v127
	v_add_u32_e32 v129, 1, v129
	v_cmp_lt_u32_e32 vcc, 33, v129
	v_add_u32_e32 v127, 8, v127
	s_or_b64 s[10:11], vcc, s[10:11]
	v_add_u32_e32 v128, 8, v128
	s_waitcnt vmcnt(0) lgkmcnt(0)
	v_fma_f64 v[123:124], v[130:131], v[132:133], v[123:124]
	s_andn2_b64 exec, exec, s[10:11]
	s_cbranch_execnz .LBB60_935
; %bb.936:
	s_or_b64 exec, exec, s[10:11]
.LBB60_937:
	s_or_b64 exec, exec, s[8:9]
	v_mov_b32_e32 v127, 0
	ds_read_b64 v[127:128], v127 offset:280
	s_waitcnt lgkmcnt(0)
	v_mul_f64 v[123:124], v[123:124], v[127:128]
	buffer_store_dword v124, off, s[0:3], 0 offset:284
	buffer_store_dword v123, off, s[0:3], 0 offset:280
.LBB60_938:
	s_or_b64 exec, exec, s[6:7]
	buffer_load_dword v123, off, s[0:3], 0 offset:288
	buffer_load_dword v124, off, s[0:3], 0 offset:292
	v_cmp_gt_u32_e32 vcc, 36, v0
	s_waitcnt vmcnt(0)
	ds_write_b64 v125, v[123:124]
	s_waitcnt lgkmcnt(0)
	; wave barrier
	s_and_saveexec_b64 s[6:7], vcc
	s_cbranch_execz .LBB60_948
; %bb.939:
	s_and_b64 vcc, exec, s[4:5]
	s_cbranch_vccnz .LBB60_941
; %bb.940:
	buffer_load_dword v123, v126, s[0:3], 0 offen
	buffer_load_dword v124, v126, s[0:3], 0 offen offset:4
	ds_read_b64 v[127:128], v125
	s_waitcnt vmcnt(0) lgkmcnt(0)
	v_mul_f64 v[123:124], v[123:124], v[127:128]
	s_cbranch_execz .LBB60_942
	s_branch .LBB60_943
.LBB60_941:
                                        ; implicit-def: $vgpr123_vgpr124
.LBB60_942:
	ds_read_b64 v[123:124], v125
.LBB60_943:
	v_cmp_ne_u32_e32 vcc, 35, v0
	s_and_saveexec_b64 s[8:9], vcc
	s_cbranch_execz .LBB60_947
; %bb.944:
	s_mov_b32 s10, 0
	v_add_u32_e32 v127, 0x1f8, v172
	v_add3_u32 v128, v172, s10, 8
	s_mov_b64 s[10:11], 0
	v_mov_b32_e32 v129, v0
.LBB60_945:                             ; =>This Inner Loop Header: Depth=1
	buffer_load_dword v130, v128, s[0:3], 0 offen
	buffer_load_dword v131, v128, s[0:3], 0 offen offset:4
	ds_read_b64 v[132:133], v127
	v_add_u32_e32 v129, 1, v129
	v_cmp_lt_u32_e32 vcc, 34, v129
	v_add_u32_e32 v127, 8, v127
	s_or_b64 s[10:11], vcc, s[10:11]
	v_add_u32_e32 v128, 8, v128
	s_waitcnt vmcnt(0) lgkmcnt(0)
	v_fma_f64 v[123:124], v[130:131], v[132:133], v[123:124]
	s_andn2_b64 exec, exec, s[10:11]
	s_cbranch_execnz .LBB60_945
; %bb.946:
	s_or_b64 exec, exec, s[10:11]
.LBB60_947:
	s_or_b64 exec, exec, s[8:9]
	v_mov_b32_e32 v127, 0
	ds_read_b64 v[127:128], v127 offset:288
	s_waitcnt lgkmcnt(0)
	v_mul_f64 v[123:124], v[123:124], v[127:128]
	buffer_store_dword v124, off, s[0:3], 0 offset:292
	buffer_store_dword v123, off, s[0:3], 0 offset:288
.LBB60_948:
	s_or_b64 exec, exec, s[6:7]
	buffer_load_dword v123, off, s[0:3], 0 offset:296
	buffer_load_dword v124, off, s[0:3], 0 offset:300
	v_cmp_gt_u32_e32 vcc, 37, v0
	s_waitcnt vmcnt(0)
	ds_write_b64 v125, v[123:124]
	s_waitcnt lgkmcnt(0)
	; wave barrier
	s_and_saveexec_b64 s[6:7], vcc
	s_cbranch_execz .LBB60_958
; %bb.949:
	s_and_b64 vcc, exec, s[4:5]
	s_cbranch_vccnz .LBB60_951
; %bb.950:
	buffer_load_dword v123, v126, s[0:3], 0 offen
	buffer_load_dword v124, v126, s[0:3], 0 offen offset:4
	ds_read_b64 v[127:128], v125
	s_waitcnt vmcnt(0) lgkmcnt(0)
	v_mul_f64 v[123:124], v[123:124], v[127:128]
	s_cbranch_execz .LBB60_952
	s_branch .LBB60_953
.LBB60_951:
                                        ; implicit-def: $vgpr123_vgpr124
.LBB60_952:
	ds_read_b64 v[123:124], v125
.LBB60_953:
	v_cmp_ne_u32_e32 vcc, 36, v0
	s_and_saveexec_b64 s[8:9], vcc
	s_cbranch_execz .LBB60_957
; %bb.954:
	s_mov_b32 s10, 0
	v_add_u32_e32 v127, 0x1f8, v172
	v_add3_u32 v128, v172, s10, 8
	s_mov_b64 s[10:11], 0
	v_mov_b32_e32 v129, v0
.LBB60_955:                             ; =>This Inner Loop Header: Depth=1
	buffer_load_dword v130, v128, s[0:3], 0 offen
	buffer_load_dword v131, v128, s[0:3], 0 offen offset:4
	ds_read_b64 v[132:133], v127
	v_add_u32_e32 v129, 1, v129
	v_cmp_lt_u32_e32 vcc, 35, v129
	v_add_u32_e32 v127, 8, v127
	s_or_b64 s[10:11], vcc, s[10:11]
	v_add_u32_e32 v128, 8, v128
	s_waitcnt vmcnt(0) lgkmcnt(0)
	v_fma_f64 v[123:124], v[130:131], v[132:133], v[123:124]
	s_andn2_b64 exec, exec, s[10:11]
	s_cbranch_execnz .LBB60_955
; %bb.956:
	s_or_b64 exec, exec, s[10:11]
.LBB60_957:
	s_or_b64 exec, exec, s[8:9]
	v_mov_b32_e32 v127, 0
	ds_read_b64 v[127:128], v127 offset:296
	s_waitcnt lgkmcnt(0)
	v_mul_f64 v[123:124], v[123:124], v[127:128]
	buffer_store_dword v124, off, s[0:3], 0 offset:300
	buffer_store_dword v123, off, s[0:3], 0 offset:296
.LBB60_958:
	s_or_b64 exec, exec, s[6:7]
	buffer_load_dword v123, off, s[0:3], 0 offset:304
	buffer_load_dword v124, off, s[0:3], 0 offset:308
	v_cmp_gt_u32_e32 vcc, 38, v0
	s_waitcnt vmcnt(0)
	ds_write_b64 v125, v[123:124]
	s_waitcnt lgkmcnt(0)
	; wave barrier
	s_and_saveexec_b64 s[6:7], vcc
	s_cbranch_execz .LBB60_968
; %bb.959:
	s_and_b64 vcc, exec, s[4:5]
	s_cbranch_vccnz .LBB60_961
; %bb.960:
	buffer_load_dword v123, v126, s[0:3], 0 offen
	buffer_load_dword v124, v126, s[0:3], 0 offen offset:4
	ds_read_b64 v[127:128], v125
	s_waitcnt vmcnt(0) lgkmcnt(0)
	v_mul_f64 v[123:124], v[123:124], v[127:128]
	s_cbranch_execz .LBB60_962
	s_branch .LBB60_963
.LBB60_961:
                                        ; implicit-def: $vgpr123_vgpr124
.LBB60_962:
	ds_read_b64 v[123:124], v125
.LBB60_963:
	v_cmp_ne_u32_e32 vcc, 37, v0
	s_and_saveexec_b64 s[8:9], vcc
	s_cbranch_execz .LBB60_967
; %bb.964:
	s_mov_b32 s10, 0
	v_add_u32_e32 v127, 0x1f8, v172
	v_add3_u32 v128, v172, s10, 8
	s_mov_b64 s[10:11], 0
	v_mov_b32_e32 v129, v0
.LBB60_965:                             ; =>This Inner Loop Header: Depth=1
	buffer_load_dword v130, v128, s[0:3], 0 offen
	buffer_load_dword v131, v128, s[0:3], 0 offen offset:4
	ds_read_b64 v[132:133], v127
	v_add_u32_e32 v129, 1, v129
	v_cmp_lt_u32_e32 vcc, 36, v129
	v_add_u32_e32 v127, 8, v127
	s_or_b64 s[10:11], vcc, s[10:11]
	v_add_u32_e32 v128, 8, v128
	s_waitcnt vmcnt(0) lgkmcnt(0)
	v_fma_f64 v[123:124], v[130:131], v[132:133], v[123:124]
	s_andn2_b64 exec, exec, s[10:11]
	s_cbranch_execnz .LBB60_965
; %bb.966:
	s_or_b64 exec, exec, s[10:11]
.LBB60_967:
	s_or_b64 exec, exec, s[8:9]
	v_mov_b32_e32 v127, 0
	ds_read_b64 v[127:128], v127 offset:304
	s_waitcnt lgkmcnt(0)
	v_mul_f64 v[123:124], v[123:124], v[127:128]
	buffer_store_dword v124, off, s[0:3], 0 offset:308
	buffer_store_dword v123, off, s[0:3], 0 offset:304
.LBB60_968:
	s_or_b64 exec, exec, s[6:7]
	buffer_load_dword v123, off, s[0:3], 0 offset:312
	buffer_load_dword v124, off, s[0:3], 0 offset:316
	v_cmp_gt_u32_e32 vcc, 39, v0
	s_waitcnt vmcnt(0)
	ds_write_b64 v125, v[123:124]
	s_waitcnt lgkmcnt(0)
	; wave barrier
	s_and_saveexec_b64 s[6:7], vcc
	s_cbranch_execz .LBB60_978
; %bb.969:
	s_and_b64 vcc, exec, s[4:5]
	s_cbranch_vccnz .LBB60_971
; %bb.970:
	buffer_load_dword v123, v126, s[0:3], 0 offen
	buffer_load_dword v124, v126, s[0:3], 0 offen offset:4
	ds_read_b64 v[127:128], v125
	s_waitcnt vmcnt(0) lgkmcnt(0)
	v_mul_f64 v[123:124], v[123:124], v[127:128]
	s_cbranch_execz .LBB60_972
	s_branch .LBB60_973
.LBB60_971:
                                        ; implicit-def: $vgpr123_vgpr124
.LBB60_972:
	ds_read_b64 v[123:124], v125
.LBB60_973:
	v_cmp_ne_u32_e32 vcc, 38, v0
	s_and_saveexec_b64 s[8:9], vcc
	s_cbranch_execz .LBB60_977
; %bb.974:
	s_mov_b32 s10, 0
	v_add_u32_e32 v127, 0x1f8, v172
	v_add3_u32 v128, v172, s10, 8
	s_mov_b64 s[10:11], 0
	v_mov_b32_e32 v129, v0
.LBB60_975:                             ; =>This Inner Loop Header: Depth=1
	buffer_load_dword v130, v128, s[0:3], 0 offen
	buffer_load_dword v131, v128, s[0:3], 0 offen offset:4
	ds_read_b64 v[132:133], v127
	v_add_u32_e32 v129, 1, v129
	v_cmp_lt_u32_e32 vcc, 37, v129
	v_add_u32_e32 v127, 8, v127
	s_or_b64 s[10:11], vcc, s[10:11]
	v_add_u32_e32 v128, 8, v128
	s_waitcnt vmcnt(0) lgkmcnt(0)
	v_fma_f64 v[123:124], v[130:131], v[132:133], v[123:124]
	s_andn2_b64 exec, exec, s[10:11]
	s_cbranch_execnz .LBB60_975
; %bb.976:
	s_or_b64 exec, exec, s[10:11]
.LBB60_977:
	s_or_b64 exec, exec, s[8:9]
	v_mov_b32_e32 v127, 0
	ds_read_b64 v[127:128], v127 offset:312
	s_waitcnt lgkmcnt(0)
	v_mul_f64 v[123:124], v[123:124], v[127:128]
	buffer_store_dword v124, off, s[0:3], 0 offset:316
	buffer_store_dword v123, off, s[0:3], 0 offset:312
.LBB60_978:
	s_or_b64 exec, exec, s[6:7]
	buffer_load_dword v123, off, s[0:3], 0 offset:320
	buffer_load_dword v124, off, s[0:3], 0 offset:324
	v_cmp_gt_u32_e32 vcc, 40, v0
	s_waitcnt vmcnt(0)
	ds_write_b64 v125, v[123:124]
	s_waitcnt lgkmcnt(0)
	; wave barrier
	s_and_saveexec_b64 s[6:7], vcc
	s_cbranch_execz .LBB60_988
; %bb.979:
	s_and_b64 vcc, exec, s[4:5]
	s_cbranch_vccnz .LBB60_981
; %bb.980:
	buffer_load_dword v123, v126, s[0:3], 0 offen
	buffer_load_dword v124, v126, s[0:3], 0 offen offset:4
	ds_read_b64 v[127:128], v125
	s_waitcnt vmcnt(0) lgkmcnt(0)
	v_mul_f64 v[123:124], v[123:124], v[127:128]
	s_cbranch_execz .LBB60_982
	s_branch .LBB60_983
.LBB60_981:
                                        ; implicit-def: $vgpr123_vgpr124
.LBB60_982:
	ds_read_b64 v[123:124], v125
.LBB60_983:
	v_cmp_ne_u32_e32 vcc, 39, v0
	s_and_saveexec_b64 s[8:9], vcc
	s_cbranch_execz .LBB60_987
; %bb.984:
	s_mov_b32 s10, 0
	v_add_u32_e32 v127, 0x1f8, v172
	v_add3_u32 v128, v172, s10, 8
	s_mov_b64 s[10:11], 0
	v_mov_b32_e32 v129, v0
.LBB60_985:                             ; =>This Inner Loop Header: Depth=1
	buffer_load_dword v130, v128, s[0:3], 0 offen
	buffer_load_dword v131, v128, s[0:3], 0 offen offset:4
	ds_read_b64 v[132:133], v127
	v_add_u32_e32 v129, 1, v129
	v_cmp_lt_u32_e32 vcc, 38, v129
	v_add_u32_e32 v127, 8, v127
	s_or_b64 s[10:11], vcc, s[10:11]
	v_add_u32_e32 v128, 8, v128
	s_waitcnt vmcnt(0) lgkmcnt(0)
	v_fma_f64 v[123:124], v[130:131], v[132:133], v[123:124]
	s_andn2_b64 exec, exec, s[10:11]
	s_cbranch_execnz .LBB60_985
; %bb.986:
	s_or_b64 exec, exec, s[10:11]
.LBB60_987:
	s_or_b64 exec, exec, s[8:9]
	v_mov_b32_e32 v127, 0
	ds_read_b64 v[127:128], v127 offset:320
	s_waitcnt lgkmcnt(0)
	v_mul_f64 v[123:124], v[123:124], v[127:128]
	buffer_store_dword v124, off, s[0:3], 0 offset:324
	buffer_store_dword v123, off, s[0:3], 0 offset:320
.LBB60_988:
	s_or_b64 exec, exec, s[6:7]
	buffer_load_dword v123, off, s[0:3], 0 offset:328
	buffer_load_dword v124, off, s[0:3], 0 offset:332
	v_cmp_gt_u32_e32 vcc, 41, v0
	s_waitcnt vmcnt(0)
	ds_write_b64 v125, v[123:124]
	s_waitcnt lgkmcnt(0)
	; wave barrier
	s_and_saveexec_b64 s[6:7], vcc
	s_cbranch_execz .LBB60_998
; %bb.989:
	s_and_b64 vcc, exec, s[4:5]
	s_cbranch_vccnz .LBB60_991
; %bb.990:
	buffer_load_dword v123, v126, s[0:3], 0 offen
	buffer_load_dword v124, v126, s[0:3], 0 offen offset:4
	ds_read_b64 v[127:128], v125
	s_waitcnt vmcnt(0) lgkmcnt(0)
	v_mul_f64 v[123:124], v[123:124], v[127:128]
	s_cbranch_execz .LBB60_992
	s_branch .LBB60_993
.LBB60_991:
                                        ; implicit-def: $vgpr123_vgpr124
.LBB60_992:
	ds_read_b64 v[123:124], v125
.LBB60_993:
	v_cmp_ne_u32_e32 vcc, 40, v0
	s_and_saveexec_b64 s[8:9], vcc
	s_cbranch_execz .LBB60_997
; %bb.994:
	s_mov_b32 s10, 0
	v_add_u32_e32 v127, 0x1f8, v172
	v_add3_u32 v128, v172, s10, 8
	s_mov_b64 s[10:11], 0
	v_mov_b32_e32 v129, v0
.LBB60_995:                             ; =>This Inner Loop Header: Depth=1
	buffer_load_dword v130, v128, s[0:3], 0 offen
	buffer_load_dword v131, v128, s[0:3], 0 offen offset:4
	ds_read_b64 v[132:133], v127
	v_add_u32_e32 v129, 1, v129
	v_cmp_lt_u32_e32 vcc, 39, v129
	v_add_u32_e32 v127, 8, v127
	s_or_b64 s[10:11], vcc, s[10:11]
	v_add_u32_e32 v128, 8, v128
	s_waitcnt vmcnt(0) lgkmcnt(0)
	v_fma_f64 v[123:124], v[130:131], v[132:133], v[123:124]
	s_andn2_b64 exec, exec, s[10:11]
	s_cbranch_execnz .LBB60_995
; %bb.996:
	s_or_b64 exec, exec, s[10:11]
.LBB60_997:
	s_or_b64 exec, exec, s[8:9]
	v_mov_b32_e32 v127, 0
	ds_read_b64 v[127:128], v127 offset:328
	s_waitcnt lgkmcnt(0)
	v_mul_f64 v[123:124], v[123:124], v[127:128]
	buffer_store_dword v124, off, s[0:3], 0 offset:332
	buffer_store_dword v123, off, s[0:3], 0 offset:328
.LBB60_998:
	s_or_b64 exec, exec, s[6:7]
	buffer_load_dword v123, off, s[0:3], 0 offset:336
	buffer_load_dword v124, off, s[0:3], 0 offset:340
	v_cmp_gt_u32_e32 vcc, 42, v0
	s_waitcnt vmcnt(0)
	ds_write_b64 v125, v[123:124]
	s_waitcnt lgkmcnt(0)
	; wave barrier
	s_and_saveexec_b64 s[6:7], vcc
	s_cbranch_execz .LBB60_1008
; %bb.999:
	s_and_b64 vcc, exec, s[4:5]
	s_cbranch_vccnz .LBB60_1001
; %bb.1000:
	buffer_load_dword v123, v126, s[0:3], 0 offen
	buffer_load_dword v124, v126, s[0:3], 0 offen offset:4
	ds_read_b64 v[127:128], v125
	s_waitcnt vmcnt(0) lgkmcnt(0)
	v_mul_f64 v[123:124], v[123:124], v[127:128]
	s_cbranch_execz .LBB60_1002
	s_branch .LBB60_1003
.LBB60_1001:
                                        ; implicit-def: $vgpr123_vgpr124
.LBB60_1002:
	ds_read_b64 v[123:124], v125
.LBB60_1003:
	v_cmp_ne_u32_e32 vcc, 41, v0
	s_and_saveexec_b64 s[8:9], vcc
	s_cbranch_execz .LBB60_1007
; %bb.1004:
	s_mov_b32 s10, 0
	v_add_u32_e32 v127, 0x1f8, v172
	v_add3_u32 v128, v172, s10, 8
	s_mov_b64 s[10:11], 0
	v_mov_b32_e32 v129, v0
.LBB60_1005:                            ; =>This Inner Loop Header: Depth=1
	buffer_load_dword v130, v128, s[0:3], 0 offen
	buffer_load_dword v131, v128, s[0:3], 0 offen offset:4
	ds_read_b64 v[132:133], v127
	v_add_u32_e32 v129, 1, v129
	v_cmp_lt_u32_e32 vcc, 40, v129
	v_add_u32_e32 v127, 8, v127
	s_or_b64 s[10:11], vcc, s[10:11]
	v_add_u32_e32 v128, 8, v128
	s_waitcnt vmcnt(0) lgkmcnt(0)
	v_fma_f64 v[123:124], v[130:131], v[132:133], v[123:124]
	s_andn2_b64 exec, exec, s[10:11]
	s_cbranch_execnz .LBB60_1005
; %bb.1006:
	s_or_b64 exec, exec, s[10:11]
.LBB60_1007:
	s_or_b64 exec, exec, s[8:9]
	v_mov_b32_e32 v127, 0
	ds_read_b64 v[127:128], v127 offset:336
	s_waitcnt lgkmcnt(0)
	v_mul_f64 v[123:124], v[123:124], v[127:128]
	buffer_store_dword v124, off, s[0:3], 0 offset:340
	buffer_store_dword v123, off, s[0:3], 0 offset:336
.LBB60_1008:
	s_or_b64 exec, exec, s[6:7]
	buffer_load_dword v123, off, s[0:3], 0 offset:344
	buffer_load_dword v124, off, s[0:3], 0 offset:348
	v_cmp_gt_u32_e32 vcc, 43, v0
	s_waitcnt vmcnt(0)
	ds_write_b64 v125, v[123:124]
	s_waitcnt lgkmcnt(0)
	; wave barrier
	s_and_saveexec_b64 s[6:7], vcc
	s_cbranch_execz .LBB60_1018
; %bb.1009:
	s_and_b64 vcc, exec, s[4:5]
	s_cbranch_vccnz .LBB60_1011
; %bb.1010:
	buffer_load_dword v123, v126, s[0:3], 0 offen
	buffer_load_dword v124, v126, s[0:3], 0 offen offset:4
	ds_read_b64 v[127:128], v125
	s_waitcnt vmcnt(0) lgkmcnt(0)
	v_mul_f64 v[123:124], v[123:124], v[127:128]
	s_cbranch_execz .LBB60_1012
	s_branch .LBB60_1013
.LBB60_1011:
                                        ; implicit-def: $vgpr123_vgpr124
.LBB60_1012:
	ds_read_b64 v[123:124], v125
.LBB60_1013:
	v_cmp_ne_u32_e32 vcc, 42, v0
	s_and_saveexec_b64 s[8:9], vcc
	s_cbranch_execz .LBB60_1017
; %bb.1014:
	s_mov_b32 s10, 0
	v_add_u32_e32 v127, 0x1f8, v172
	v_add3_u32 v128, v172, s10, 8
	s_mov_b64 s[10:11], 0
	v_mov_b32_e32 v129, v0
.LBB60_1015:                            ; =>This Inner Loop Header: Depth=1
	buffer_load_dword v130, v128, s[0:3], 0 offen
	buffer_load_dword v131, v128, s[0:3], 0 offen offset:4
	ds_read_b64 v[132:133], v127
	v_add_u32_e32 v129, 1, v129
	v_cmp_lt_u32_e32 vcc, 41, v129
	v_add_u32_e32 v127, 8, v127
	s_or_b64 s[10:11], vcc, s[10:11]
	v_add_u32_e32 v128, 8, v128
	s_waitcnt vmcnt(0) lgkmcnt(0)
	v_fma_f64 v[123:124], v[130:131], v[132:133], v[123:124]
	s_andn2_b64 exec, exec, s[10:11]
	s_cbranch_execnz .LBB60_1015
; %bb.1016:
	s_or_b64 exec, exec, s[10:11]
.LBB60_1017:
	s_or_b64 exec, exec, s[8:9]
	v_mov_b32_e32 v127, 0
	ds_read_b64 v[127:128], v127 offset:344
	s_waitcnt lgkmcnt(0)
	v_mul_f64 v[123:124], v[123:124], v[127:128]
	buffer_store_dword v124, off, s[0:3], 0 offset:348
	buffer_store_dword v123, off, s[0:3], 0 offset:344
.LBB60_1018:
	;; [unrolled: 59-line block ×17, first 2 shown]
	s_or_b64 exec, exec, s[6:7]
	buffer_load_dword v123, off, s[0:3], 0 offset:472
	buffer_load_dword v124, off, s[0:3], 0 offset:476
	v_cmp_gt_u32_e64 s[6:7], 59, v0
	s_waitcnt vmcnt(0)
	ds_write_b64 v125, v[123:124]
	s_waitcnt lgkmcnt(0)
	; wave barrier
	s_and_saveexec_b64 s[8:9], s[6:7]
	s_cbranch_execz .LBB60_1178
; %bb.1169:
	s_and_b64 vcc, exec, s[4:5]
	s_cbranch_vccnz .LBB60_1171
; %bb.1170:
	buffer_load_dword v123, v126, s[0:3], 0 offen
	buffer_load_dword v124, v126, s[0:3], 0 offen offset:4
	ds_read_b64 v[127:128], v125
	s_waitcnt vmcnt(0) lgkmcnt(0)
	v_mul_f64 v[123:124], v[123:124], v[127:128]
	s_cbranch_execz .LBB60_1172
	s_branch .LBB60_1173
.LBB60_1171:
                                        ; implicit-def: $vgpr123_vgpr124
.LBB60_1172:
	ds_read_b64 v[123:124], v125
.LBB60_1173:
	v_cmp_ne_u32_e32 vcc, 58, v0
	s_and_saveexec_b64 s[10:11], vcc
	s_cbranch_execz .LBB60_1177
; %bb.1174:
	s_mov_b32 s12, 0
	v_add_u32_e32 v127, 0x1f8, v172
	v_add3_u32 v128, v172, s12, 8
	s_mov_b64 s[12:13], 0
	v_mov_b32_e32 v129, v0
.LBB60_1175:                            ; =>This Inner Loop Header: Depth=1
	buffer_load_dword v130, v128, s[0:3], 0 offen
	buffer_load_dword v131, v128, s[0:3], 0 offen offset:4
	ds_read_b64 v[132:133], v127
	v_add_u32_e32 v129, 1, v129
	v_cmp_lt_u32_e32 vcc, 57, v129
	v_add_u32_e32 v127, 8, v127
	s_or_b64 s[12:13], vcc, s[12:13]
	v_add_u32_e32 v128, 8, v128
	s_waitcnt vmcnt(0) lgkmcnt(0)
	v_fma_f64 v[123:124], v[130:131], v[132:133], v[123:124]
	s_andn2_b64 exec, exec, s[12:13]
	s_cbranch_execnz .LBB60_1175
; %bb.1176:
	s_or_b64 exec, exec, s[12:13]
.LBB60_1177:
	s_or_b64 exec, exec, s[10:11]
	v_mov_b32_e32 v127, 0
	ds_read_b64 v[127:128], v127 offset:472
	s_waitcnt lgkmcnt(0)
	v_mul_f64 v[123:124], v[123:124], v[127:128]
	buffer_store_dword v124, off, s[0:3], 0 offset:476
	buffer_store_dword v123, off, s[0:3], 0 offset:472
.LBB60_1178:
	s_or_b64 exec, exec, s[8:9]
	buffer_load_dword v123, off, s[0:3], 0 offset:480
	buffer_load_dword v124, off, s[0:3], 0 offset:484
	v_cmp_ne_u32_e32 vcc, 60, v0
	s_waitcnt vmcnt(0)
	ds_write_b64 v125, v[123:124]
	s_waitcnt lgkmcnt(0)
	; wave barrier
	s_and_saveexec_b64 s[8:9], vcc
	s_cbranch_execz .LBB60_1188
; %bb.1179:
	s_and_b64 vcc, exec, s[4:5]
	s_cbranch_vccnz .LBB60_1181
; %bb.1180:
	buffer_load_dword v123, v126, s[0:3], 0 offen
	buffer_load_dword v124, v126, s[0:3], 0 offen offset:4
	ds_read_b64 v[126:127], v125
	s_waitcnt vmcnt(0) lgkmcnt(0)
	v_mul_f64 v[123:124], v[123:124], v[126:127]
	s_cbranch_execz .LBB60_1182
	s_branch .LBB60_1183
.LBB60_1181:
                                        ; implicit-def: $vgpr123_vgpr124
.LBB60_1182:
	ds_read_b64 v[123:124], v125
.LBB60_1183:
	s_and_saveexec_b64 s[4:5], s[6:7]
	s_cbranch_execz .LBB60_1187
; %bb.1184:
	s_mov_b32 s6, 0
	v_add_u32_e32 v125, 0x1f8, v172
	v_add3_u32 v126, v172, s6, 8
	s_mov_b64 s[6:7], 0
.LBB60_1185:                            ; =>This Inner Loop Header: Depth=1
	buffer_load_dword v127, v126, s[0:3], 0 offen
	buffer_load_dword v128, v126, s[0:3], 0 offen offset:4
	ds_read_b64 v[129:130], v125
	v_add_u32_e32 v0, 1, v0
	v_cmp_lt_u32_e32 vcc, 58, v0
	v_add_u32_e32 v125, 8, v125
	s_or_b64 s[6:7], vcc, s[6:7]
	v_add_u32_e32 v126, 8, v126
	s_waitcnt vmcnt(0) lgkmcnt(0)
	v_fma_f64 v[123:124], v[127:128], v[129:130], v[123:124]
	s_andn2_b64 exec, exec, s[6:7]
	s_cbranch_execnz .LBB60_1185
; %bb.1186:
	s_or_b64 exec, exec, s[6:7]
.LBB60_1187:
	s_or_b64 exec, exec, s[4:5]
	v_mov_b32_e32 v0, 0
	ds_read_b64 v[125:126], v0 offset:480
	s_waitcnt lgkmcnt(0)
	v_mul_f64 v[123:124], v[123:124], v[125:126]
	buffer_store_dword v124, off, s[0:3], 0 offset:484
	buffer_store_dword v123, off, s[0:3], 0 offset:480
.LBB60_1188:
	s_or_b64 exec, exec, s[8:9]
.LBB60_1189:
	buffer_load_dword v123, off, s[0:3], 0
	buffer_load_dword v124, off, s[0:3], 0 offset:4
	buffer_load_dword v125, off, s[0:3], 0 offset:8
	;; [unrolled: 1-line block ×121, first 2 shown]
	s_waitcnt vmcnt(62)
	global_store_dwordx2 v[1:2], v[123:124], off
	global_store_dwordx2 v[3:4], v[125:126], off
	;; [unrolled: 1-line block ×30, first 2 shown]
	s_waitcnt vmcnt(62)
	global_store_dwordx2 v[61:62], v[183:184], off
	global_store_dwordx2 v[63:64], v[185:186], off
	;; [unrolled: 1-line block ×15, first 2 shown]
	s_waitcnt vmcnt(62)
	global_store_dwordx2 v[91:92], v[213:214], off
	global_store_dwordx2 v[93:94], v[215:216], off
	;; [unrolled: 1-line block ×7, first 2 shown]
	s_waitcnt vmcnt(62)
	global_store_dwordx2 v[105:106], v[227:228], off
	global_store_dwordx2 v[107:108], v[229:230], off
	;; [unrolled: 1-line block ×4, first 2 shown]
	s_waitcnt vmcnt(62)
	global_store_dwordx2 v[113:114], v[235:236], off
	global_store_dwordx2 v[115:116], v[237:238], off
	s_waitcnt vmcnt(62)
	global_store_dwordx2 v[117:118], v[239:240], off
	s_waitcnt vmcnt(61)
	;; [unrolled: 2-line block ×3, first 2 shown]
	global_store_dwordx2 v[121:122], v[243:244], off
.LBB60_1190:
	s_endpgm
	.section	.rodata,"a",@progbits
	.p2align	6, 0x0
	.amdhsa_kernel _ZN9rocsolver6v33100L18trti2_kernel_smallILi61EdPdEEv13rocblas_fill_17rocblas_diagonal_T1_iil
		.amdhsa_group_segment_fixed_size 984
		.amdhsa_private_segment_fixed_size 496
		.amdhsa_kernarg_size 32
		.amdhsa_user_sgpr_count 6
		.amdhsa_user_sgpr_private_segment_buffer 1
		.amdhsa_user_sgpr_dispatch_ptr 0
		.amdhsa_user_sgpr_queue_ptr 0
		.amdhsa_user_sgpr_kernarg_segment_ptr 1
		.amdhsa_user_sgpr_dispatch_id 0
		.amdhsa_user_sgpr_flat_scratch_init 0
		.amdhsa_user_sgpr_private_segment_size 0
		.amdhsa_uses_dynamic_stack 0
		.amdhsa_system_sgpr_private_segment_wavefront_offset 1
		.amdhsa_system_sgpr_workgroup_id_x 1
		.amdhsa_system_sgpr_workgroup_id_y 0
		.amdhsa_system_sgpr_workgroup_id_z 0
		.amdhsa_system_sgpr_workgroup_info 0
		.amdhsa_system_vgpr_workitem_id 0
		.amdhsa_next_free_vgpr 245
		.amdhsa_next_free_sgpr 74
		.amdhsa_reserve_vcc 1
		.amdhsa_reserve_flat_scratch 0
		.amdhsa_float_round_mode_32 0
		.amdhsa_float_round_mode_16_64 0
		.amdhsa_float_denorm_mode_32 3
		.amdhsa_float_denorm_mode_16_64 3
		.amdhsa_dx10_clamp 1
		.amdhsa_ieee_mode 1
		.amdhsa_fp16_overflow 0
		.amdhsa_exception_fp_ieee_invalid_op 0
		.amdhsa_exception_fp_denorm_src 0
		.amdhsa_exception_fp_ieee_div_zero 0
		.amdhsa_exception_fp_ieee_overflow 0
		.amdhsa_exception_fp_ieee_underflow 0
		.amdhsa_exception_fp_ieee_inexact 0
		.amdhsa_exception_int_div_zero 0
	.end_amdhsa_kernel
	.section	.text._ZN9rocsolver6v33100L18trti2_kernel_smallILi61EdPdEEv13rocblas_fill_17rocblas_diagonal_T1_iil,"axG",@progbits,_ZN9rocsolver6v33100L18trti2_kernel_smallILi61EdPdEEv13rocblas_fill_17rocblas_diagonal_T1_iil,comdat
.Lfunc_end60:
	.size	_ZN9rocsolver6v33100L18trti2_kernel_smallILi61EdPdEEv13rocblas_fill_17rocblas_diagonal_T1_iil, .Lfunc_end60-_ZN9rocsolver6v33100L18trti2_kernel_smallILi61EdPdEEv13rocblas_fill_17rocblas_diagonal_T1_iil
                                        ; -- End function
	.set _ZN9rocsolver6v33100L18trti2_kernel_smallILi61EdPdEEv13rocblas_fill_17rocblas_diagonal_T1_iil.num_vgpr, 245
	.set _ZN9rocsolver6v33100L18trti2_kernel_smallILi61EdPdEEv13rocblas_fill_17rocblas_diagonal_T1_iil.num_agpr, 0
	.set _ZN9rocsolver6v33100L18trti2_kernel_smallILi61EdPdEEv13rocblas_fill_17rocblas_diagonal_T1_iil.numbered_sgpr, 74
	.set _ZN9rocsolver6v33100L18trti2_kernel_smallILi61EdPdEEv13rocblas_fill_17rocblas_diagonal_T1_iil.num_named_barrier, 0
	.set _ZN9rocsolver6v33100L18trti2_kernel_smallILi61EdPdEEv13rocblas_fill_17rocblas_diagonal_T1_iil.private_seg_size, 496
	.set _ZN9rocsolver6v33100L18trti2_kernel_smallILi61EdPdEEv13rocblas_fill_17rocblas_diagonal_T1_iil.uses_vcc, 1
	.set _ZN9rocsolver6v33100L18trti2_kernel_smallILi61EdPdEEv13rocblas_fill_17rocblas_diagonal_T1_iil.uses_flat_scratch, 0
	.set _ZN9rocsolver6v33100L18trti2_kernel_smallILi61EdPdEEv13rocblas_fill_17rocblas_diagonal_T1_iil.has_dyn_sized_stack, 0
	.set _ZN9rocsolver6v33100L18trti2_kernel_smallILi61EdPdEEv13rocblas_fill_17rocblas_diagonal_T1_iil.has_recursion, 0
	.set _ZN9rocsolver6v33100L18trti2_kernel_smallILi61EdPdEEv13rocblas_fill_17rocblas_diagonal_T1_iil.has_indirect_call, 0
	.section	.AMDGPU.csdata,"",@progbits
; Kernel info:
; codeLenInByte = 36016
; TotalNumSgprs: 78
; NumVgprs: 245
; ScratchSize: 496
; MemoryBound: 0
; FloatMode: 240
; IeeeMode: 1
; LDSByteSize: 984 bytes/workgroup (compile time only)
; SGPRBlocks: 9
; VGPRBlocks: 61
; NumSGPRsForWavesPerEU: 78
; NumVGPRsForWavesPerEU: 245
; Occupancy: 1
; WaveLimiterHint : 0
; COMPUTE_PGM_RSRC2:SCRATCH_EN: 1
; COMPUTE_PGM_RSRC2:USER_SGPR: 6
; COMPUTE_PGM_RSRC2:TRAP_HANDLER: 0
; COMPUTE_PGM_RSRC2:TGID_X_EN: 1
; COMPUTE_PGM_RSRC2:TGID_Y_EN: 0
; COMPUTE_PGM_RSRC2:TGID_Z_EN: 0
; COMPUTE_PGM_RSRC2:TIDIG_COMP_CNT: 0
	.section	.text._ZN9rocsolver6v33100L18trti2_kernel_smallILi62EdPdEEv13rocblas_fill_17rocblas_diagonal_T1_iil,"axG",@progbits,_ZN9rocsolver6v33100L18trti2_kernel_smallILi62EdPdEEv13rocblas_fill_17rocblas_diagonal_T1_iil,comdat
	.globl	_ZN9rocsolver6v33100L18trti2_kernel_smallILi62EdPdEEv13rocblas_fill_17rocblas_diagonal_T1_iil ; -- Begin function _ZN9rocsolver6v33100L18trti2_kernel_smallILi62EdPdEEv13rocblas_fill_17rocblas_diagonal_T1_iil
	.p2align	8
	.type	_ZN9rocsolver6v33100L18trti2_kernel_smallILi62EdPdEEv13rocblas_fill_17rocblas_diagonal_T1_iil,@function
_ZN9rocsolver6v33100L18trti2_kernel_smallILi62EdPdEEv13rocblas_fill_17rocblas_diagonal_T1_iil: ; @_ZN9rocsolver6v33100L18trti2_kernel_smallILi62EdPdEEv13rocblas_fill_17rocblas_diagonal_T1_iil
; %bb.0:
	s_add_u32 s0, s0, s7
	s_addc_u32 s1, s1, 0
	v_cmp_gt_u32_e32 vcc, 62, v0
	s_and_saveexec_b64 s[8:9], vcc
	s_cbranch_execz .LBB61_1210
; %bb.1:
	s_load_dwordx8 s[8:15], s[4:5], 0x0
	s_ashr_i32 s7, s6, 31
	v_lshlrev_b32_e32 v139, 3, v0
	s_waitcnt lgkmcnt(0)
	s_ashr_i32 s5, s12, 31
	s_mov_b32 s4, s12
	s_mul_hi_u32 s12, s14, s6
	s_mul_i32 s7, s14, s7
	s_add_i32 s7, s12, s7
	s_mul_i32 s12, s15, s6
	s_add_i32 s7, s7, s12
	s_mul_i32 s6, s14, s6
	s_lshl_b64 s[6:7], s[6:7], 3
	s_add_u32 s6, s10, s6
	s_addc_u32 s7, s11, s7
	s_lshl_b64 s[4:5], s[4:5], 3
	s_add_u32 s4, s6, s4
	s_addc_u32 s5, s7, s5
	v_mov_b32_e32 v2, s5
	v_add_co_u32_e32 v1, vcc, s4, v139
	s_ashr_i32 s7, s13, 31
	s_mov_b32 s6, s13
	v_addc_co_u32_e32 v2, vcc, 0, v2, vcc
	s_lshl_b64 s[6:7], s[6:7], 3
	v_add_co_u32_e32 v3, vcc, s6, v1
	s_add_i32 s6, s13, s13
	v_add_u32_e32 v7, s6, v0
	v_ashrrev_i32_e32 v8, 31, v7
	v_mov_b32_e32 v4, s7
	v_lshlrev_b64 v[5:6], 3, v[7:8]
	v_addc_co_u32_e32 v4, vcc, v2, v4, vcc
	v_add_u32_e32 v9, s13, v7
	v_mov_b32_e32 v8, s5
	v_add_co_u32_e32 v5, vcc, s4, v5
	v_ashrrev_i32_e32 v10, 31, v9
	v_addc_co_u32_e32 v6, vcc, v8, v6, vcc
	v_lshlrev_b64 v[7:8], 3, v[9:10]
	v_add_u32_e32 v11, s13, v9
	v_mov_b32_e32 v10, s5
	v_add_co_u32_e32 v7, vcc, s4, v7
	v_ashrrev_i32_e32 v12, 31, v11
	v_addc_co_u32_e32 v8, vcc, v10, v8, vcc
	v_lshlrev_b64 v[9:10], 3, v[11:12]
	;; [unrolled: 6-line block ×18, first 2 shown]
	v_mov_b32_e32 v44, s5
	v_add_co_u32_e32 v41, vcc, s4, v41
	global_load_dwordx2 v[45:46], v139, s[4:5]
	global_load_dwordx2 v[53:54], v[3:4], off
	global_load_dwordx2 v[51:52], v[5:6], off
	;; [unrolled: 1-line block ×16, first 2 shown]
	v_addc_co_u32_e32 v42, vcc, v44, v42, vcc
	global_load_dwordx2 v[83:84], v[35:36], off
	global_load_dwordx2 v[81:82], v[37:38], off
	;; [unrolled: 1-line block ×4, first 2 shown]
	v_add_u32_e32 v85, s13, v43
	v_add_u32_e32 v87, s13, v85
	v_add_u32_e32 v89, s13, v87
	v_add_u32_e32 v91, s13, v89
	v_add_u32_e32 v93, s13, v91
	v_add_u32_e32 v95, s13, v93
	v_add_u32_e32 v97, s13, v95
	v_add_u32_e32 v99, s13, v97
	v_add_u32_e32 v101, s13, v99
	v_add_u32_e32 v103, s13, v101
	v_add_u32_e32 v105, s13, v103
	v_add_u32_e32 v107, s13, v105
	v_add_u32_e32 v109, s13, v107
	v_add_u32_e32 v111, s13, v109
	v_add_u32_e32 v113, s13, v111
	v_add_u32_e32 v115, s13, v113
	v_add_u32_e32 v117, s13, v115
	v_add_u32_e32 v119, s13, v117
	v_add_u32_e32 v121, s13, v119
	v_add_u32_e32 v123, s13, v121
	v_add_u32_e32 v127, s13, v123
	v_add_u32_e32 v129, s13, v127
	v_add_u32_e32 v133, s13, v129
	v_add_u32_e32 v135, s13, v133
	v_add_u32_e32 v137, s13, v135
	v_add_u32_e32 v140, s13, v137
	v_add_u32_e32 v142, s13, v140
	v_add_u32_e32 v144, s13, v142
	v_add_u32_e32 v146, s13, v144
	v_add_u32_e32 v148, s13, v146
	v_add_u32_e32 v150, s13, v148
	v_add_u32_e32 v152, s13, v150
	v_add_u32_e32 v154, s13, v152
	v_add_u32_e32 v156, s13, v154
	v_add_u32_e32 v158, s13, v156
	v_add_u32_e32 v160, s13, v158
	v_add_u32_e32 v162, s13, v160
	v_add_u32_e32 v164, s13, v162
	v_add_u32_e32 v166, s13, v164
	v_add_u32_e32 v168, s13, v166
	v_add_u32_e32 v43, s13, v168
	v_ashrrev_i32_e32 v44, 31, v43
	v_lshlrev_b64 v[43:44], 3, v[43:44]
	v_mov_b32_e32 v86, s5
	v_add_co_u32_e32 v43, vcc, s4, v43
	v_addc_co_u32_e32 v44, vcc, v86, v44, vcc
	v_ashrrev_i32_e32 v86, 31, v85
	global_load_dwordx2 v[131:132], v[43:44], off
	s_waitcnt vmcnt(21)
	buffer_store_dword v46, off, s[0:3], 0 offset:4
	buffer_store_dword v45, off, s[0:3], 0
	s_waitcnt vmcnt(22)
	buffer_store_dword v54, off, s[0:3], 0 offset:12
	buffer_store_dword v53, off, s[0:3], 0 offset:8
	s_waitcnt vmcnt(23)
	buffer_store_dword v52, off, s[0:3], 0 offset:20
	buffer_store_dword v51, off, s[0:3], 0 offset:16
	;; [unrolled: 3-line block ×19, first 2 shown]
	s_waitcnt vmcnt(41)
	buffer_store_dword v126, off, s[0:3], 0 offset:164
	v_lshlrev_b64 v[45:46], 3, v[85:86]
	v_mov_b32_e32 v47, s5
	v_add_co_u32_e32 v45, vcc, s4, v45
	v_ashrrev_i32_e32 v88, 31, v87
	v_addc_co_u32_e32 v46, vcc, v47, v46, vcc
	v_lshlrev_b64 v[47:48], 3, v[87:88]
	v_mov_b32_e32 v49, s5
	v_add_co_u32_e32 v47, vcc, s4, v47
	v_ashrrev_i32_e32 v90, 31, v89
	v_addc_co_u32_e32 v48, vcc, v49, v48, vcc
	;; [unrolled: 5-line block ×38, first 2 shown]
	v_lshlrev_b64 v[121:122], 3, v[166:167]
	v_mov_b32_e32 v123, s5
	v_add_co_u32_e32 v121, vcc, s4, v121
	global_load_dwordx2 v[170:171], v[45:46], off
	global_load_dwordx2 v[172:173], v[47:48], off
	global_load_dwordx2 v[174:175], v[49:50], off
	global_load_dwordx2 v[176:177], v[51:52], off
	global_load_dwordx2 v[178:179], v[53:54], off
	global_load_dwordx2 v[180:181], v[55:56], off
	global_load_dwordx2 v[182:183], v[57:58], off
	global_load_dwordx2 v[184:185], v[59:60], off
	global_load_dwordx2 v[186:187], v[61:62], off
	global_load_dwordx2 v[188:189], v[63:64], off
	global_load_dwordx2 v[190:191], v[65:66], off
	global_load_dwordx2 v[192:193], v[67:68], off
	global_load_dwordx2 v[194:195], v[69:70], off
	global_load_dwordx2 v[196:197], v[71:72], off
	global_load_dwordx2 v[198:199], v[73:74], off
	global_load_dwordx2 v[200:201], v[75:76], off
	global_load_dwordx2 v[202:203], v[77:78], off
	global_load_dwordx2 v[204:205], v[79:80], off
	global_load_dwordx2 v[206:207], v[81:82], off
	global_load_dwordx2 v[208:209], v[83:84], off
	global_load_dwordx2 v[126:127], v[85:86], off
	global_load_dwordx2 v[128:129], v[87:88], off
	global_load_dwordx2 v[133:134], v[89:90], off
	global_load_dwordx2 v[135:136], v[91:92], off
	global_load_dwordx2 v[137:138], v[93:94], off
	global_load_dwordx2 v[140:141], v[95:96], off
	global_load_dwordx2 v[142:143], v[97:98], off
	global_load_dwordx2 v[144:145], v[99:100], off
	global_load_dwordx2 v[146:147], v[101:102], off
	global_load_dwordx2 v[148:149], v[103:104], off
	global_load_dwordx2 v[150:151], v[105:106], off
	global_load_dwordx2 v[152:153], v[107:108], off
	global_load_dwordx2 v[154:155], v[109:110], off
	global_load_dwordx2 v[156:157], v[111:112], off
	global_load_dwordx2 v[158:159], v[113:114], off
	global_load_dwordx2 v[160:161], v[115:116], off
	v_addc_co_u32_e32 v122, vcc, v123, v122, vcc
	global_load_dwordx2 v[162:163], v[117:118], off
	global_load_dwordx2 v[164:165], v[119:120], off
	;; [unrolled: 1-line block ×3, first 2 shown]
	v_ashrrev_i32_e32 v169, 31, v168
	v_lshlrev_b64 v[123:124], 3, v[168:169]
	v_mov_b32_e32 v130, s5
	v_add_co_u32_e32 v123, vcc, s4, v123
	v_addc_co_u32_e32 v124, vcc, v130, v124, vcc
	global_load_dwordx2 v[168:169], v[123:124], off
	s_nop 0
	buffer_store_dword v125, off, s[0:3], 0 offset:160
	s_waitcnt vmcnt(40)
	buffer_store_dword v170, off, s[0:3], 0 offset:168
	buffer_store_dword v171, off, s[0:3], 0 offset:172
	s_waitcnt vmcnt(41)
	buffer_store_dword v172, off, s[0:3], 0 offset:176
	;; [unrolled: 3-line block ×24, first 2 shown]
	buffer_store_dword v135, off, s[0:3], 0 offset:352
	buffer_store_dword v137, off, s[0:3], 0 offset:360
	;; [unrolled: 1-line block ×3, first 2 shown]
	s_waitcnt vmcnt(62)
	buffer_store_dword v140, off, s[0:3], 0 offset:368
	buffer_store_dword v141, off, s[0:3], 0 offset:372
	;; [unrolled: 1-line block ×8, first 2 shown]
	s_waitcnt vmcnt(62)
	buffer_store_dword v149, off, s[0:3], 0 offset:404
	buffer_store_dword v148, off, s[0:3], 0 offset:400
	;; [unrolled: 1-line block ×16, first 2 shown]
	s_waitcnt vmcnt(62)
	buffer_store_dword v164, off, s[0:3], 0 offset:464
	buffer_store_dword v165, off, s[0:3], 0 offset:468
	;; [unrolled: 1-line block ×7, first 2 shown]
	v_mov_b32_e32 v125, 0
	s_cmpk_lg_i32 s9, 0x84
	v_mov_b32_e32 v126, 0xbff00000
	s_cselect_b64 s[10:11], -1, 0
	s_cmpk_eq_i32 s9, 0x84
	buffer_store_dword v131, off, s[0:3], 0 offset:488
	s_cbranch_scc1 .LBB61_3
; %bb.2:
	v_mov_b32_e32 v125, 0
	v_lshl_add_u32 v135, v0, 3, v125
	buffer_load_dword v125, v135, s[0:3], 0 offen
	buffer_load_dword v126, v135, s[0:3], 0 offen offset:4
	s_waitcnt vmcnt(0)
	v_div_scale_f64 v[127:128], s[4:5], v[125:126], v[125:126], 1.0
	v_rcp_f64_e32 v[129:130], v[127:128]
	v_fma_f64 v[131:132], -v[127:128], v[129:130], 1.0
	v_fma_f64 v[129:130], v[129:130], v[131:132], v[129:130]
	v_div_scale_f64 v[131:132], vcc, 1.0, v[125:126], 1.0
	v_fma_f64 v[133:134], -v[127:128], v[129:130], 1.0
	v_fma_f64 v[129:130], v[129:130], v[133:134], v[129:130]
	v_mul_f64 v[133:134], v[131:132], v[129:130]
	v_fma_f64 v[127:128], -v[127:128], v[133:134], v[131:132]
	v_div_fmas_f64 v[127:128], v[127:128], v[129:130], v[133:134]
	v_div_fixup_f64 v[125:126], v[127:128], v[125:126], 1.0
	buffer_store_dword v125, v135, s[0:3], 0 offen
	buffer_store_dword v126, v135, s[0:3], 0 offen offset:4
	v_xor_b32_e32 v126, 0x80000000, v126
.LBB61_3:
	s_cmpk_eq_i32 s8, 0x79
	v_add_u32_e32 v127, 0x1f0, v139
	v_mov_b32_e32 v128, v139
	s_mov_b64 s[4:5], -1
	ds_write_b64 v139, v[125:126]
	s_cbranch_scc1 .LBB61_607
; %bb.4:
	buffer_load_dword v125, off, s[0:3], 0 offset:480
	buffer_load_dword v126, off, s[0:3], 0 offset:484
	s_movk_i32 s12, 0x48
	s_movk_i32 s13, 0x50
	;; [unrolled: 1-line block ×51, first 2 shown]
	v_cmp_eq_u32_e64 s[4:5], 61, v0
	s_waitcnt vmcnt(0)
	ds_write_b64 v127, v[125:126]
	s_waitcnt lgkmcnt(0)
	; wave barrier
	s_and_saveexec_b64 s[6:7], s[4:5]
	s_cbranch_execz .LBB61_10
; %bb.5:
	s_and_b64 vcc, exec, s[10:11]
	s_cbranch_vccz .LBB61_7
; %bb.6:
	buffer_load_dword v125, v128, s[0:3], 0 offen
	buffer_load_dword v126, v128, s[0:3], 0 offen offset:4
	ds_read_b64 v[129:130], v127
	s_waitcnt vmcnt(0) lgkmcnt(0)
	v_mul_f64 v[125:126], v[125:126], v[129:130]
	s_cbranch_execz .LBB61_8
	s_branch .LBB61_9
.LBB61_7:
                                        ; implicit-def: $vgpr125_vgpr126
.LBB61_8:
	ds_read_b64 v[125:126], v127
.LBB61_9:
	v_mov_b32_e32 v129, 0
	ds_read_b64 v[129:130], v129 offset:480
	s_waitcnt lgkmcnt(0)
	v_mul_f64 v[125:126], v[125:126], v[129:130]
	buffer_store_dword v126, off, s[0:3], 0 offset:484
	buffer_store_dword v125, off, s[0:3], 0 offset:480
.LBB61_10:
	s_or_b64 exec, exec, s[6:7]
	buffer_load_dword v125, off, s[0:3], 0 offset:472
	buffer_load_dword v126, off, s[0:3], 0 offset:476
	s_or_b32 s14, 0, 8
	s_mov_b32 s15, 16
	s_mov_b32 s16, 24
	;; [unrolled: 1-line block ×9, first 2 shown]
	v_cmp_lt_u32_e64 s[6:7], 59, v0
	s_waitcnt vmcnt(0)
	ds_write_b64 v127, v[125:126]
	s_waitcnt lgkmcnt(0)
	; wave barrier
	s_and_saveexec_b64 s[8:9], s[6:7]
	s_cbranch_execz .LBB61_16
; %bb.11:
	s_andn2_b64 vcc, exec, s[10:11]
	s_cbranch_vccnz .LBB61_13
; %bb.12:
	buffer_load_dword v125, v128, s[0:3], 0 offen
	buffer_load_dword v126, v128, s[0:3], 0 offen offset:4
	ds_read_b64 v[129:130], v127
	s_waitcnt vmcnt(0) lgkmcnt(0)
	v_mul_f64 v[125:126], v[125:126], v[129:130]
	s_cbranch_execz .LBB61_14
	s_branch .LBB61_15
.LBB61_13:
                                        ; implicit-def: $vgpr125_vgpr126
.LBB61_14:
	ds_read_b64 v[125:126], v127
.LBB61_15:
	buffer_load_dword v133, off, s[0:3], 0 offset:480
	buffer_load_dword v134, off, s[0:3], 0 offset:484
	v_mov_b32_e32 v129, 0
	ds_read2_b64 v[129:132], v129 offset0:59 offset1:122
	s_waitcnt vmcnt(0) lgkmcnt(0)
	v_fma_f64 v[131:132], v[133:134], v[131:132], v[125:126]
	v_cndmask_b32_e64 v126, v126, v132, s[4:5]
	v_cndmask_b32_e64 v125, v125, v131, s[4:5]
	v_mul_f64 v[125:126], v[125:126], v[129:130]
	buffer_store_dword v126, off, s[0:3], 0 offset:476
	buffer_store_dword v125, off, s[0:3], 0 offset:472
.LBB61_16:
	s_or_b64 exec, exec, s[8:9]
	buffer_load_dword v125, off, s[0:3], 0 offset:464
	buffer_load_dword v126, off, s[0:3], 0 offset:468
	v_cmp_lt_u32_e64 s[4:5], 58, v0
	s_waitcnt vmcnt(0)
	ds_write_b64 v127, v[125:126]
	s_waitcnt lgkmcnt(0)
	; wave barrier
	s_and_saveexec_b64 s[8:9], s[4:5]
	s_cbranch_execz .LBB61_26
; %bb.17:
	s_andn2_b64 vcc, exec, s[10:11]
	s_cbranch_vccnz .LBB61_19
; %bb.18:
	buffer_load_dword v125, v128, s[0:3], 0 offen
	buffer_load_dword v126, v128, s[0:3], 0 offen offset:4
	ds_read_b64 v[129:130], v127
	s_waitcnt vmcnt(0) lgkmcnt(0)
	v_mul_f64 v[125:126], v[125:126], v[129:130]
	s_cbranch_execz .LBB61_20
	s_branch .LBB61_21
.LBB61_19:
                                        ; implicit-def: $vgpr125_vgpr126
.LBB61_20:
	ds_read_b64 v[125:126], v127
.LBB61_21:
	s_and_saveexec_b64 s[12:13], s[6:7]
	s_cbranch_execz .LBB61_25
; %bb.22:
	v_subrev_u32_e32 v129, 59, v0
	s_movk_i32 s74, 0x3c8
	s_mov_b64 s[6:7], 0
.LBB61_23:                              ; =>This Inner Loop Header: Depth=1
	v_mov_b32_e32 v131, s73
	buffer_load_dword v130, v131, s[0:3], 0 offen
	s_nop 0
	buffer_load_dword v131, v131, s[0:3], 0 offen offset:4
	v_mov_b32_e32 v132, s74
	ds_read_b64 v[132:133], v132
	v_add_u32_e32 v129, -1, v129
	s_add_i32 s74, s74, 8
	s_add_i32 s73, s73, 8
	v_cmp_eq_u32_e32 vcc, 0, v129
	s_or_b64 s[6:7], vcc, s[6:7]
	s_waitcnt vmcnt(0) lgkmcnt(0)
	v_fma_f64 v[125:126], v[130:131], v[132:133], v[125:126]
	s_andn2_b64 exec, exec, s[6:7]
	s_cbranch_execnz .LBB61_23
; %bb.24:
	s_or_b64 exec, exec, s[6:7]
.LBB61_25:
	s_or_b64 exec, exec, s[12:13]
	v_mov_b32_e32 v129, 0
	ds_read_b64 v[129:130], v129 offset:464
	s_waitcnt lgkmcnt(0)
	v_mul_f64 v[125:126], v[125:126], v[129:130]
	buffer_store_dword v126, off, s[0:3], 0 offset:468
	buffer_store_dword v125, off, s[0:3], 0 offset:464
.LBB61_26:
	s_or_b64 exec, exec, s[8:9]
	buffer_load_dword v125, off, s[0:3], 0 offset:456
	buffer_load_dword v126, off, s[0:3], 0 offset:460
	v_cmp_lt_u32_e64 s[6:7], 57, v0
	s_waitcnt vmcnt(0)
	ds_write_b64 v127, v[125:126]
	s_waitcnt lgkmcnt(0)
	; wave barrier
	s_and_saveexec_b64 s[8:9], s[6:7]
	s_cbranch_execz .LBB61_36
; %bb.27:
	s_andn2_b64 vcc, exec, s[10:11]
	s_cbranch_vccnz .LBB61_29
; %bb.28:
	buffer_load_dword v125, v128, s[0:3], 0 offen
	buffer_load_dword v126, v128, s[0:3], 0 offen offset:4
	ds_read_b64 v[129:130], v127
	s_waitcnt vmcnt(0) lgkmcnt(0)
	v_mul_f64 v[125:126], v[125:126], v[129:130]
	s_cbranch_execz .LBB61_30
	s_branch .LBB61_31
.LBB61_29:
                                        ; implicit-def: $vgpr125_vgpr126
.LBB61_30:
	ds_read_b64 v[125:126], v127
.LBB61_31:
	s_and_saveexec_b64 s[12:13], s[4:5]
	s_cbranch_execz .LBB61_35
; %bb.32:
	v_subrev_u32_e32 v129, 58, v0
	s_movk_i32 s73, 0x3c0
	s_mov_b64 s[4:5], 0
.LBB61_33:                              ; =>This Inner Loop Header: Depth=1
	v_mov_b32_e32 v131, s72
	buffer_load_dword v130, v131, s[0:3], 0 offen
	s_nop 0
	buffer_load_dword v131, v131, s[0:3], 0 offen offset:4
	v_mov_b32_e32 v132, s73
	ds_read_b64 v[132:133], v132
	v_add_u32_e32 v129, -1, v129
	s_add_i32 s73, s73, 8
	s_add_i32 s72, s72, 8
	v_cmp_eq_u32_e32 vcc, 0, v129
	s_or_b64 s[4:5], vcc, s[4:5]
	s_waitcnt vmcnt(0) lgkmcnt(0)
	v_fma_f64 v[125:126], v[130:131], v[132:133], v[125:126]
	s_andn2_b64 exec, exec, s[4:5]
	s_cbranch_execnz .LBB61_33
; %bb.34:
	s_or_b64 exec, exec, s[4:5]
.LBB61_35:
	s_or_b64 exec, exec, s[12:13]
	v_mov_b32_e32 v129, 0
	ds_read_b64 v[129:130], v129 offset:456
	s_waitcnt lgkmcnt(0)
	v_mul_f64 v[125:126], v[125:126], v[129:130]
	buffer_store_dword v126, off, s[0:3], 0 offset:460
	buffer_store_dword v125, off, s[0:3], 0 offset:456
.LBB61_36:
	;; [unrolled: 59-line block ×8, first 2 shown]
	s_or_b64 exec, exec, s[8:9]
	buffer_load_dword v125, off, s[0:3], 0 offset:400
	buffer_load_dword v126, off, s[0:3], 0 offset:404
	v_cmp_lt_u32_e64 s[4:5], 50, v0
	s_waitcnt vmcnt(0)
	ds_write_b64 v127, v[125:126]
	s_waitcnt lgkmcnt(0)
	; wave barrier
	s_and_saveexec_b64 s[8:9], s[4:5]
	s_cbranch_execz .LBB61_106
; %bb.97:
	s_andn2_b64 vcc, exec, s[10:11]
	s_cbranch_vccnz .LBB61_99
; %bb.98:
	buffer_load_dword v125, v128, s[0:3], 0 offen
	buffer_load_dword v126, v128, s[0:3], 0 offen offset:4
	ds_read_b64 v[129:130], v127
	s_waitcnt vmcnt(0) lgkmcnt(0)
	v_mul_f64 v[125:126], v[125:126], v[129:130]
	s_cbranch_execz .LBB61_100
	s_branch .LBB61_101
.LBB61_99:
                                        ; implicit-def: $vgpr125_vgpr126
.LBB61_100:
	ds_read_b64 v[125:126], v127
.LBB61_101:
	s_and_saveexec_b64 s[12:13], s[6:7]
	s_cbranch_execz .LBB61_105
; %bb.102:
	v_subrev_u32_e32 v129, 51, v0
	s_movk_i32 s66, 0x388
	s_mov_b64 s[6:7], 0
.LBB61_103:                             ; =>This Inner Loop Header: Depth=1
	v_mov_b32_e32 v131, s65
	buffer_load_dword v130, v131, s[0:3], 0 offen
	s_nop 0
	buffer_load_dword v131, v131, s[0:3], 0 offen offset:4
	v_mov_b32_e32 v132, s66
	ds_read_b64 v[132:133], v132
	v_add_u32_e32 v129, -1, v129
	s_add_i32 s66, s66, 8
	s_add_i32 s65, s65, 8
	v_cmp_eq_u32_e32 vcc, 0, v129
	s_or_b64 s[6:7], vcc, s[6:7]
	s_waitcnt vmcnt(0) lgkmcnt(0)
	v_fma_f64 v[125:126], v[130:131], v[132:133], v[125:126]
	s_andn2_b64 exec, exec, s[6:7]
	s_cbranch_execnz .LBB61_103
; %bb.104:
	s_or_b64 exec, exec, s[6:7]
.LBB61_105:
	s_or_b64 exec, exec, s[12:13]
	v_mov_b32_e32 v129, 0
	ds_read_b64 v[129:130], v129 offset:400
	s_waitcnt lgkmcnt(0)
	v_mul_f64 v[125:126], v[125:126], v[129:130]
	buffer_store_dword v126, off, s[0:3], 0 offset:404
	buffer_store_dword v125, off, s[0:3], 0 offset:400
.LBB61_106:
	s_or_b64 exec, exec, s[8:9]
	buffer_load_dword v125, off, s[0:3], 0 offset:392
	buffer_load_dword v126, off, s[0:3], 0 offset:396
	v_cmp_lt_u32_e64 s[6:7], 49, v0
	s_waitcnt vmcnt(0)
	ds_write_b64 v127, v[125:126]
	s_waitcnt lgkmcnt(0)
	; wave barrier
	s_and_saveexec_b64 s[8:9], s[6:7]
	s_cbranch_execz .LBB61_116
; %bb.107:
	s_andn2_b64 vcc, exec, s[10:11]
	s_cbranch_vccnz .LBB61_109
; %bb.108:
	buffer_load_dword v125, v128, s[0:3], 0 offen
	buffer_load_dword v126, v128, s[0:3], 0 offen offset:4
	ds_read_b64 v[129:130], v127
	s_waitcnt vmcnt(0) lgkmcnt(0)
	v_mul_f64 v[125:126], v[125:126], v[129:130]
	s_cbranch_execz .LBB61_110
	s_branch .LBB61_111
.LBB61_109:
                                        ; implicit-def: $vgpr125_vgpr126
.LBB61_110:
	ds_read_b64 v[125:126], v127
.LBB61_111:
	s_and_saveexec_b64 s[12:13], s[4:5]
	s_cbranch_execz .LBB61_115
; %bb.112:
	v_subrev_u32_e32 v129, 50, v0
	s_movk_i32 s65, 0x380
	s_mov_b64 s[4:5], 0
.LBB61_113:                             ; =>This Inner Loop Header: Depth=1
	v_mov_b32_e32 v131, s64
	buffer_load_dword v130, v131, s[0:3], 0 offen
	s_nop 0
	buffer_load_dword v131, v131, s[0:3], 0 offen offset:4
	v_mov_b32_e32 v132, s65
	ds_read_b64 v[132:133], v132
	v_add_u32_e32 v129, -1, v129
	s_add_i32 s65, s65, 8
	s_add_i32 s64, s64, 8
	v_cmp_eq_u32_e32 vcc, 0, v129
	s_or_b64 s[4:5], vcc, s[4:5]
	s_waitcnt vmcnt(0) lgkmcnt(0)
	v_fma_f64 v[125:126], v[130:131], v[132:133], v[125:126]
	s_andn2_b64 exec, exec, s[4:5]
	s_cbranch_execnz .LBB61_113
; %bb.114:
	s_or_b64 exec, exec, s[4:5]
.LBB61_115:
	s_or_b64 exec, exec, s[12:13]
	v_mov_b32_e32 v129, 0
	ds_read_b64 v[129:130], v129 offset:392
	s_waitcnt lgkmcnt(0)
	v_mul_f64 v[125:126], v[125:126], v[129:130]
	buffer_store_dword v126, off, s[0:3], 0 offset:396
	buffer_store_dword v125, off, s[0:3], 0 offset:392
.LBB61_116:
	s_or_b64 exec, exec, s[8:9]
	buffer_load_dword v125, off, s[0:3], 0 offset:384
	buffer_load_dword v126, off, s[0:3], 0 offset:388
	v_cmp_lt_u32_e64 s[4:5], 48, v0
	s_waitcnt vmcnt(0)
	ds_write_b64 v127, v[125:126]
	s_waitcnt lgkmcnt(0)
	; wave barrier
	s_and_saveexec_b64 s[8:9], s[4:5]
	s_cbranch_execz .LBB61_126
; %bb.117:
	s_andn2_b64 vcc, exec, s[10:11]
	s_cbranch_vccnz .LBB61_119
; %bb.118:
	buffer_load_dword v125, v128, s[0:3], 0 offen
	buffer_load_dword v126, v128, s[0:3], 0 offen offset:4
	ds_read_b64 v[129:130], v127
	s_waitcnt vmcnt(0) lgkmcnt(0)
	v_mul_f64 v[125:126], v[125:126], v[129:130]
	s_cbranch_execz .LBB61_120
	s_branch .LBB61_121
.LBB61_119:
                                        ; implicit-def: $vgpr125_vgpr126
.LBB61_120:
	ds_read_b64 v[125:126], v127
.LBB61_121:
	s_and_saveexec_b64 s[12:13], s[6:7]
	s_cbranch_execz .LBB61_125
; %bb.122:
	v_subrev_u32_e32 v129, 49, v0
	s_movk_i32 s64, 0x378
	s_mov_b64 s[6:7], 0
.LBB61_123:                             ; =>This Inner Loop Header: Depth=1
	v_mov_b32_e32 v131, s63
	buffer_load_dword v130, v131, s[0:3], 0 offen
	s_nop 0
	buffer_load_dword v131, v131, s[0:3], 0 offen offset:4
	v_mov_b32_e32 v132, s64
	ds_read_b64 v[132:133], v132
	v_add_u32_e32 v129, -1, v129
	s_add_i32 s64, s64, 8
	s_add_i32 s63, s63, 8
	v_cmp_eq_u32_e32 vcc, 0, v129
	s_or_b64 s[6:7], vcc, s[6:7]
	s_waitcnt vmcnt(0) lgkmcnt(0)
	v_fma_f64 v[125:126], v[130:131], v[132:133], v[125:126]
	s_andn2_b64 exec, exec, s[6:7]
	s_cbranch_execnz .LBB61_123
; %bb.124:
	s_or_b64 exec, exec, s[6:7]
.LBB61_125:
	s_or_b64 exec, exec, s[12:13]
	v_mov_b32_e32 v129, 0
	ds_read_b64 v[129:130], v129 offset:384
	s_waitcnt lgkmcnt(0)
	v_mul_f64 v[125:126], v[125:126], v[129:130]
	buffer_store_dword v126, off, s[0:3], 0 offset:388
	buffer_store_dword v125, off, s[0:3], 0 offset:384
.LBB61_126:
	s_or_b64 exec, exec, s[8:9]
	buffer_load_dword v125, off, s[0:3], 0 offset:376
	buffer_load_dword v126, off, s[0:3], 0 offset:380
	v_cmp_lt_u32_e64 s[6:7], 47, v0
	s_waitcnt vmcnt(0)
	ds_write_b64 v127, v[125:126]
	s_waitcnt lgkmcnt(0)
	; wave barrier
	s_and_saveexec_b64 s[8:9], s[6:7]
	s_cbranch_execz .LBB61_136
; %bb.127:
	s_andn2_b64 vcc, exec, s[10:11]
	s_cbranch_vccnz .LBB61_129
; %bb.128:
	buffer_load_dword v125, v128, s[0:3], 0 offen
	buffer_load_dword v126, v128, s[0:3], 0 offen offset:4
	ds_read_b64 v[129:130], v127
	s_waitcnt vmcnt(0) lgkmcnt(0)
	v_mul_f64 v[125:126], v[125:126], v[129:130]
	s_cbranch_execz .LBB61_130
	s_branch .LBB61_131
.LBB61_129:
                                        ; implicit-def: $vgpr125_vgpr126
.LBB61_130:
	ds_read_b64 v[125:126], v127
.LBB61_131:
	s_and_saveexec_b64 s[12:13], s[4:5]
	s_cbranch_execz .LBB61_135
; %bb.132:
	v_subrev_u32_e32 v129, 48, v0
	s_movk_i32 s63, 0x370
	s_mov_b64 s[4:5], 0
.LBB61_133:                             ; =>This Inner Loop Header: Depth=1
	v_mov_b32_e32 v131, s62
	buffer_load_dword v130, v131, s[0:3], 0 offen
	s_nop 0
	buffer_load_dword v131, v131, s[0:3], 0 offen offset:4
	v_mov_b32_e32 v132, s63
	ds_read_b64 v[132:133], v132
	v_add_u32_e32 v129, -1, v129
	s_add_i32 s63, s63, 8
	s_add_i32 s62, s62, 8
	v_cmp_eq_u32_e32 vcc, 0, v129
	s_or_b64 s[4:5], vcc, s[4:5]
	s_waitcnt vmcnt(0) lgkmcnt(0)
	v_fma_f64 v[125:126], v[130:131], v[132:133], v[125:126]
	s_andn2_b64 exec, exec, s[4:5]
	s_cbranch_execnz .LBB61_133
; %bb.134:
	s_or_b64 exec, exec, s[4:5]
.LBB61_135:
	s_or_b64 exec, exec, s[12:13]
	v_mov_b32_e32 v129, 0
	ds_read_b64 v[129:130], v129 offset:376
	s_waitcnt lgkmcnt(0)
	v_mul_f64 v[125:126], v[125:126], v[129:130]
	buffer_store_dword v126, off, s[0:3], 0 offset:380
	buffer_store_dword v125, off, s[0:3], 0 offset:376
.LBB61_136:
	s_or_b64 exec, exec, s[8:9]
	buffer_load_dword v125, off, s[0:3], 0 offset:368
	buffer_load_dword v126, off, s[0:3], 0 offset:372
	v_cmp_lt_u32_e64 s[4:5], 46, v0
	s_waitcnt vmcnt(0)
	ds_write_b64 v127, v[125:126]
	s_waitcnt lgkmcnt(0)
	; wave barrier
	s_and_saveexec_b64 s[8:9], s[4:5]
	s_cbranch_execz .LBB61_146
; %bb.137:
	s_andn2_b64 vcc, exec, s[10:11]
	s_cbranch_vccnz .LBB61_139
; %bb.138:
	buffer_load_dword v125, v128, s[0:3], 0 offen
	buffer_load_dword v126, v128, s[0:3], 0 offen offset:4
	ds_read_b64 v[129:130], v127
	s_waitcnt vmcnt(0) lgkmcnt(0)
	v_mul_f64 v[125:126], v[125:126], v[129:130]
	s_cbranch_execz .LBB61_140
	s_branch .LBB61_141
.LBB61_139:
                                        ; implicit-def: $vgpr125_vgpr126
.LBB61_140:
	ds_read_b64 v[125:126], v127
.LBB61_141:
	s_and_saveexec_b64 s[12:13], s[6:7]
	s_cbranch_execz .LBB61_145
; %bb.142:
	v_subrev_u32_e32 v129, 47, v0
	s_movk_i32 s62, 0x368
	s_mov_b64 s[6:7], 0
.LBB61_143:                             ; =>This Inner Loop Header: Depth=1
	v_mov_b32_e32 v131, s61
	buffer_load_dword v130, v131, s[0:3], 0 offen
	s_nop 0
	buffer_load_dword v131, v131, s[0:3], 0 offen offset:4
	v_mov_b32_e32 v132, s62
	ds_read_b64 v[132:133], v132
	v_add_u32_e32 v129, -1, v129
	s_add_i32 s62, s62, 8
	s_add_i32 s61, s61, 8
	v_cmp_eq_u32_e32 vcc, 0, v129
	s_or_b64 s[6:7], vcc, s[6:7]
	s_waitcnt vmcnt(0) lgkmcnt(0)
	v_fma_f64 v[125:126], v[130:131], v[132:133], v[125:126]
	s_andn2_b64 exec, exec, s[6:7]
	s_cbranch_execnz .LBB61_143
; %bb.144:
	s_or_b64 exec, exec, s[6:7]
.LBB61_145:
	s_or_b64 exec, exec, s[12:13]
	v_mov_b32_e32 v129, 0
	ds_read_b64 v[129:130], v129 offset:368
	s_waitcnt lgkmcnt(0)
	v_mul_f64 v[125:126], v[125:126], v[129:130]
	buffer_store_dword v126, off, s[0:3], 0 offset:372
	buffer_store_dword v125, off, s[0:3], 0 offset:368
.LBB61_146:
	s_or_b64 exec, exec, s[8:9]
	buffer_load_dword v125, off, s[0:3], 0 offset:360
	buffer_load_dword v126, off, s[0:3], 0 offset:364
	v_cmp_lt_u32_e64 s[6:7], 45, v0
	s_waitcnt vmcnt(0)
	ds_write_b64 v127, v[125:126]
	s_waitcnt lgkmcnt(0)
	; wave barrier
	s_and_saveexec_b64 s[8:9], s[6:7]
	s_cbranch_execz .LBB61_156
; %bb.147:
	s_andn2_b64 vcc, exec, s[10:11]
	s_cbranch_vccnz .LBB61_149
; %bb.148:
	buffer_load_dword v125, v128, s[0:3], 0 offen
	buffer_load_dword v126, v128, s[0:3], 0 offen offset:4
	ds_read_b64 v[129:130], v127
	s_waitcnt vmcnt(0) lgkmcnt(0)
	v_mul_f64 v[125:126], v[125:126], v[129:130]
	s_cbranch_execz .LBB61_150
	s_branch .LBB61_151
.LBB61_149:
                                        ; implicit-def: $vgpr125_vgpr126
.LBB61_150:
	ds_read_b64 v[125:126], v127
.LBB61_151:
	s_and_saveexec_b64 s[12:13], s[4:5]
	s_cbranch_execz .LBB61_155
; %bb.152:
	v_subrev_u32_e32 v129, 46, v0
	s_movk_i32 s61, 0x360
	s_mov_b64 s[4:5], 0
.LBB61_153:                             ; =>This Inner Loop Header: Depth=1
	v_mov_b32_e32 v131, s60
	buffer_load_dword v130, v131, s[0:3], 0 offen
	s_nop 0
	buffer_load_dword v131, v131, s[0:3], 0 offen offset:4
	v_mov_b32_e32 v132, s61
	ds_read_b64 v[132:133], v132
	v_add_u32_e32 v129, -1, v129
	s_add_i32 s61, s61, 8
	s_add_i32 s60, s60, 8
	v_cmp_eq_u32_e32 vcc, 0, v129
	s_or_b64 s[4:5], vcc, s[4:5]
	s_waitcnt vmcnt(0) lgkmcnt(0)
	v_fma_f64 v[125:126], v[130:131], v[132:133], v[125:126]
	s_andn2_b64 exec, exec, s[4:5]
	s_cbranch_execnz .LBB61_153
; %bb.154:
	s_or_b64 exec, exec, s[4:5]
.LBB61_155:
	s_or_b64 exec, exec, s[12:13]
	v_mov_b32_e32 v129, 0
	ds_read_b64 v[129:130], v129 offset:360
	s_waitcnt lgkmcnt(0)
	v_mul_f64 v[125:126], v[125:126], v[129:130]
	buffer_store_dword v126, off, s[0:3], 0 offset:364
	buffer_store_dword v125, off, s[0:3], 0 offset:360
.LBB61_156:
	s_or_b64 exec, exec, s[8:9]
	buffer_load_dword v125, off, s[0:3], 0 offset:352
	buffer_load_dword v126, off, s[0:3], 0 offset:356
	v_cmp_lt_u32_e64 s[4:5], 44, v0
	s_waitcnt vmcnt(0)
	ds_write_b64 v127, v[125:126]
	s_waitcnt lgkmcnt(0)
	; wave barrier
	s_and_saveexec_b64 s[8:9], s[4:5]
	s_cbranch_execz .LBB61_166
; %bb.157:
	s_andn2_b64 vcc, exec, s[10:11]
	s_cbranch_vccnz .LBB61_159
; %bb.158:
	buffer_load_dword v125, v128, s[0:3], 0 offen
	buffer_load_dword v126, v128, s[0:3], 0 offen offset:4
	ds_read_b64 v[129:130], v127
	s_waitcnt vmcnt(0) lgkmcnt(0)
	v_mul_f64 v[125:126], v[125:126], v[129:130]
	s_cbranch_execz .LBB61_160
	s_branch .LBB61_161
.LBB61_159:
                                        ; implicit-def: $vgpr125_vgpr126
.LBB61_160:
	ds_read_b64 v[125:126], v127
.LBB61_161:
	s_and_saveexec_b64 s[12:13], s[6:7]
	s_cbranch_execz .LBB61_165
; %bb.162:
	v_subrev_u32_e32 v129, 45, v0
	s_movk_i32 s60, 0x358
	s_mov_b64 s[6:7], 0
.LBB61_163:                             ; =>This Inner Loop Header: Depth=1
	v_mov_b32_e32 v131, s59
	buffer_load_dword v130, v131, s[0:3], 0 offen
	s_nop 0
	buffer_load_dword v131, v131, s[0:3], 0 offen offset:4
	v_mov_b32_e32 v132, s60
	ds_read_b64 v[132:133], v132
	v_add_u32_e32 v129, -1, v129
	s_add_i32 s60, s60, 8
	s_add_i32 s59, s59, 8
	v_cmp_eq_u32_e32 vcc, 0, v129
	s_or_b64 s[6:7], vcc, s[6:7]
	s_waitcnt vmcnt(0) lgkmcnt(0)
	v_fma_f64 v[125:126], v[130:131], v[132:133], v[125:126]
	s_andn2_b64 exec, exec, s[6:7]
	s_cbranch_execnz .LBB61_163
; %bb.164:
	s_or_b64 exec, exec, s[6:7]
.LBB61_165:
	s_or_b64 exec, exec, s[12:13]
	v_mov_b32_e32 v129, 0
	ds_read_b64 v[129:130], v129 offset:352
	s_waitcnt lgkmcnt(0)
	v_mul_f64 v[125:126], v[125:126], v[129:130]
	buffer_store_dword v126, off, s[0:3], 0 offset:356
	buffer_store_dword v125, off, s[0:3], 0 offset:352
.LBB61_166:
	s_or_b64 exec, exec, s[8:9]
	buffer_load_dword v125, off, s[0:3], 0 offset:344
	buffer_load_dword v126, off, s[0:3], 0 offset:348
	v_cmp_lt_u32_e64 s[6:7], 43, v0
	s_waitcnt vmcnt(0)
	ds_write_b64 v127, v[125:126]
	s_waitcnt lgkmcnt(0)
	; wave barrier
	s_and_saveexec_b64 s[8:9], s[6:7]
	s_cbranch_execz .LBB61_176
; %bb.167:
	s_andn2_b64 vcc, exec, s[10:11]
	s_cbranch_vccnz .LBB61_169
; %bb.168:
	buffer_load_dword v125, v128, s[0:3], 0 offen
	buffer_load_dword v126, v128, s[0:3], 0 offen offset:4
	ds_read_b64 v[129:130], v127
	s_waitcnt vmcnt(0) lgkmcnt(0)
	v_mul_f64 v[125:126], v[125:126], v[129:130]
	s_cbranch_execz .LBB61_170
	s_branch .LBB61_171
.LBB61_169:
                                        ; implicit-def: $vgpr125_vgpr126
.LBB61_170:
	ds_read_b64 v[125:126], v127
.LBB61_171:
	s_and_saveexec_b64 s[12:13], s[4:5]
	s_cbranch_execz .LBB61_175
; %bb.172:
	v_subrev_u32_e32 v129, 44, v0
	s_movk_i32 s59, 0x350
	s_mov_b64 s[4:5], 0
.LBB61_173:                             ; =>This Inner Loop Header: Depth=1
	v_mov_b32_e32 v131, s58
	buffer_load_dword v130, v131, s[0:3], 0 offen
	s_nop 0
	buffer_load_dword v131, v131, s[0:3], 0 offen offset:4
	v_mov_b32_e32 v132, s59
	ds_read_b64 v[132:133], v132
	v_add_u32_e32 v129, -1, v129
	s_add_i32 s59, s59, 8
	s_add_i32 s58, s58, 8
	v_cmp_eq_u32_e32 vcc, 0, v129
	s_or_b64 s[4:5], vcc, s[4:5]
	s_waitcnt vmcnt(0) lgkmcnt(0)
	v_fma_f64 v[125:126], v[130:131], v[132:133], v[125:126]
	s_andn2_b64 exec, exec, s[4:5]
	s_cbranch_execnz .LBB61_173
; %bb.174:
	s_or_b64 exec, exec, s[4:5]
.LBB61_175:
	s_or_b64 exec, exec, s[12:13]
	v_mov_b32_e32 v129, 0
	ds_read_b64 v[129:130], v129 offset:344
	s_waitcnt lgkmcnt(0)
	v_mul_f64 v[125:126], v[125:126], v[129:130]
	buffer_store_dword v126, off, s[0:3], 0 offset:348
	buffer_store_dword v125, off, s[0:3], 0 offset:344
.LBB61_176:
	s_or_b64 exec, exec, s[8:9]
	buffer_load_dword v125, off, s[0:3], 0 offset:336
	buffer_load_dword v126, off, s[0:3], 0 offset:340
	v_cmp_lt_u32_e64 s[4:5], 42, v0
	s_waitcnt vmcnt(0)
	ds_write_b64 v127, v[125:126]
	s_waitcnt lgkmcnt(0)
	; wave barrier
	s_and_saveexec_b64 s[8:9], s[4:5]
	s_cbranch_execz .LBB61_186
; %bb.177:
	s_andn2_b64 vcc, exec, s[10:11]
	s_cbranch_vccnz .LBB61_179
; %bb.178:
	buffer_load_dword v125, v128, s[0:3], 0 offen
	buffer_load_dword v126, v128, s[0:3], 0 offen offset:4
	ds_read_b64 v[129:130], v127
	s_waitcnt vmcnt(0) lgkmcnt(0)
	v_mul_f64 v[125:126], v[125:126], v[129:130]
	s_cbranch_execz .LBB61_180
	s_branch .LBB61_181
.LBB61_179:
                                        ; implicit-def: $vgpr125_vgpr126
.LBB61_180:
	ds_read_b64 v[125:126], v127
.LBB61_181:
	s_and_saveexec_b64 s[12:13], s[6:7]
	s_cbranch_execz .LBB61_185
; %bb.182:
	v_subrev_u32_e32 v129, 43, v0
	s_movk_i32 s58, 0x348
	s_mov_b64 s[6:7], 0
.LBB61_183:                             ; =>This Inner Loop Header: Depth=1
	v_mov_b32_e32 v131, s57
	buffer_load_dword v130, v131, s[0:3], 0 offen
	s_nop 0
	buffer_load_dword v131, v131, s[0:3], 0 offen offset:4
	v_mov_b32_e32 v132, s58
	ds_read_b64 v[132:133], v132
	v_add_u32_e32 v129, -1, v129
	s_add_i32 s58, s58, 8
	s_add_i32 s57, s57, 8
	v_cmp_eq_u32_e32 vcc, 0, v129
	s_or_b64 s[6:7], vcc, s[6:7]
	s_waitcnt vmcnt(0) lgkmcnt(0)
	v_fma_f64 v[125:126], v[130:131], v[132:133], v[125:126]
	s_andn2_b64 exec, exec, s[6:7]
	s_cbranch_execnz .LBB61_183
; %bb.184:
	s_or_b64 exec, exec, s[6:7]
.LBB61_185:
	s_or_b64 exec, exec, s[12:13]
	v_mov_b32_e32 v129, 0
	ds_read_b64 v[129:130], v129 offset:336
	s_waitcnt lgkmcnt(0)
	v_mul_f64 v[125:126], v[125:126], v[129:130]
	buffer_store_dword v126, off, s[0:3], 0 offset:340
	buffer_store_dword v125, off, s[0:3], 0 offset:336
.LBB61_186:
	s_or_b64 exec, exec, s[8:9]
	buffer_load_dword v125, off, s[0:3], 0 offset:328
	buffer_load_dword v126, off, s[0:3], 0 offset:332
	v_cmp_lt_u32_e64 s[6:7], 41, v0
	s_waitcnt vmcnt(0)
	ds_write_b64 v127, v[125:126]
	s_waitcnt lgkmcnt(0)
	; wave barrier
	s_and_saveexec_b64 s[8:9], s[6:7]
	s_cbranch_execz .LBB61_196
; %bb.187:
	s_andn2_b64 vcc, exec, s[10:11]
	s_cbranch_vccnz .LBB61_189
; %bb.188:
	buffer_load_dword v125, v128, s[0:3], 0 offen
	buffer_load_dword v126, v128, s[0:3], 0 offen offset:4
	ds_read_b64 v[129:130], v127
	s_waitcnt vmcnt(0) lgkmcnt(0)
	v_mul_f64 v[125:126], v[125:126], v[129:130]
	s_cbranch_execz .LBB61_190
	s_branch .LBB61_191
.LBB61_189:
                                        ; implicit-def: $vgpr125_vgpr126
.LBB61_190:
	ds_read_b64 v[125:126], v127
.LBB61_191:
	s_and_saveexec_b64 s[12:13], s[4:5]
	s_cbranch_execz .LBB61_195
; %bb.192:
	v_subrev_u32_e32 v129, 42, v0
	s_movk_i32 s57, 0x340
	s_mov_b64 s[4:5], 0
.LBB61_193:                             ; =>This Inner Loop Header: Depth=1
	v_mov_b32_e32 v131, s56
	buffer_load_dword v130, v131, s[0:3], 0 offen
	s_nop 0
	buffer_load_dword v131, v131, s[0:3], 0 offen offset:4
	v_mov_b32_e32 v132, s57
	ds_read_b64 v[132:133], v132
	v_add_u32_e32 v129, -1, v129
	s_add_i32 s57, s57, 8
	s_add_i32 s56, s56, 8
	v_cmp_eq_u32_e32 vcc, 0, v129
	s_or_b64 s[4:5], vcc, s[4:5]
	s_waitcnt vmcnt(0) lgkmcnt(0)
	v_fma_f64 v[125:126], v[130:131], v[132:133], v[125:126]
	s_andn2_b64 exec, exec, s[4:5]
	s_cbranch_execnz .LBB61_193
; %bb.194:
	s_or_b64 exec, exec, s[4:5]
.LBB61_195:
	s_or_b64 exec, exec, s[12:13]
	v_mov_b32_e32 v129, 0
	ds_read_b64 v[129:130], v129 offset:328
	s_waitcnt lgkmcnt(0)
	v_mul_f64 v[125:126], v[125:126], v[129:130]
	buffer_store_dword v126, off, s[0:3], 0 offset:332
	buffer_store_dword v125, off, s[0:3], 0 offset:328
.LBB61_196:
	s_or_b64 exec, exec, s[8:9]
	buffer_load_dword v125, off, s[0:3], 0 offset:320
	buffer_load_dword v126, off, s[0:3], 0 offset:324
	v_cmp_lt_u32_e64 s[4:5], 40, v0
	s_waitcnt vmcnt(0)
	ds_write_b64 v127, v[125:126]
	s_waitcnt lgkmcnt(0)
	; wave barrier
	s_and_saveexec_b64 s[8:9], s[4:5]
	s_cbranch_execz .LBB61_206
; %bb.197:
	s_andn2_b64 vcc, exec, s[10:11]
	s_cbranch_vccnz .LBB61_199
; %bb.198:
	buffer_load_dword v125, v128, s[0:3], 0 offen
	buffer_load_dword v126, v128, s[0:3], 0 offen offset:4
	ds_read_b64 v[129:130], v127
	s_waitcnt vmcnt(0) lgkmcnt(0)
	v_mul_f64 v[125:126], v[125:126], v[129:130]
	s_cbranch_execz .LBB61_200
	s_branch .LBB61_201
.LBB61_199:
                                        ; implicit-def: $vgpr125_vgpr126
.LBB61_200:
	ds_read_b64 v[125:126], v127
.LBB61_201:
	s_and_saveexec_b64 s[12:13], s[6:7]
	s_cbranch_execz .LBB61_205
; %bb.202:
	v_subrev_u32_e32 v129, 41, v0
	s_movk_i32 s56, 0x338
	s_mov_b64 s[6:7], 0
.LBB61_203:                             ; =>This Inner Loop Header: Depth=1
	v_mov_b32_e32 v131, s55
	buffer_load_dword v130, v131, s[0:3], 0 offen
	s_nop 0
	buffer_load_dword v131, v131, s[0:3], 0 offen offset:4
	v_mov_b32_e32 v132, s56
	ds_read_b64 v[132:133], v132
	v_add_u32_e32 v129, -1, v129
	s_add_i32 s56, s56, 8
	s_add_i32 s55, s55, 8
	v_cmp_eq_u32_e32 vcc, 0, v129
	s_or_b64 s[6:7], vcc, s[6:7]
	s_waitcnt vmcnt(0) lgkmcnt(0)
	v_fma_f64 v[125:126], v[130:131], v[132:133], v[125:126]
	s_andn2_b64 exec, exec, s[6:7]
	s_cbranch_execnz .LBB61_203
; %bb.204:
	s_or_b64 exec, exec, s[6:7]
.LBB61_205:
	s_or_b64 exec, exec, s[12:13]
	v_mov_b32_e32 v129, 0
	ds_read_b64 v[129:130], v129 offset:320
	s_waitcnt lgkmcnt(0)
	v_mul_f64 v[125:126], v[125:126], v[129:130]
	buffer_store_dword v126, off, s[0:3], 0 offset:324
	buffer_store_dword v125, off, s[0:3], 0 offset:320
.LBB61_206:
	s_or_b64 exec, exec, s[8:9]
	buffer_load_dword v125, off, s[0:3], 0 offset:312
	buffer_load_dword v126, off, s[0:3], 0 offset:316
	v_cmp_lt_u32_e64 s[6:7], 39, v0
	s_waitcnt vmcnt(0)
	ds_write_b64 v127, v[125:126]
	s_waitcnt lgkmcnt(0)
	; wave barrier
	s_and_saveexec_b64 s[8:9], s[6:7]
	s_cbranch_execz .LBB61_216
; %bb.207:
	s_andn2_b64 vcc, exec, s[10:11]
	s_cbranch_vccnz .LBB61_209
; %bb.208:
	buffer_load_dword v125, v128, s[0:3], 0 offen
	buffer_load_dword v126, v128, s[0:3], 0 offen offset:4
	ds_read_b64 v[129:130], v127
	s_waitcnt vmcnt(0) lgkmcnt(0)
	v_mul_f64 v[125:126], v[125:126], v[129:130]
	s_cbranch_execz .LBB61_210
	s_branch .LBB61_211
.LBB61_209:
                                        ; implicit-def: $vgpr125_vgpr126
.LBB61_210:
	ds_read_b64 v[125:126], v127
.LBB61_211:
	s_and_saveexec_b64 s[12:13], s[4:5]
	s_cbranch_execz .LBB61_215
; %bb.212:
	v_subrev_u32_e32 v129, 40, v0
	s_movk_i32 s55, 0x330
	s_mov_b64 s[4:5], 0
.LBB61_213:                             ; =>This Inner Loop Header: Depth=1
	v_mov_b32_e32 v131, s54
	buffer_load_dword v130, v131, s[0:3], 0 offen
	s_nop 0
	buffer_load_dword v131, v131, s[0:3], 0 offen offset:4
	v_mov_b32_e32 v132, s55
	ds_read_b64 v[132:133], v132
	v_add_u32_e32 v129, -1, v129
	s_add_i32 s55, s55, 8
	s_add_i32 s54, s54, 8
	v_cmp_eq_u32_e32 vcc, 0, v129
	s_or_b64 s[4:5], vcc, s[4:5]
	s_waitcnt vmcnt(0) lgkmcnt(0)
	v_fma_f64 v[125:126], v[130:131], v[132:133], v[125:126]
	s_andn2_b64 exec, exec, s[4:5]
	s_cbranch_execnz .LBB61_213
; %bb.214:
	s_or_b64 exec, exec, s[4:5]
.LBB61_215:
	s_or_b64 exec, exec, s[12:13]
	v_mov_b32_e32 v129, 0
	ds_read_b64 v[129:130], v129 offset:312
	s_waitcnt lgkmcnt(0)
	v_mul_f64 v[125:126], v[125:126], v[129:130]
	buffer_store_dword v126, off, s[0:3], 0 offset:316
	buffer_store_dword v125, off, s[0:3], 0 offset:312
.LBB61_216:
	s_or_b64 exec, exec, s[8:9]
	buffer_load_dword v125, off, s[0:3], 0 offset:304
	buffer_load_dword v126, off, s[0:3], 0 offset:308
	v_cmp_lt_u32_e64 s[4:5], 38, v0
	s_waitcnt vmcnt(0)
	ds_write_b64 v127, v[125:126]
	s_waitcnt lgkmcnt(0)
	; wave barrier
	s_and_saveexec_b64 s[8:9], s[4:5]
	s_cbranch_execz .LBB61_226
; %bb.217:
	s_andn2_b64 vcc, exec, s[10:11]
	s_cbranch_vccnz .LBB61_219
; %bb.218:
	buffer_load_dword v125, v128, s[0:3], 0 offen
	buffer_load_dword v126, v128, s[0:3], 0 offen offset:4
	ds_read_b64 v[129:130], v127
	s_waitcnt vmcnt(0) lgkmcnt(0)
	v_mul_f64 v[125:126], v[125:126], v[129:130]
	s_cbranch_execz .LBB61_220
	s_branch .LBB61_221
.LBB61_219:
                                        ; implicit-def: $vgpr125_vgpr126
.LBB61_220:
	ds_read_b64 v[125:126], v127
.LBB61_221:
	s_and_saveexec_b64 s[12:13], s[6:7]
	s_cbranch_execz .LBB61_225
; %bb.222:
	v_subrev_u32_e32 v129, 39, v0
	s_movk_i32 s54, 0x328
	s_mov_b64 s[6:7], 0
.LBB61_223:                             ; =>This Inner Loop Header: Depth=1
	v_mov_b32_e32 v131, s53
	buffer_load_dword v130, v131, s[0:3], 0 offen
	s_nop 0
	buffer_load_dword v131, v131, s[0:3], 0 offen offset:4
	v_mov_b32_e32 v132, s54
	ds_read_b64 v[132:133], v132
	v_add_u32_e32 v129, -1, v129
	s_add_i32 s54, s54, 8
	s_add_i32 s53, s53, 8
	v_cmp_eq_u32_e32 vcc, 0, v129
	s_or_b64 s[6:7], vcc, s[6:7]
	s_waitcnt vmcnt(0) lgkmcnt(0)
	v_fma_f64 v[125:126], v[130:131], v[132:133], v[125:126]
	s_andn2_b64 exec, exec, s[6:7]
	s_cbranch_execnz .LBB61_223
; %bb.224:
	s_or_b64 exec, exec, s[6:7]
.LBB61_225:
	s_or_b64 exec, exec, s[12:13]
	v_mov_b32_e32 v129, 0
	ds_read_b64 v[129:130], v129 offset:304
	s_waitcnt lgkmcnt(0)
	v_mul_f64 v[125:126], v[125:126], v[129:130]
	buffer_store_dword v126, off, s[0:3], 0 offset:308
	buffer_store_dword v125, off, s[0:3], 0 offset:304
.LBB61_226:
	s_or_b64 exec, exec, s[8:9]
	buffer_load_dword v125, off, s[0:3], 0 offset:296
	buffer_load_dword v126, off, s[0:3], 0 offset:300
	v_cmp_lt_u32_e64 s[6:7], 37, v0
	s_waitcnt vmcnt(0)
	ds_write_b64 v127, v[125:126]
	s_waitcnt lgkmcnt(0)
	; wave barrier
	s_and_saveexec_b64 s[8:9], s[6:7]
	s_cbranch_execz .LBB61_236
; %bb.227:
	s_andn2_b64 vcc, exec, s[10:11]
	s_cbranch_vccnz .LBB61_229
; %bb.228:
	buffer_load_dword v125, v128, s[0:3], 0 offen
	buffer_load_dword v126, v128, s[0:3], 0 offen offset:4
	ds_read_b64 v[129:130], v127
	s_waitcnt vmcnt(0) lgkmcnt(0)
	v_mul_f64 v[125:126], v[125:126], v[129:130]
	s_cbranch_execz .LBB61_230
	s_branch .LBB61_231
.LBB61_229:
                                        ; implicit-def: $vgpr125_vgpr126
.LBB61_230:
	ds_read_b64 v[125:126], v127
.LBB61_231:
	s_and_saveexec_b64 s[12:13], s[4:5]
	s_cbranch_execz .LBB61_235
; %bb.232:
	v_subrev_u32_e32 v129, 38, v0
	s_movk_i32 s53, 0x320
	s_mov_b64 s[4:5], 0
.LBB61_233:                             ; =>This Inner Loop Header: Depth=1
	v_mov_b32_e32 v131, s52
	buffer_load_dword v130, v131, s[0:3], 0 offen
	s_nop 0
	buffer_load_dword v131, v131, s[0:3], 0 offen offset:4
	v_mov_b32_e32 v132, s53
	ds_read_b64 v[132:133], v132
	v_add_u32_e32 v129, -1, v129
	s_add_i32 s53, s53, 8
	s_add_i32 s52, s52, 8
	v_cmp_eq_u32_e32 vcc, 0, v129
	s_or_b64 s[4:5], vcc, s[4:5]
	s_waitcnt vmcnt(0) lgkmcnt(0)
	v_fma_f64 v[125:126], v[130:131], v[132:133], v[125:126]
	s_andn2_b64 exec, exec, s[4:5]
	s_cbranch_execnz .LBB61_233
; %bb.234:
	s_or_b64 exec, exec, s[4:5]
.LBB61_235:
	s_or_b64 exec, exec, s[12:13]
	v_mov_b32_e32 v129, 0
	ds_read_b64 v[129:130], v129 offset:296
	s_waitcnt lgkmcnt(0)
	v_mul_f64 v[125:126], v[125:126], v[129:130]
	buffer_store_dword v126, off, s[0:3], 0 offset:300
	buffer_store_dword v125, off, s[0:3], 0 offset:296
.LBB61_236:
	s_or_b64 exec, exec, s[8:9]
	buffer_load_dword v125, off, s[0:3], 0 offset:288
	buffer_load_dword v126, off, s[0:3], 0 offset:292
	v_cmp_lt_u32_e64 s[4:5], 36, v0
	s_waitcnt vmcnt(0)
	ds_write_b64 v127, v[125:126]
	s_waitcnt lgkmcnt(0)
	; wave barrier
	s_and_saveexec_b64 s[8:9], s[4:5]
	s_cbranch_execz .LBB61_246
; %bb.237:
	s_andn2_b64 vcc, exec, s[10:11]
	s_cbranch_vccnz .LBB61_239
; %bb.238:
	buffer_load_dword v125, v128, s[0:3], 0 offen
	buffer_load_dword v126, v128, s[0:3], 0 offen offset:4
	ds_read_b64 v[129:130], v127
	s_waitcnt vmcnt(0) lgkmcnt(0)
	v_mul_f64 v[125:126], v[125:126], v[129:130]
	s_cbranch_execz .LBB61_240
	s_branch .LBB61_241
.LBB61_239:
                                        ; implicit-def: $vgpr125_vgpr126
.LBB61_240:
	ds_read_b64 v[125:126], v127
.LBB61_241:
	s_and_saveexec_b64 s[12:13], s[6:7]
	s_cbranch_execz .LBB61_245
; %bb.242:
	v_subrev_u32_e32 v129, 37, v0
	s_movk_i32 s52, 0x318
	s_mov_b64 s[6:7], 0
.LBB61_243:                             ; =>This Inner Loop Header: Depth=1
	v_mov_b32_e32 v131, s51
	buffer_load_dword v130, v131, s[0:3], 0 offen
	s_nop 0
	buffer_load_dword v131, v131, s[0:3], 0 offen offset:4
	v_mov_b32_e32 v132, s52
	ds_read_b64 v[132:133], v132
	v_add_u32_e32 v129, -1, v129
	s_add_i32 s52, s52, 8
	s_add_i32 s51, s51, 8
	v_cmp_eq_u32_e32 vcc, 0, v129
	s_or_b64 s[6:7], vcc, s[6:7]
	s_waitcnt vmcnt(0) lgkmcnt(0)
	v_fma_f64 v[125:126], v[130:131], v[132:133], v[125:126]
	s_andn2_b64 exec, exec, s[6:7]
	s_cbranch_execnz .LBB61_243
; %bb.244:
	s_or_b64 exec, exec, s[6:7]
.LBB61_245:
	s_or_b64 exec, exec, s[12:13]
	v_mov_b32_e32 v129, 0
	ds_read_b64 v[129:130], v129 offset:288
	s_waitcnt lgkmcnt(0)
	v_mul_f64 v[125:126], v[125:126], v[129:130]
	buffer_store_dword v126, off, s[0:3], 0 offset:292
	buffer_store_dword v125, off, s[0:3], 0 offset:288
.LBB61_246:
	s_or_b64 exec, exec, s[8:9]
	buffer_load_dword v125, off, s[0:3], 0 offset:280
	buffer_load_dword v126, off, s[0:3], 0 offset:284
	v_cmp_lt_u32_e64 s[6:7], 35, v0
	s_waitcnt vmcnt(0)
	ds_write_b64 v127, v[125:126]
	s_waitcnt lgkmcnt(0)
	; wave barrier
	s_and_saveexec_b64 s[8:9], s[6:7]
	s_cbranch_execz .LBB61_256
; %bb.247:
	s_andn2_b64 vcc, exec, s[10:11]
	s_cbranch_vccnz .LBB61_249
; %bb.248:
	buffer_load_dword v125, v128, s[0:3], 0 offen
	buffer_load_dword v126, v128, s[0:3], 0 offen offset:4
	ds_read_b64 v[129:130], v127
	s_waitcnt vmcnt(0) lgkmcnt(0)
	v_mul_f64 v[125:126], v[125:126], v[129:130]
	s_cbranch_execz .LBB61_250
	s_branch .LBB61_251
.LBB61_249:
                                        ; implicit-def: $vgpr125_vgpr126
.LBB61_250:
	ds_read_b64 v[125:126], v127
.LBB61_251:
	s_and_saveexec_b64 s[12:13], s[4:5]
	s_cbranch_execz .LBB61_255
; %bb.252:
	v_subrev_u32_e32 v129, 36, v0
	s_movk_i32 s51, 0x310
	s_mov_b64 s[4:5], 0
.LBB61_253:                             ; =>This Inner Loop Header: Depth=1
	v_mov_b32_e32 v131, s50
	buffer_load_dword v130, v131, s[0:3], 0 offen
	s_nop 0
	buffer_load_dword v131, v131, s[0:3], 0 offen offset:4
	v_mov_b32_e32 v132, s51
	ds_read_b64 v[132:133], v132
	v_add_u32_e32 v129, -1, v129
	s_add_i32 s51, s51, 8
	s_add_i32 s50, s50, 8
	v_cmp_eq_u32_e32 vcc, 0, v129
	s_or_b64 s[4:5], vcc, s[4:5]
	s_waitcnt vmcnt(0) lgkmcnt(0)
	v_fma_f64 v[125:126], v[130:131], v[132:133], v[125:126]
	s_andn2_b64 exec, exec, s[4:5]
	s_cbranch_execnz .LBB61_253
; %bb.254:
	s_or_b64 exec, exec, s[4:5]
.LBB61_255:
	s_or_b64 exec, exec, s[12:13]
	v_mov_b32_e32 v129, 0
	ds_read_b64 v[129:130], v129 offset:280
	s_waitcnt lgkmcnt(0)
	v_mul_f64 v[125:126], v[125:126], v[129:130]
	buffer_store_dword v126, off, s[0:3], 0 offset:284
	buffer_store_dword v125, off, s[0:3], 0 offset:280
.LBB61_256:
	s_or_b64 exec, exec, s[8:9]
	buffer_load_dword v125, off, s[0:3], 0 offset:272
	buffer_load_dword v126, off, s[0:3], 0 offset:276
	v_cmp_lt_u32_e64 s[4:5], 34, v0
	s_waitcnt vmcnt(0)
	ds_write_b64 v127, v[125:126]
	s_waitcnt lgkmcnt(0)
	; wave barrier
	s_and_saveexec_b64 s[8:9], s[4:5]
	s_cbranch_execz .LBB61_266
; %bb.257:
	s_andn2_b64 vcc, exec, s[10:11]
	s_cbranch_vccnz .LBB61_259
; %bb.258:
	buffer_load_dword v125, v128, s[0:3], 0 offen
	buffer_load_dword v126, v128, s[0:3], 0 offen offset:4
	ds_read_b64 v[129:130], v127
	s_waitcnt vmcnt(0) lgkmcnt(0)
	v_mul_f64 v[125:126], v[125:126], v[129:130]
	s_cbranch_execz .LBB61_260
	s_branch .LBB61_261
.LBB61_259:
                                        ; implicit-def: $vgpr125_vgpr126
.LBB61_260:
	ds_read_b64 v[125:126], v127
.LBB61_261:
	s_and_saveexec_b64 s[12:13], s[6:7]
	s_cbranch_execz .LBB61_265
; %bb.262:
	v_subrev_u32_e32 v129, 35, v0
	s_movk_i32 s50, 0x308
	s_mov_b64 s[6:7], 0
.LBB61_263:                             ; =>This Inner Loop Header: Depth=1
	v_mov_b32_e32 v131, s49
	buffer_load_dword v130, v131, s[0:3], 0 offen
	s_nop 0
	buffer_load_dword v131, v131, s[0:3], 0 offen offset:4
	v_mov_b32_e32 v132, s50
	ds_read_b64 v[132:133], v132
	v_add_u32_e32 v129, -1, v129
	s_add_i32 s50, s50, 8
	s_add_i32 s49, s49, 8
	v_cmp_eq_u32_e32 vcc, 0, v129
	s_or_b64 s[6:7], vcc, s[6:7]
	s_waitcnt vmcnt(0) lgkmcnt(0)
	v_fma_f64 v[125:126], v[130:131], v[132:133], v[125:126]
	s_andn2_b64 exec, exec, s[6:7]
	s_cbranch_execnz .LBB61_263
; %bb.264:
	s_or_b64 exec, exec, s[6:7]
.LBB61_265:
	s_or_b64 exec, exec, s[12:13]
	v_mov_b32_e32 v129, 0
	ds_read_b64 v[129:130], v129 offset:272
	s_waitcnt lgkmcnt(0)
	v_mul_f64 v[125:126], v[125:126], v[129:130]
	buffer_store_dword v126, off, s[0:3], 0 offset:276
	buffer_store_dword v125, off, s[0:3], 0 offset:272
.LBB61_266:
	s_or_b64 exec, exec, s[8:9]
	buffer_load_dword v125, off, s[0:3], 0 offset:264
	buffer_load_dword v126, off, s[0:3], 0 offset:268
	v_cmp_lt_u32_e64 s[6:7], 33, v0
	s_waitcnt vmcnt(0)
	ds_write_b64 v127, v[125:126]
	s_waitcnt lgkmcnt(0)
	; wave barrier
	s_and_saveexec_b64 s[8:9], s[6:7]
	s_cbranch_execz .LBB61_276
; %bb.267:
	s_andn2_b64 vcc, exec, s[10:11]
	s_cbranch_vccnz .LBB61_269
; %bb.268:
	buffer_load_dword v125, v128, s[0:3], 0 offen
	buffer_load_dword v126, v128, s[0:3], 0 offen offset:4
	ds_read_b64 v[129:130], v127
	s_waitcnt vmcnt(0) lgkmcnt(0)
	v_mul_f64 v[125:126], v[125:126], v[129:130]
	s_cbranch_execz .LBB61_270
	s_branch .LBB61_271
.LBB61_269:
                                        ; implicit-def: $vgpr125_vgpr126
.LBB61_270:
	ds_read_b64 v[125:126], v127
.LBB61_271:
	s_and_saveexec_b64 s[12:13], s[4:5]
	s_cbranch_execz .LBB61_275
; %bb.272:
	v_subrev_u32_e32 v129, 34, v0
	s_movk_i32 s49, 0x300
	s_mov_b64 s[4:5], 0
.LBB61_273:                             ; =>This Inner Loop Header: Depth=1
	v_mov_b32_e32 v131, s48
	buffer_load_dword v130, v131, s[0:3], 0 offen
	s_nop 0
	buffer_load_dword v131, v131, s[0:3], 0 offen offset:4
	v_mov_b32_e32 v132, s49
	ds_read_b64 v[132:133], v132
	v_add_u32_e32 v129, -1, v129
	s_add_i32 s49, s49, 8
	s_add_i32 s48, s48, 8
	v_cmp_eq_u32_e32 vcc, 0, v129
	s_or_b64 s[4:5], vcc, s[4:5]
	s_waitcnt vmcnt(0) lgkmcnt(0)
	v_fma_f64 v[125:126], v[130:131], v[132:133], v[125:126]
	s_andn2_b64 exec, exec, s[4:5]
	s_cbranch_execnz .LBB61_273
; %bb.274:
	s_or_b64 exec, exec, s[4:5]
.LBB61_275:
	s_or_b64 exec, exec, s[12:13]
	v_mov_b32_e32 v129, 0
	ds_read_b64 v[129:130], v129 offset:264
	s_waitcnt lgkmcnt(0)
	v_mul_f64 v[125:126], v[125:126], v[129:130]
	buffer_store_dword v126, off, s[0:3], 0 offset:268
	buffer_store_dword v125, off, s[0:3], 0 offset:264
.LBB61_276:
	s_or_b64 exec, exec, s[8:9]
	buffer_load_dword v125, off, s[0:3], 0 offset:256
	buffer_load_dword v126, off, s[0:3], 0 offset:260
	v_cmp_lt_u32_e64 s[4:5], 32, v0
	s_waitcnt vmcnt(0)
	ds_write_b64 v127, v[125:126]
	s_waitcnt lgkmcnt(0)
	; wave barrier
	s_and_saveexec_b64 s[8:9], s[4:5]
	s_cbranch_execz .LBB61_286
; %bb.277:
	s_andn2_b64 vcc, exec, s[10:11]
	s_cbranch_vccnz .LBB61_279
; %bb.278:
	buffer_load_dword v125, v128, s[0:3], 0 offen
	buffer_load_dword v126, v128, s[0:3], 0 offen offset:4
	ds_read_b64 v[129:130], v127
	s_waitcnt vmcnt(0) lgkmcnt(0)
	v_mul_f64 v[125:126], v[125:126], v[129:130]
	s_cbranch_execz .LBB61_280
	s_branch .LBB61_281
.LBB61_279:
                                        ; implicit-def: $vgpr125_vgpr126
.LBB61_280:
	ds_read_b64 v[125:126], v127
.LBB61_281:
	s_and_saveexec_b64 s[12:13], s[6:7]
	s_cbranch_execz .LBB61_285
; %bb.282:
	v_subrev_u32_e32 v129, 33, v0
	s_movk_i32 s48, 0x2f8
	s_mov_b64 s[6:7], 0
.LBB61_283:                             ; =>This Inner Loop Header: Depth=1
	v_mov_b32_e32 v131, s47
	buffer_load_dword v130, v131, s[0:3], 0 offen
	s_nop 0
	buffer_load_dword v131, v131, s[0:3], 0 offen offset:4
	v_mov_b32_e32 v132, s48
	ds_read_b64 v[132:133], v132
	v_add_u32_e32 v129, -1, v129
	s_add_i32 s48, s48, 8
	s_add_i32 s47, s47, 8
	v_cmp_eq_u32_e32 vcc, 0, v129
	s_or_b64 s[6:7], vcc, s[6:7]
	s_waitcnt vmcnt(0) lgkmcnt(0)
	v_fma_f64 v[125:126], v[130:131], v[132:133], v[125:126]
	s_andn2_b64 exec, exec, s[6:7]
	s_cbranch_execnz .LBB61_283
; %bb.284:
	s_or_b64 exec, exec, s[6:7]
.LBB61_285:
	s_or_b64 exec, exec, s[12:13]
	v_mov_b32_e32 v129, 0
	ds_read_b64 v[129:130], v129 offset:256
	s_waitcnt lgkmcnt(0)
	v_mul_f64 v[125:126], v[125:126], v[129:130]
	buffer_store_dword v126, off, s[0:3], 0 offset:260
	buffer_store_dword v125, off, s[0:3], 0 offset:256
.LBB61_286:
	s_or_b64 exec, exec, s[8:9]
	buffer_load_dword v125, off, s[0:3], 0 offset:248
	buffer_load_dword v126, off, s[0:3], 0 offset:252
	v_cmp_lt_u32_e64 s[6:7], 31, v0
	s_waitcnt vmcnt(0)
	ds_write_b64 v127, v[125:126]
	s_waitcnt lgkmcnt(0)
	; wave barrier
	s_and_saveexec_b64 s[8:9], s[6:7]
	s_cbranch_execz .LBB61_296
; %bb.287:
	s_andn2_b64 vcc, exec, s[10:11]
	s_cbranch_vccnz .LBB61_289
; %bb.288:
	buffer_load_dword v125, v128, s[0:3], 0 offen
	buffer_load_dword v126, v128, s[0:3], 0 offen offset:4
	ds_read_b64 v[129:130], v127
	s_waitcnt vmcnt(0) lgkmcnt(0)
	v_mul_f64 v[125:126], v[125:126], v[129:130]
	s_cbranch_execz .LBB61_290
	s_branch .LBB61_291
.LBB61_289:
                                        ; implicit-def: $vgpr125_vgpr126
.LBB61_290:
	ds_read_b64 v[125:126], v127
.LBB61_291:
	s_and_saveexec_b64 s[12:13], s[4:5]
	s_cbranch_execz .LBB61_295
; %bb.292:
	v_subrev_u32_e32 v129, 32, v0
	s_movk_i32 s47, 0x2f0
	s_mov_b64 s[4:5], 0
.LBB61_293:                             ; =>This Inner Loop Header: Depth=1
	v_mov_b32_e32 v131, s46
	buffer_load_dword v130, v131, s[0:3], 0 offen
	s_nop 0
	buffer_load_dword v131, v131, s[0:3], 0 offen offset:4
	v_mov_b32_e32 v132, s47
	ds_read_b64 v[132:133], v132
	v_add_u32_e32 v129, -1, v129
	s_add_i32 s47, s47, 8
	s_add_i32 s46, s46, 8
	v_cmp_eq_u32_e32 vcc, 0, v129
	s_or_b64 s[4:5], vcc, s[4:5]
	s_waitcnt vmcnt(0) lgkmcnt(0)
	v_fma_f64 v[125:126], v[130:131], v[132:133], v[125:126]
	s_andn2_b64 exec, exec, s[4:5]
	s_cbranch_execnz .LBB61_293
; %bb.294:
	s_or_b64 exec, exec, s[4:5]
.LBB61_295:
	s_or_b64 exec, exec, s[12:13]
	v_mov_b32_e32 v129, 0
	ds_read_b64 v[129:130], v129 offset:248
	s_waitcnt lgkmcnt(0)
	v_mul_f64 v[125:126], v[125:126], v[129:130]
	buffer_store_dword v126, off, s[0:3], 0 offset:252
	buffer_store_dword v125, off, s[0:3], 0 offset:248
.LBB61_296:
	s_or_b64 exec, exec, s[8:9]
	buffer_load_dword v125, off, s[0:3], 0 offset:240
	buffer_load_dword v126, off, s[0:3], 0 offset:244
	v_cmp_lt_u32_e64 s[4:5], 30, v0
	s_waitcnt vmcnt(0)
	ds_write_b64 v127, v[125:126]
	s_waitcnt lgkmcnt(0)
	; wave barrier
	s_and_saveexec_b64 s[8:9], s[4:5]
	s_cbranch_execz .LBB61_306
; %bb.297:
	s_andn2_b64 vcc, exec, s[10:11]
	s_cbranch_vccnz .LBB61_299
; %bb.298:
	buffer_load_dword v125, v128, s[0:3], 0 offen
	buffer_load_dword v126, v128, s[0:3], 0 offen offset:4
	ds_read_b64 v[129:130], v127
	s_waitcnt vmcnt(0) lgkmcnt(0)
	v_mul_f64 v[125:126], v[125:126], v[129:130]
	s_cbranch_execz .LBB61_300
	s_branch .LBB61_301
.LBB61_299:
                                        ; implicit-def: $vgpr125_vgpr126
.LBB61_300:
	ds_read_b64 v[125:126], v127
.LBB61_301:
	s_and_saveexec_b64 s[12:13], s[6:7]
	s_cbranch_execz .LBB61_305
; %bb.302:
	v_subrev_u32_e32 v129, 31, v0
	s_movk_i32 s46, 0x2e8
	s_mov_b64 s[6:7], 0
.LBB61_303:                             ; =>This Inner Loop Header: Depth=1
	v_mov_b32_e32 v131, s45
	buffer_load_dword v130, v131, s[0:3], 0 offen
	s_nop 0
	buffer_load_dword v131, v131, s[0:3], 0 offen offset:4
	v_mov_b32_e32 v132, s46
	ds_read_b64 v[132:133], v132
	v_add_u32_e32 v129, -1, v129
	s_add_i32 s46, s46, 8
	s_add_i32 s45, s45, 8
	v_cmp_eq_u32_e32 vcc, 0, v129
	s_or_b64 s[6:7], vcc, s[6:7]
	s_waitcnt vmcnt(0) lgkmcnt(0)
	v_fma_f64 v[125:126], v[130:131], v[132:133], v[125:126]
	s_andn2_b64 exec, exec, s[6:7]
	s_cbranch_execnz .LBB61_303
; %bb.304:
	s_or_b64 exec, exec, s[6:7]
.LBB61_305:
	s_or_b64 exec, exec, s[12:13]
	v_mov_b32_e32 v129, 0
	ds_read_b64 v[129:130], v129 offset:240
	s_waitcnt lgkmcnt(0)
	v_mul_f64 v[125:126], v[125:126], v[129:130]
	buffer_store_dword v126, off, s[0:3], 0 offset:244
	buffer_store_dword v125, off, s[0:3], 0 offset:240
.LBB61_306:
	s_or_b64 exec, exec, s[8:9]
	buffer_load_dword v125, off, s[0:3], 0 offset:232
	buffer_load_dword v126, off, s[0:3], 0 offset:236
	v_cmp_lt_u32_e64 s[6:7], 29, v0
	s_waitcnt vmcnt(0)
	ds_write_b64 v127, v[125:126]
	s_waitcnt lgkmcnt(0)
	; wave barrier
	s_and_saveexec_b64 s[8:9], s[6:7]
	s_cbranch_execz .LBB61_316
; %bb.307:
	s_andn2_b64 vcc, exec, s[10:11]
	s_cbranch_vccnz .LBB61_309
; %bb.308:
	buffer_load_dword v125, v128, s[0:3], 0 offen
	buffer_load_dword v126, v128, s[0:3], 0 offen offset:4
	ds_read_b64 v[129:130], v127
	s_waitcnt vmcnt(0) lgkmcnt(0)
	v_mul_f64 v[125:126], v[125:126], v[129:130]
	s_cbranch_execz .LBB61_310
	s_branch .LBB61_311
.LBB61_309:
                                        ; implicit-def: $vgpr125_vgpr126
.LBB61_310:
	ds_read_b64 v[125:126], v127
.LBB61_311:
	s_and_saveexec_b64 s[12:13], s[4:5]
	s_cbranch_execz .LBB61_315
; %bb.312:
	v_subrev_u32_e32 v129, 30, v0
	s_movk_i32 s45, 0x2e0
	s_mov_b64 s[4:5], 0
.LBB61_313:                             ; =>This Inner Loop Header: Depth=1
	v_mov_b32_e32 v131, s44
	buffer_load_dword v130, v131, s[0:3], 0 offen
	s_nop 0
	buffer_load_dword v131, v131, s[0:3], 0 offen offset:4
	v_mov_b32_e32 v132, s45
	ds_read_b64 v[132:133], v132
	v_add_u32_e32 v129, -1, v129
	s_add_i32 s45, s45, 8
	s_add_i32 s44, s44, 8
	v_cmp_eq_u32_e32 vcc, 0, v129
	s_or_b64 s[4:5], vcc, s[4:5]
	s_waitcnt vmcnt(0) lgkmcnt(0)
	v_fma_f64 v[125:126], v[130:131], v[132:133], v[125:126]
	s_andn2_b64 exec, exec, s[4:5]
	s_cbranch_execnz .LBB61_313
; %bb.314:
	s_or_b64 exec, exec, s[4:5]
.LBB61_315:
	s_or_b64 exec, exec, s[12:13]
	v_mov_b32_e32 v129, 0
	ds_read_b64 v[129:130], v129 offset:232
	s_waitcnt lgkmcnt(0)
	v_mul_f64 v[125:126], v[125:126], v[129:130]
	buffer_store_dword v126, off, s[0:3], 0 offset:236
	buffer_store_dword v125, off, s[0:3], 0 offset:232
.LBB61_316:
	s_or_b64 exec, exec, s[8:9]
	buffer_load_dword v125, off, s[0:3], 0 offset:224
	buffer_load_dword v126, off, s[0:3], 0 offset:228
	v_cmp_lt_u32_e64 s[4:5], 28, v0
	s_waitcnt vmcnt(0)
	ds_write_b64 v127, v[125:126]
	s_waitcnt lgkmcnt(0)
	; wave barrier
	s_and_saveexec_b64 s[8:9], s[4:5]
	s_cbranch_execz .LBB61_326
; %bb.317:
	s_andn2_b64 vcc, exec, s[10:11]
	s_cbranch_vccnz .LBB61_319
; %bb.318:
	buffer_load_dword v125, v128, s[0:3], 0 offen
	buffer_load_dword v126, v128, s[0:3], 0 offen offset:4
	ds_read_b64 v[129:130], v127
	s_waitcnt vmcnt(0) lgkmcnt(0)
	v_mul_f64 v[125:126], v[125:126], v[129:130]
	s_cbranch_execz .LBB61_320
	s_branch .LBB61_321
.LBB61_319:
                                        ; implicit-def: $vgpr125_vgpr126
.LBB61_320:
	ds_read_b64 v[125:126], v127
.LBB61_321:
	s_and_saveexec_b64 s[12:13], s[6:7]
	s_cbranch_execz .LBB61_325
; %bb.322:
	v_subrev_u32_e32 v129, 29, v0
	s_movk_i32 s44, 0x2d8
	s_mov_b64 s[6:7], 0
.LBB61_323:                             ; =>This Inner Loop Header: Depth=1
	v_mov_b32_e32 v131, s43
	buffer_load_dword v130, v131, s[0:3], 0 offen
	s_nop 0
	buffer_load_dword v131, v131, s[0:3], 0 offen offset:4
	v_mov_b32_e32 v132, s44
	ds_read_b64 v[132:133], v132
	v_add_u32_e32 v129, -1, v129
	s_add_i32 s44, s44, 8
	s_add_i32 s43, s43, 8
	v_cmp_eq_u32_e32 vcc, 0, v129
	s_or_b64 s[6:7], vcc, s[6:7]
	s_waitcnt vmcnt(0) lgkmcnt(0)
	v_fma_f64 v[125:126], v[130:131], v[132:133], v[125:126]
	s_andn2_b64 exec, exec, s[6:7]
	s_cbranch_execnz .LBB61_323
; %bb.324:
	s_or_b64 exec, exec, s[6:7]
.LBB61_325:
	s_or_b64 exec, exec, s[12:13]
	v_mov_b32_e32 v129, 0
	ds_read_b64 v[129:130], v129 offset:224
	s_waitcnt lgkmcnt(0)
	v_mul_f64 v[125:126], v[125:126], v[129:130]
	buffer_store_dword v126, off, s[0:3], 0 offset:228
	buffer_store_dword v125, off, s[0:3], 0 offset:224
.LBB61_326:
	s_or_b64 exec, exec, s[8:9]
	buffer_load_dword v125, off, s[0:3], 0 offset:216
	buffer_load_dword v126, off, s[0:3], 0 offset:220
	v_cmp_lt_u32_e64 s[6:7], 27, v0
	s_waitcnt vmcnt(0)
	ds_write_b64 v127, v[125:126]
	s_waitcnt lgkmcnt(0)
	; wave barrier
	s_and_saveexec_b64 s[8:9], s[6:7]
	s_cbranch_execz .LBB61_336
; %bb.327:
	s_andn2_b64 vcc, exec, s[10:11]
	s_cbranch_vccnz .LBB61_329
; %bb.328:
	buffer_load_dword v125, v128, s[0:3], 0 offen
	buffer_load_dword v126, v128, s[0:3], 0 offen offset:4
	ds_read_b64 v[129:130], v127
	s_waitcnt vmcnt(0) lgkmcnt(0)
	v_mul_f64 v[125:126], v[125:126], v[129:130]
	s_cbranch_execz .LBB61_330
	s_branch .LBB61_331
.LBB61_329:
                                        ; implicit-def: $vgpr125_vgpr126
.LBB61_330:
	ds_read_b64 v[125:126], v127
.LBB61_331:
	s_and_saveexec_b64 s[12:13], s[4:5]
	s_cbranch_execz .LBB61_335
; %bb.332:
	v_subrev_u32_e32 v129, 28, v0
	s_movk_i32 s43, 0x2d0
	s_mov_b64 s[4:5], 0
.LBB61_333:                             ; =>This Inner Loop Header: Depth=1
	v_mov_b32_e32 v131, s42
	buffer_load_dword v130, v131, s[0:3], 0 offen
	s_nop 0
	buffer_load_dword v131, v131, s[0:3], 0 offen offset:4
	v_mov_b32_e32 v132, s43
	ds_read_b64 v[132:133], v132
	v_add_u32_e32 v129, -1, v129
	s_add_i32 s43, s43, 8
	s_add_i32 s42, s42, 8
	v_cmp_eq_u32_e32 vcc, 0, v129
	s_or_b64 s[4:5], vcc, s[4:5]
	s_waitcnt vmcnt(0) lgkmcnt(0)
	v_fma_f64 v[125:126], v[130:131], v[132:133], v[125:126]
	s_andn2_b64 exec, exec, s[4:5]
	s_cbranch_execnz .LBB61_333
; %bb.334:
	s_or_b64 exec, exec, s[4:5]
.LBB61_335:
	s_or_b64 exec, exec, s[12:13]
	v_mov_b32_e32 v129, 0
	ds_read_b64 v[129:130], v129 offset:216
	s_waitcnt lgkmcnt(0)
	v_mul_f64 v[125:126], v[125:126], v[129:130]
	buffer_store_dword v126, off, s[0:3], 0 offset:220
	buffer_store_dword v125, off, s[0:3], 0 offset:216
.LBB61_336:
	s_or_b64 exec, exec, s[8:9]
	buffer_load_dword v125, off, s[0:3], 0 offset:208
	buffer_load_dword v126, off, s[0:3], 0 offset:212
	v_cmp_lt_u32_e64 s[4:5], 26, v0
	s_waitcnt vmcnt(0)
	ds_write_b64 v127, v[125:126]
	s_waitcnt lgkmcnt(0)
	; wave barrier
	s_and_saveexec_b64 s[8:9], s[4:5]
	s_cbranch_execz .LBB61_346
; %bb.337:
	s_andn2_b64 vcc, exec, s[10:11]
	s_cbranch_vccnz .LBB61_339
; %bb.338:
	buffer_load_dword v125, v128, s[0:3], 0 offen
	buffer_load_dword v126, v128, s[0:3], 0 offen offset:4
	ds_read_b64 v[129:130], v127
	s_waitcnt vmcnt(0) lgkmcnt(0)
	v_mul_f64 v[125:126], v[125:126], v[129:130]
	s_cbranch_execz .LBB61_340
	s_branch .LBB61_341
.LBB61_339:
                                        ; implicit-def: $vgpr125_vgpr126
.LBB61_340:
	ds_read_b64 v[125:126], v127
.LBB61_341:
	s_and_saveexec_b64 s[12:13], s[6:7]
	s_cbranch_execz .LBB61_345
; %bb.342:
	v_subrev_u32_e32 v129, 27, v0
	s_movk_i32 s42, 0x2c8
	s_mov_b64 s[6:7], 0
.LBB61_343:                             ; =>This Inner Loop Header: Depth=1
	v_mov_b32_e32 v131, s41
	buffer_load_dword v130, v131, s[0:3], 0 offen
	s_nop 0
	buffer_load_dword v131, v131, s[0:3], 0 offen offset:4
	v_mov_b32_e32 v132, s42
	ds_read_b64 v[132:133], v132
	v_add_u32_e32 v129, -1, v129
	s_add_i32 s42, s42, 8
	s_add_i32 s41, s41, 8
	v_cmp_eq_u32_e32 vcc, 0, v129
	s_or_b64 s[6:7], vcc, s[6:7]
	s_waitcnt vmcnt(0) lgkmcnt(0)
	v_fma_f64 v[125:126], v[130:131], v[132:133], v[125:126]
	s_andn2_b64 exec, exec, s[6:7]
	s_cbranch_execnz .LBB61_343
; %bb.344:
	s_or_b64 exec, exec, s[6:7]
.LBB61_345:
	s_or_b64 exec, exec, s[12:13]
	v_mov_b32_e32 v129, 0
	ds_read_b64 v[129:130], v129 offset:208
	s_waitcnt lgkmcnt(0)
	v_mul_f64 v[125:126], v[125:126], v[129:130]
	buffer_store_dword v126, off, s[0:3], 0 offset:212
	buffer_store_dword v125, off, s[0:3], 0 offset:208
.LBB61_346:
	s_or_b64 exec, exec, s[8:9]
	buffer_load_dword v125, off, s[0:3], 0 offset:200
	buffer_load_dword v126, off, s[0:3], 0 offset:204
	v_cmp_lt_u32_e64 s[6:7], 25, v0
	s_waitcnt vmcnt(0)
	ds_write_b64 v127, v[125:126]
	s_waitcnt lgkmcnt(0)
	; wave barrier
	s_and_saveexec_b64 s[8:9], s[6:7]
	s_cbranch_execz .LBB61_356
; %bb.347:
	s_andn2_b64 vcc, exec, s[10:11]
	s_cbranch_vccnz .LBB61_349
; %bb.348:
	buffer_load_dword v125, v128, s[0:3], 0 offen
	buffer_load_dword v126, v128, s[0:3], 0 offen offset:4
	ds_read_b64 v[129:130], v127
	s_waitcnt vmcnt(0) lgkmcnt(0)
	v_mul_f64 v[125:126], v[125:126], v[129:130]
	s_cbranch_execz .LBB61_350
	s_branch .LBB61_351
.LBB61_349:
                                        ; implicit-def: $vgpr125_vgpr126
.LBB61_350:
	ds_read_b64 v[125:126], v127
.LBB61_351:
	s_and_saveexec_b64 s[12:13], s[4:5]
	s_cbranch_execz .LBB61_355
; %bb.352:
	v_subrev_u32_e32 v129, 26, v0
	s_movk_i32 s41, 0x2c0
	s_mov_b64 s[4:5], 0
.LBB61_353:                             ; =>This Inner Loop Header: Depth=1
	v_mov_b32_e32 v131, s40
	buffer_load_dword v130, v131, s[0:3], 0 offen
	s_nop 0
	buffer_load_dword v131, v131, s[0:3], 0 offen offset:4
	v_mov_b32_e32 v132, s41
	ds_read_b64 v[132:133], v132
	v_add_u32_e32 v129, -1, v129
	s_add_i32 s41, s41, 8
	s_add_i32 s40, s40, 8
	v_cmp_eq_u32_e32 vcc, 0, v129
	s_or_b64 s[4:5], vcc, s[4:5]
	s_waitcnt vmcnt(0) lgkmcnt(0)
	v_fma_f64 v[125:126], v[130:131], v[132:133], v[125:126]
	s_andn2_b64 exec, exec, s[4:5]
	s_cbranch_execnz .LBB61_353
; %bb.354:
	s_or_b64 exec, exec, s[4:5]
.LBB61_355:
	s_or_b64 exec, exec, s[12:13]
	v_mov_b32_e32 v129, 0
	ds_read_b64 v[129:130], v129 offset:200
	s_waitcnt lgkmcnt(0)
	v_mul_f64 v[125:126], v[125:126], v[129:130]
	buffer_store_dword v126, off, s[0:3], 0 offset:204
	buffer_store_dword v125, off, s[0:3], 0 offset:200
.LBB61_356:
	s_or_b64 exec, exec, s[8:9]
	buffer_load_dword v125, off, s[0:3], 0 offset:192
	buffer_load_dword v126, off, s[0:3], 0 offset:196
	v_cmp_lt_u32_e64 s[4:5], 24, v0
	s_waitcnt vmcnt(0)
	ds_write_b64 v127, v[125:126]
	s_waitcnt lgkmcnt(0)
	; wave barrier
	s_and_saveexec_b64 s[8:9], s[4:5]
	s_cbranch_execz .LBB61_366
; %bb.357:
	s_andn2_b64 vcc, exec, s[10:11]
	s_cbranch_vccnz .LBB61_359
; %bb.358:
	buffer_load_dword v125, v128, s[0:3], 0 offen
	buffer_load_dword v126, v128, s[0:3], 0 offen offset:4
	ds_read_b64 v[129:130], v127
	s_waitcnt vmcnt(0) lgkmcnt(0)
	v_mul_f64 v[125:126], v[125:126], v[129:130]
	s_cbranch_execz .LBB61_360
	s_branch .LBB61_361
.LBB61_359:
                                        ; implicit-def: $vgpr125_vgpr126
.LBB61_360:
	ds_read_b64 v[125:126], v127
.LBB61_361:
	s_and_saveexec_b64 s[12:13], s[6:7]
	s_cbranch_execz .LBB61_365
; %bb.362:
	v_subrev_u32_e32 v129, 25, v0
	s_movk_i32 s40, 0x2b8
	s_mov_b64 s[6:7], 0
.LBB61_363:                             ; =>This Inner Loop Header: Depth=1
	v_mov_b32_e32 v131, s39
	buffer_load_dword v130, v131, s[0:3], 0 offen
	s_nop 0
	buffer_load_dword v131, v131, s[0:3], 0 offen offset:4
	v_mov_b32_e32 v132, s40
	ds_read_b64 v[132:133], v132
	v_add_u32_e32 v129, -1, v129
	s_add_i32 s40, s40, 8
	s_add_i32 s39, s39, 8
	v_cmp_eq_u32_e32 vcc, 0, v129
	s_or_b64 s[6:7], vcc, s[6:7]
	s_waitcnt vmcnt(0) lgkmcnt(0)
	v_fma_f64 v[125:126], v[130:131], v[132:133], v[125:126]
	s_andn2_b64 exec, exec, s[6:7]
	s_cbranch_execnz .LBB61_363
; %bb.364:
	s_or_b64 exec, exec, s[6:7]
.LBB61_365:
	s_or_b64 exec, exec, s[12:13]
	v_mov_b32_e32 v129, 0
	ds_read_b64 v[129:130], v129 offset:192
	s_waitcnt lgkmcnt(0)
	v_mul_f64 v[125:126], v[125:126], v[129:130]
	buffer_store_dword v126, off, s[0:3], 0 offset:196
	buffer_store_dword v125, off, s[0:3], 0 offset:192
.LBB61_366:
	s_or_b64 exec, exec, s[8:9]
	buffer_load_dword v125, off, s[0:3], 0 offset:184
	buffer_load_dword v126, off, s[0:3], 0 offset:188
	v_cmp_lt_u32_e64 s[6:7], 23, v0
	s_waitcnt vmcnt(0)
	ds_write_b64 v127, v[125:126]
	s_waitcnt lgkmcnt(0)
	; wave barrier
	s_and_saveexec_b64 s[8:9], s[6:7]
	s_cbranch_execz .LBB61_376
; %bb.367:
	s_andn2_b64 vcc, exec, s[10:11]
	s_cbranch_vccnz .LBB61_369
; %bb.368:
	buffer_load_dword v125, v128, s[0:3], 0 offen
	buffer_load_dword v126, v128, s[0:3], 0 offen offset:4
	ds_read_b64 v[129:130], v127
	s_waitcnt vmcnt(0) lgkmcnt(0)
	v_mul_f64 v[125:126], v[125:126], v[129:130]
	s_cbranch_execz .LBB61_370
	s_branch .LBB61_371
.LBB61_369:
                                        ; implicit-def: $vgpr125_vgpr126
.LBB61_370:
	ds_read_b64 v[125:126], v127
.LBB61_371:
	s_and_saveexec_b64 s[12:13], s[4:5]
	s_cbranch_execz .LBB61_375
; %bb.372:
	v_subrev_u32_e32 v129, 24, v0
	s_movk_i32 s39, 0x2b0
	s_mov_b64 s[4:5], 0
.LBB61_373:                             ; =>This Inner Loop Header: Depth=1
	v_mov_b32_e32 v131, s38
	buffer_load_dword v130, v131, s[0:3], 0 offen
	s_nop 0
	buffer_load_dword v131, v131, s[0:3], 0 offen offset:4
	v_mov_b32_e32 v132, s39
	ds_read_b64 v[132:133], v132
	v_add_u32_e32 v129, -1, v129
	s_add_i32 s39, s39, 8
	s_add_i32 s38, s38, 8
	v_cmp_eq_u32_e32 vcc, 0, v129
	s_or_b64 s[4:5], vcc, s[4:5]
	s_waitcnt vmcnt(0) lgkmcnt(0)
	v_fma_f64 v[125:126], v[130:131], v[132:133], v[125:126]
	s_andn2_b64 exec, exec, s[4:5]
	s_cbranch_execnz .LBB61_373
; %bb.374:
	s_or_b64 exec, exec, s[4:5]
.LBB61_375:
	s_or_b64 exec, exec, s[12:13]
	v_mov_b32_e32 v129, 0
	ds_read_b64 v[129:130], v129 offset:184
	s_waitcnt lgkmcnt(0)
	v_mul_f64 v[125:126], v[125:126], v[129:130]
	buffer_store_dword v126, off, s[0:3], 0 offset:188
	buffer_store_dword v125, off, s[0:3], 0 offset:184
.LBB61_376:
	s_or_b64 exec, exec, s[8:9]
	buffer_load_dword v125, off, s[0:3], 0 offset:176
	buffer_load_dword v126, off, s[0:3], 0 offset:180
	v_cmp_lt_u32_e64 s[4:5], 22, v0
	s_waitcnt vmcnt(0)
	ds_write_b64 v127, v[125:126]
	s_waitcnt lgkmcnt(0)
	; wave barrier
	s_and_saveexec_b64 s[8:9], s[4:5]
	s_cbranch_execz .LBB61_386
; %bb.377:
	s_andn2_b64 vcc, exec, s[10:11]
	s_cbranch_vccnz .LBB61_379
; %bb.378:
	buffer_load_dword v125, v128, s[0:3], 0 offen
	buffer_load_dword v126, v128, s[0:3], 0 offen offset:4
	ds_read_b64 v[129:130], v127
	s_waitcnt vmcnt(0) lgkmcnt(0)
	v_mul_f64 v[125:126], v[125:126], v[129:130]
	s_cbranch_execz .LBB61_380
	s_branch .LBB61_381
.LBB61_379:
                                        ; implicit-def: $vgpr125_vgpr126
.LBB61_380:
	ds_read_b64 v[125:126], v127
.LBB61_381:
	s_and_saveexec_b64 s[12:13], s[6:7]
	s_cbranch_execz .LBB61_385
; %bb.382:
	v_subrev_u32_e32 v129, 23, v0
	s_movk_i32 s38, 0x2a8
	s_mov_b64 s[6:7], 0
.LBB61_383:                             ; =>This Inner Loop Header: Depth=1
	v_mov_b32_e32 v131, s37
	buffer_load_dword v130, v131, s[0:3], 0 offen
	s_nop 0
	buffer_load_dword v131, v131, s[0:3], 0 offen offset:4
	v_mov_b32_e32 v132, s38
	ds_read_b64 v[132:133], v132
	v_add_u32_e32 v129, -1, v129
	s_add_i32 s38, s38, 8
	s_add_i32 s37, s37, 8
	v_cmp_eq_u32_e32 vcc, 0, v129
	s_or_b64 s[6:7], vcc, s[6:7]
	s_waitcnt vmcnt(0) lgkmcnt(0)
	v_fma_f64 v[125:126], v[130:131], v[132:133], v[125:126]
	s_andn2_b64 exec, exec, s[6:7]
	s_cbranch_execnz .LBB61_383
; %bb.384:
	s_or_b64 exec, exec, s[6:7]
.LBB61_385:
	s_or_b64 exec, exec, s[12:13]
	v_mov_b32_e32 v129, 0
	ds_read_b64 v[129:130], v129 offset:176
	s_waitcnt lgkmcnt(0)
	v_mul_f64 v[125:126], v[125:126], v[129:130]
	buffer_store_dword v126, off, s[0:3], 0 offset:180
	buffer_store_dword v125, off, s[0:3], 0 offset:176
.LBB61_386:
	s_or_b64 exec, exec, s[8:9]
	buffer_load_dword v125, off, s[0:3], 0 offset:168
	buffer_load_dword v126, off, s[0:3], 0 offset:172
	v_cmp_lt_u32_e64 s[6:7], 21, v0
	s_waitcnt vmcnt(0)
	ds_write_b64 v127, v[125:126]
	s_waitcnt lgkmcnt(0)
	; wave barrier
	s_and_saveexec_b64 s[8:9], s[6:7]
	s_cbranch_execz .LBB61_396
; %bb.387:
	s_andn2_b64 vcc, exec, s[10:11]
	s_cbranch_vccnz .LBB61_389
; %bb.388:
	buffer_load_dword v125, v128, s[0:3], 0 offen
	buffer_load_dword v126, v128, s[0:3], 0 offen offset:4
	ds_read_b64 v[129:130], v127
	s_waitcnt vmcnt(0) lgkmcnt(0)
	v_mul_f64 v[125:126], v[125:126], v[129:130]
	s_cbranch_execz .LBB61_390
	s_branch .LBB61_391
.LBB61_389:
                                        ; implicit-def: $vgpr125_vgpr126
.LBB61_390:
	ds_read_b64 v[125:126], v127
.LBB61_391:
	s_and_saveexec_b64 s[12:13], s[4:5]
	s_cbranch_execz .LBB61_395
; %bb.392:
	v_subrev_u32_e32 v129, 22, v0
	s_movk_i32 s37, 0x2a0
	s_mov_b64 s[4:5], 0
.LBB61_393:                             ; =>This Inner Loop Header: Depth=1
	v_mov_b32_e32 v131, s36
	buffer_load_dword v130, v131, s[0:3], 0 offen
	s_nop 0
	buffer_load_dword v131, v131, s[0:3], 0 offen offset:4
	v_mov_b32_e32 v132, s37
	ds_read_b64 v[132:133], v132
	v_add_u32_e32 v129, -1, v129
	s_add_i32 s37, s37, 8
	s_add_i32 s36, s36, 8
	v_cmp_eq_u32_e32 vcc, 0, v129
	s_or_b64 s[4:5], vcc, s[4:5]
	s_waitcnt vmcnt(0) lgkmcnt(0)
	v_fma_f64 v[125:126], v[130:131], v[132:133], v[125:126]
	s_andn2_b64 exec, exec, s[4:5]
	s_cbranch_execnz .LBB61_393
; %bb.394:
	s_or_b64 exec, exec, s[4:5]
.LBB61_395:
	s_or_b64 exec, exec, s[12:13]
	v_mov_b32_e32 v129, 0
	ds_read_b64 v[129:130], v129 offset:168
	s_waitcnt lgkmcnt(0)
	v_mul_f64 v[125:126], v[125:126], v[129:130]
	buffer_store_dword v126, off, s[0:3], 0 offset:172
	buffer_store_dword v125, off, s[0:3], 0 offset:168
.LBB61_396:
	s_or_b64 exec, exec, s[8:9]
	buffer_load_dword v125, off, s[0:3], 0 offset:160
	buffer_load_dword v126, off, s[0:3], 0 offset:164
	v_cmp_lt_u32_e64 s[4:5], 20, v0
	s_waitcnt vmcnt(0)
	ds_write_b64 v127, v[125:126]
	s_waitcnt lgkmcnt(0)
	; wave barrier
	s_and_saveexec_b64 s[8:9], s[4:5]
	s_cbranch_execz .LBB61_406
; %bb.397:
	s_andn2_b64 vcc, exec, s[10:11]
	s_cbranch_vccnz .LBB61_399
; %bb.398:
	buffer_load_dword v125, v128, s[0:3], 0 offen
	buffer_load_dword v126, v128, s[0:3], 0 offen offset:4
	ds_read_b64 v[129:130], v127
	s_waitcnt vmcnt(0) lgkmcnt(0)
	v_mul_f64 v[125:126], v[125:126], v[129:130]
	s_cbranch_execz .LBB61_400
	s_branch .LBB61_401
.LBB61_399:
                                        ; implicit-def: $vgpr125_vgpr126
.LBB61_400:
	ds_read_b64 v[125:126], v127
.LBB61_401:
	s_and_saveexec_b64 s[12:13], s[6:7]
	s_cbranch_execz .LBB61_405
; %bb.402:
	v_subrev_u32_e32 v129, 21, v0
	s_movk_i32 s36, 0x298
	s_mov_b64 s[6:7], 0
.LBB61_403:                             ; =>This Inner Loop Header: Depth=1
	v_mov_b32_e32 v131, s35
	buffer_load_dword v130, v131, s[0:3], 0 offen
	s_nop 0
	buffer_load_dword v131, v131, s[0:3], 0 offen offset:4
	v_mov_b32_e32 v132, s36
	ds_read_b64 v[132:133], v132
	v_add_u32_e32 v129, -1, v129
	s_add_i32 s36, s36, 8
	s_add_i32 s35, s35, 8
	v_cmp_eq_u32_e32 vcc, 0, v129
	s_or_b64 s[6:7], vcc, s[6:7]
	s_waitcnt vmcnt(0) lgkmcnt(0)
	v_fma_f64 v[125:126], v[130:131], v[132:133], v[125:126]
	s_andn2_b64 exec, exec, s[6:7]
	s_cbranch_execnz .LBB61_403
; %bb.404:
	s_or_b64 exec, exec, s[6:7]
.LBB61_405:
	s_or_b64 exec, exec, s[12:13]
	v_mov_b32_e32 v129, 0
	ds_read_b64 v[129:130], v129 offset:160
	s_waitcnt lgkmcnt(0)
	v_mul_f64 v[125:126], v[125:126], v[129:130]
	buffer_store_dword v126, off, s[0:3], 0 offset:164
	buffer_store_dword v125, off, s[0:3], 0 offset:160
.LBB61_406:
	s_or_b64 exec, exec, s[8:9]
	buffer_load_dword v125, off, s[0:3], 0 offset:152
	buffer_load_dword v126, off, s[0:3], 0 offset:156
	v_cmp_lt_u32_e64 s[6:7], 19, v0
	s_waitcnt vmcnt(0)
	ds_write_b64 v127, v[125:126]
	s_waitcnt lgkmcnt(0)
	; wave barrier
	s_and_saveexec_b64 s[8:9], s[6:7]
	s_cbranch_execz .LBB61_416
; %bb.407:
	s_andn2_b64 vcc, exec, s[10:11]
	s_cbranch_vccnz .LBB61_409
; %bb.408:
	buffer_load_dword v125, v128, s[0:3], 0 offen
	buffer_load_dword v126, v128, s[0:3], 0 offen offset:4
	ds_read_b64 v[129:130], v127
	s_waitcnt vmcnt(0) lgkmcnt(0)
	v_mul_f64 v[125:126], v[125:126], v[129:130]
	s_cbranch_execz .LBB61_410
	s_branch .LBB61_411
.LBB61_409:
                                        ; implicit-def: $vgpr125_vgpr126
.LBB61_410:
	ds_read_b64 v[125:126], v127
.LBB61_411:
	s_and_saveexec_b64 s[12:13], s[4:5]
	s_cbranch_execz .LBB61_415
; %bb.412:
	v_subrev_u32_e32 v129, 20, v0
	s_movk_i32 s35, 0x290
	s_mov_b64 s[4:5], 0
.LBB61_413:                             ; =>This Inner Loop Header: Depth=1
	v_mov_b32_e32 v131, s34
	buffer_load_dword v130, v131, s[0:3], 0 offen
	s_nop 0
	buffer_load_dword v131, v131, s[0:3], 0 offen offset:4
	v_mov_b32_e32 v132, s35
	ds_read_b64 v[132:133], v132
	v_add_u32_e32 v129, -1, v129
	s_add_i32 s35, s35, 8
	s_add_i32 s34, s34, 8
	v_cmp_eq_u32_e32 vcc, 0, v129
	s_or_b64 s[4:5], vcc, s[4:5]
	s_waitcnt vmcnt(0) lgkmcnt(0)
	v_fma_f64 v[125:126], v[130:131], v[132:133], v[125:126]
	s_andn2_b64 exec, exec, s[4:5]
	s_cbranch_execnz .LBB61_413
; %bb.414:
	s_or_b64 exec, exec, s[4:5]
.LBB61_415:
	s_or_b64 exec, exec, s[12:13]
	v_mov_b32_e32 v129, 0
	ds_read_b64 v[129:130], v129 offset:152
	s_waitcnt lgkmcnt(0)
	v_mul_f64 v[125:126], v[125:126], v[129:130]
	buffer_store_dword v126, off, s[0:3], 0 offset:156
	buffer_store_dword v125, off, s[0:3], 0 offset:152
.LBB61_416:
	s_or_b64 exec, exec, s[8:9]
	buffer_load_dword v125, off, s[0:3], 0 offset:144
	buffer_load_dword v126, off, s[0:3], 0 offset:148
	v_cmp_lt_u32_e64 s[4:5], 18, v0
	s_waitcnt vmcnt(0)
	ds_write_b64 v127, v[125:126]
	s_waitcnt lgkmcnt(0)
	; wave barrier
	s_and_saveexec_b64 s[8:9], s[4:5]
	s_cbranch_execz .LBB61_426
; %bb.417:
	s_andn2_b64 vcc, exec, s[10:11]
	s_cbranch_vccnz .LBB61_419
; %bb.418:
	buffer_load_dword v125, v128, s[0:3], 0 offen
	buffer_load_dword v126, v128, s[0:3], 0 offen offset:4
	ds_read_b64 v[129:130], v127
	s_waitcnt vmcnt(0) lgkmcnt(0)
	v_mul_f64 v[125:126], v[125:126], v[129:130]
	s_cbranch_execz .LBB61_420
	s_branch .LBB61_421
.LBB61_419:
                                        ; implicit-def: $vgpr125_vgpr126
.LBB61_420:
	ds_read_b64 v[125:126], v127
.LBB61_421:
	s_and_saveexec_b64 s[12:13], s[6:7]
	s_cbranch_execz .LBB61_425
; %bb.422:
	v_subrev_u32_e32 v129, 19, v0
	s_movk_i32 s34, 0x288
	s_mov_b64 s[6:7], 0
.LBB61_423:                             ; =>This Inner Loop Header: Depth=1
	v_mov_b32_e32 v131, s33
	buffer_load_dword v130, v131, s[0:3], 0 offen
	s_nop 0
	buffer_load_dword v131, v131, s[0:3], 0 offen offset:4
	v_mov_b32_e32 v132, s34
	ds_read_b64 v[132:133], v132
	v_add_u32_e32 v129, -1, v129
	s_add_i32 s34, s34, 8
	s_add_i32 s33, s33, 8
	v_cmp_eq_u32_e32 vcc, 0, v129
	s_or_b64 s[6:7], vcc, s[6:7]
	s_waitcnt vmcnt(0) lgkmcnt(0)
	v_fma_f64 v[125:126], v[130:131], v[132:133], v[125:126]
	s_andn2_b64 exec, exec, s[6:7]
	s_cbranch_execnz .LBB61_423
; %bb.424:
	s_or_b64 exec, exec, s[6:7]
.LBB61_425:
	s_or_b64 exec, exec, s[12:13]
	v_mov_b32_e32 v129, 0
	ds_read_b64 v[129:130], v129 offset:144
	s_waitcnt lgkmcnt(0)
	v_mul_f64 v[125:126], v[125:126], v[129:130]
	buffer_store_dword v126, off, s[0:3], 0 offset:148
	buffer_store_dword v125, off, s[0:3], 0 offset:144
.LBB61_426:
	s_or_b64 exec, exec, s[8:9]
	buffer_load_dword v125, off, s[0:3], 0 offset:136
	buffer_load_dword v126, off, s[0:3], 0 offset:140
	v_cmp_lt_u32_e64 s[6:7], 17, v0
	s_waitcnt vmcnt(0)
	ds_write_b64 v127, v[125:126]
	s_waitcnt lgkmcnt(0)
	; wave barrier
	s_and_saveexec_b64 s[8:9], s[6:7]
	s_cbranch_execz .LBB61_436
; %bb.427:
	s_andn2_b64 vcc, exec, s[10:11]
	s_cbranch_vccnz .LBB61_429
; %bb.428:
	buffer_load_dword v125, v128, s[0:3], 0 offen
	buffer_load_dword v126, v128, s[0:3], 0 offen offset:4
	ds_read_b64 v[129:130], v127
	s_waitcnt vmcnt(0) lgkmcnt(0)
	v_mul_f64 v[125:126], v[125:126], v[129:130]
	s_cbranch_execz .LBB61_430
	s_branch .LBB61_431
.LBB61_429:
                                        ; implicit-def: $vgpr125_vgpr126
.LBB61_430:
	ds_read_b64 v[125:126], v127
.LBB61_431:
	s_and_saveexec_b64 s[12:13], s[4:5]
	s_cbranch_execz .LBB61_435
; %bb.432:
	v_subrev_u32_e32 v129, 18, v0
	s_movk_i32 s33, 0x280
	s_mov_b64 s[4:5], 0
.LBB61_433:                             ; =>This Inner Loop Header: Depth=1
	v_mov_b32_e32 v131, s31
	buffer_load_dword v130, v131, s[0:3], 0 offen
	s_nop 0
	buffer_load_dword v131, v131, s[0:3], 0 offen offset:4
	v_mov_b32_e32 v132, s33
	ds_read_b64 v[132:133], v132
	v_add_u32_e32 v129, -1, v129
	s_add_i32 s33, s33, 8
	s_add_i32 s31, s31, 8
	v_cmp_eq_u32_e32 vcc, 0, v129
	s_or_b64 s[4:5], vcc, s[4:5]
	s_waitcnt vmcnt(0) lgkmcnt(0)
	v_fma_f64 v[125:126], v[130:131], v[132:133], v[125:126]
	s_andn2_b64 exec, exec, s[4:5]
	s_cbranch_execnz .LBB61_433
; %bb.434:
	s_or_b64 exec, exec, s[4:5]
.LBB61_435:
	s_or_b64 exec, exec, s[12:13]
	v_mov_b32_e32 v129, 0
	ds_read_b64 v[129:130], v129 offset:136
	s_waitcnt lgkmcnt(0)
	v_mul_f64 v[125:126], v[125:126], v[129:130]
	buffer_store_dword v126, off, s[0:3], 0 offset:140
	buffer_store_dword v125, off, s[0:3], 0 offset:136
.LBB61_436:
	s_or_b64 exec, exec, s[8:9]
	buffer_load_dword v125, off, s[0:3], 0 offset:128
	buffer_load_dword v126, off, s[0:3], 0 offset:132
	v_cmp_lt_u32_e64 s[4:5], 16, v0
	s_waitcnt vmcnt(0)
	ds_write_b64 v127, v[125:126]
	s_waitcnt lgkmcnt(0)
	; wave barrier
	s_and_saveexec_b64 s[8:9], s[4:5]
	s_cbranch_execz .LBB61_446
; %bb.437:
	s_andn2_b64 vcc, exec, s[10:11]
	s_cbranch_vccnz .LBB61_439
; %bb.438:
	buffer_load_dword v125, v128, s[0:3], 0 offen
	buffer_load_dword v126, v128, s[0:3], 0 offen offset:4
	ds_read_b64 v[129:130], v127
	s_waitcnt vmcnt(0) lgkmcnt(0)
	v_mul_f64 v[125:126], v[125:126], v[129:130]
	s_cbranch_execz .LBB61_440
	s_branch .LBB61_441
.LBB61_439:
                                        ; implicit-def: $vgpr125_vgpr126
.LBB61_440:
	ds_read_b64 v[125:126], v127
.LBB61_441:
	s_and_saveexec_b64 s[12:13], s[6:7]
	s_cbranch_execz .LBB61_445
; %bb.442:
	v_subrev_u32_e32 v129, 17, v0
	s_movk_i32 s31, 0x278
	s_mov_b64 s[6:7], 0
.LBB61_443:                             ; =>This Inner Loop Header: Depth=1
	v_mov_b32_e32 v131, s30
	buffer_load_dword v130, v131, s[0:3], 0 offen
	s_nop 0
	buffer_load_dword v131, v131, s[0:3], 0 offen offset:4
	v_mov_b32_e32 v132, s31
	ds_read_b64 v[132:133], v132
	v_add_u32_e32 v129, -1, v129
	s_add_i32 s31, s31, 8
	s_add_i32 s30, s30, 8
	v_cmp_eq_u32_e32 vcc, 0, v129
	s_or_b64 s[6:7], vcc, s[6:7]
	s_waitcnt vmcnt(0) lgkmcnt(0)
	v_fma_f64 v[125:126], v[130:131], v[132:133], v[125:126]
	s_andn2_b64 exec, exec, s[6:7]
	s_cbranch_execnz .LBB61_443
; %bb.444:
	s_or_b64 exec, exec, s[6:7]
.LBB61_445:
	s_or_b64 exec, exec, s[12:13]
	v_mov_b32_e32 v129, 0
	ds_read_b64 v[129:130], v129 offset:128
	s_waitcnt lgkmcnt(0)
	v_mul_f64 v[125:126], v[125:126], v[129:130]
	buffer_store_dword v126, off, s[0:3], 0 offset:132
	buffer_store_dword v125, off, s[0:3], 0 offset:128
.LBB61_446:
	s_or_b64 exec, exec, s[8:9]
	buffer_load_dword v125, off, s[0:3], 0 offset:120
	buffer_load_dword v126, off, s[0:3], 0 offset:124
	v_cmp_lt_u32_e64 s[6:7], 15, v0
	s_waitcnt vmcnt(0)
	ds_write_b64 v127, v[125:126]
	s_waitcnt lgkmcnt(0)
	; wave barrier
	s_and_saveexec_b64 s[8:9], s[6:7]
	s_cbranch_execz .LBB61_456
; %bb.447:
	s_andn2_b64 vcc, exec, s[10:11]
	s_cbranch_vccnz .LBB61_449
; %bb.448:
	buffer_load_dword v125, v128, s[0:3], 0 offen
	buffer_load_dword v126, v128, s[0:3], 0 offen offset:4
	ds_read_b64 v[129:130], v127
	s_waitcnt vmcnt(0) lgkmcnt(0)
	v_mul_f64 v[125:126], v[125:126], v[129:130]
	s_cbranch_execz .LBB61_450
	s_branch .LBB61_451
.LBB61_449:
                                        ; implicit-def: $vgpr125_vgpr126
.LBB61_450:
	ds_read_b64 v[125:126], v127
.LBB61_451:
	s_and_saveexec_b64 s[12:13], s[4:5]
	s_cbranch_execz .LBB61_455
; %bb.452:
	v_add_u32_e32 v129, -16, v0
	s_movk_i32 s30, 0x270
	s_mov_b64 s[4:5], 0
.LBB61_453:                             ; =>This Inner Loop Header: Depth=1
	v_mov_b32_e32 v131, s29
	buffer_load_dword v130, v131, s[0:3], 0 offen
	s_nop 0
	buffer_load_dword v131, v131, s[0:3], 0 offen offset:4
	v_mov_b32_e32 v132, s30
	ds_read_b64 v[132:133], v132
	v_add_u32_e32 v129, -1, v129
	s_add_i32 s30, s30, 8
	s_add_i32 s29, s29, 8
	v_cmp_eq_u32_e32 vcc, 0, v129
	s_or_b64 s[4:5], vcc, s[4:5]
	s_waitcnt vmcnt(0) lgkmcnt(0)
	v_fma_f64 v[125:126], v[130:131], v[132:133], v[125:126]
	s_andn2_b64 exec, exec, s[4:5]
	s_cbranch_execnz .LBB61_453
; %bb.454:
	s_or_b64 exec, exec, s[4:5]
.LBB61_455:
	s_or_b64 exec, exec, s[12:13]
	v_mov_b32_e32 v129, 0
	ds_read_b64 v[129:130], v129 offset:120
	s_waitcnt lgkmcnt(0)
	v_mul_f64 v[125:126], v[125:126], v[129:130]
	buffer_store_dword v126, off, s[0:3], 0 offset:124
	buffer_store_dword v125, off, s[0:3], 0 offset:120
.LBB61_456:
	s_or_b64 exec, exec, s[8:9]
	buffer_load_dword v125, off, s[0:3], 0 offset:112
	buffer_load_dword v126, off, s[0:3], 0 offset:116
	v_cmp_lt_u32_e64 s[4:5], 14, v0
	s_waitcnt vmcnt(0)
	ds_write_b64 v127, v[125:126]
	s_waitcnt lgkmcnt(0)
	; wave barrier
	s_and_saveexec_b64 s[8:9], s[4:5]
	s_cbranch_execz .LBB61_466
; %bb.457:
	s_andn2_b64 vcc, exec, s[10:11]
	s_cbranch_vccnz .LBB61_459
; %bb.458:
	buffer_load_dword v125, v128, s[0:3], 0 offen
	buffer_load_dword v126, v128, s[0:3], 0 offen offset:4
	ds_read_b64 v[129:130], v127
	s_waitcnt vmcnt(0) lgkmcnt(0)
	v_mul_f64 v[125:126], v[125:126], v[129:130]
	s_cbranch_execz .LBB61_460
	s_branch .LBB61_461
.LBB61_459:
                                        ; implicit-def: $vgpr125_vgpr126
.LBB61_460:
	ds_read_b64 v[125:126], v127
.LBB61_461:
	s_and_saveexec_b64 s[12:13], s[6:7]
	s_cbranch_execz .LBB61_465
; %bb.462:
	v_add_u32_e32 v129, -15, v0
	s_movk_i32 s29, 0x268
	s_mov_b64 s[6:7], 0
.LBB61_463:                             ; =>This Inner Loop Header: Depth=1
	v_mov_b32_e32 v131, s28
	buffer_load_dword v130, v131, s[0:3], 0 offen
	s_nop 0
	buffer_load_dword v131, v131, s[0:3], 0 offen offset:4
	v_mov_b32_e32 v132, s29
	ds_read_b64 v[132:133], v132
	v_add_u32_e32 v129, -1, v129
	s_add_i32 s29, s29, 8
	s_add_i32 s28, s28, 8
	v_cmp_eq_u32_e32 vcc, 0, v129
	s_or_b64 s[6:7], vcc, s[6:7]
	s_waitcnt vmcnt(0) lgkmcnt(0)
	v_fma_f64 v[125:126], v[130:131], v[132:133], v[125:126]
	s_andn2_b64 exec, exec, s[6:7]
	s_cbranch_execnz .LBB61_463
; %bb.464:
	s_or_b64 exec, exec, s[6:7]
.LBB61_465:
	s_or_b64 exec, exec, s[12:13]
	v_mov_b32_e32 v129, 0
	ds_read_b64 v[129:130], v129 offset:112
	s_waitcnt lgkmcnt(0)
	v_mul_f64 v[125:126], v[125:126], v[129:130]
	buffer_store_dword v126, off, s[0:3], 0 offset:116
	buffer_store_dword v125, off, s[0:3], 0 offset:112
.LBB61_466:
	;; [unrolled: 59-line block ×15, first 2 shown]
	s_or_b64 exec, exec, s[8:9]
	buffer_load_dword v125, off, s[0:3], 0
	buffer_load_dword v126, off, s[0:3], 0 offset:4
	v_cmp_ne_u32_e32 vcc, 0, v0
	s_waitcnt vmcnt(0)
	ds_write_b64 v127, v[125:126]
	s_waitcnt lgkmcnt(0)
	; wave barrier
	s_and_saveexec_b64 s[4:5], vcc
	s_cbranch_execz .LBB61_606
; %bb.597:
	s_andn2_b64 vcc, exec, s[10:11]
	s_cbranch_vccnz .LBB61_599
; %bb.598:
	buffer_load_dword v125, v128, s[0:3], 0 offen
	buffer_load_dword v126, v128, s[0:3], 0 offen offset:4
	ds_read_b64 v[129:130], v127
	s_waitcnt vmcnt(0) lgkmcnt(0)
	v_mul_f64 v[125:126], v[125:126], v[129:130]
	s_cbranch_execz .LBB61_600
	s_branch .LBB61_601
.LBB61_599:
                                        ; implicit-def: $vgpr125_vgpr126
.LBB61_600:
	ds_read_b64 v[125:126], v127
.LBB61_601:
	s_and_saveexec_b64 s[8:9], s[6:7]
	s_cbranch_execz .LBB61_605
; %bb.602:
	v_add_u32_e32 v129, -1, v0
	s_movk_i32 s12, 0x1f8
	s_mov_b64 s[6:7], 0
.LBB61_603:                             ; =>This Inner Loop Header: Depth=1
	v_mov_b32_e32 v131, s14
	buffer_load_dword v130, v131, s[0:3], 0 offen
	s_nop 0
	buffer_load_dword v131, v131, s[0:3], 0 offen offset:4
	v_mov_b32_e32 v132, s12
	ds_read_b64 v[132:133], v132
	v_add_u32_e32 v129, -1, v129
	s_add_i32 s12, s12, 8
	s_add_i32 s14, s14, 8
	v_cmp_eq_u32_e32 vcc, 0, v129
	s_or_b64 s[6:7], vcc, s[6:7]
	s_waitcnt vmcnt(0) lgkmcnt(0)
	v_fma_f64 v[125:126], v[130:131], v[132:133], v[125:126]
	s_andn2_b64 exec, exec, s[6:7]
	s_cbranch_execnz .LBB61_603
; %bb.604:
	s_or_b64 exec, exec, s[6:7]
.LBB61_605:
	s_or_b64 exec, exec, s[8:9]
	v_mov_b32_e32 v129, 0
	ds_read_b64 v[129:130], v129
	s_waitcnt lgkmcnt(0)
	v_mul_f64 v[125:126], v[125:126], v[129:130]
	buffer_store_dword v126, off, s[0:3], 0 offset:4
	buffer_store_dword v125, off, s[0:3], 0
.LBB61_606:
	s_or_b64 exec, exec, s[4:5]
	s_mov_b64 s[4:5], 0
.LBB61_607:
	s_and_b64 vcc, exec, s[4:5]
	s_cbranch_vccz .LBB61_1209
; %bb.608:
	buffer_load_dword v125, off, s[0:3], 0 offset:8
	buffer_load_dword v126, off, s[0:3], 0 offset:12
	v_cmp_eq_u32_e64 s[6:7], 0, v0
	s_waitcnt vmcnt(0)
	ds_write_b64 v127, v[125:126]
	s_waitcnt lgkmcnt(0)
	; wave barrier
	s_and_saveexec_b64 s[4:5], s[6:7]
	s_cbranch_execz .LBB61_614
; %bb.609:
	s_and_b64 vcc, exec, s[10:11]
	s_cbranch_vccz .LBB61_611
; %bb.610:
	buffer_load_dword v125, v128, s[0:3], 0 offen
	buffer_load_dword v126, v128, s[0:3], 0 offen offset:4
	ds_read_b64 v[129:130], v127
	s_waitcnt vmcnt(0) lgkmcnt(0)
	v_mul_f64 v[125:126], v[125:126], v[129:130]
	s_cbranch_execz .LBB61_612
	s_branch .LBB61_613
.LBB61_611:
                                        ; implicit-def: $vgpr125_vgpr126
.LBB61_612:
	ds_read_b64 v[125:126], v127
.LBB61_613:
	v_mov_b32_e32 v129, 0
	ds_read_b64 v[129:130], v129 offset:8
	s_waitcnt lgkmcnt(0)
	v_mul_f64 v[125:126], v[125:126], v[129:130]
	buffer_store_dword v126, off, s[0:3], 0 offset:12
	buffer_store_dword v125, off, s[0:3], 0 offset:8
.LBB61_614:
	s_or_b64 exec, exec, s[4:5]
	buffer_load_dword v125, off, s[0:3], 0 offset:16
	buffer_load_dword v126, off, s[0:3], 0 offset:20
	v_cndmask_b32_e64 v129, 0, 1, s[10:11]
	v_cmp_gt_u32_e32 vcc, 2, v0
	v_cmp_ne_u32_e64 s[4:5], 1, v129
	s_waitcnt vmcnt(0)
	ds_write_b64 v127, v[125:126]
	s_waitcnt lgkmcnt(0)
	; wave barrier
	s_and_saveexec_b64 s[8:9], vcc
	s_cbranch_execz .LBB61_620
; %bb.615:
	s_and_b64 vcc, exec, s[4:5]
	s_cbranch_vccnz .LBB61_617
; %bb.616:
	buffer_load_dword v125, v128, s[0:3], 0 offen
	buffer_load_dword v126, v128, s[0:3], 0 offen offset:4
	ds_read_b64 v[129:130], v127
	s_waitcnt vmcnt(0) lgkmcnt(0)
	v_mul_f64 v[125:126], v[125:126], v[129:130]
	s_cbranch_execz .LBB61_618
	s_branch .LBB61_619
.LBB61_617:
                                        ; implicit-def: $vgpr125_vgpr126
.LBB61_618:
	ds_read_b64 v[125:126], v127
.LBB61_619:
	buffer_load_dword v133, off, s[0:3], 0 offset:8
	buffer_load_dword v134, off, s[0:3], 0 offset:12
	v_mov_b32_e32 v129, 0
	ds_read2_b64 v[129:132], v129 offset0:2 offset1:63
	s_waitcnt vmcnt(0) lgkmcnt(0)
	v_fma_f64 v[131:132], v[133:134], v[131:132], v[125:126]
	v_cndmask_b32_e64 v126, v126, v132, s[6:7]
	v_cndmask_b32_e64 v125, v125, v131, s[6:7]
	v_mul_f64 v[125:126], v[125:126], v[129:130]
	buffer_store_dword v126, off, s[0:3], 0 offset:20
	buffer_store_dword v125, off, s[0:3], 0 offset:16
.LBB61_620:
	s_or_b64 exec, exec, s[8:9]
	buffer_load_dword v125, off, s[0:3], 0 offset:24
	buffer_load_dword v126, off, s[0:3], 0 offset:28
	v_cmp_gt_u32_e32 vcc, 3, v0
	s_waitcnt vmcnt(0)
	ds_write_b64 v127, v[125:126]
	s_waitcnt lgkmcnt(0)
	; wave barrier
	s_and_saveexec_b64 s[8:9], vcc
	s_cbranch_execz .LBB61_628
; %bb.621:
	s_and_b64 vcc, exec, s[4:5]
	s_cbranch_vccnz .LBB61_623
; %bb.622:
	buffer_load_dword v125, v128, s[0:3], 0 offen
	buffer_load_dword v126, v128, s[0:3], 0 offen offset:4
	ds_read_b64 v[129:130], v127
	s_waitcnt vmcnt(0) lgkmcnt(0)
	v_mul_f64 v[125:126], v[125:126], v[129:130]
	s_cbranch_execz .LBB61_624
	s_branch .LBB61_625
.LBB61_623:
                                        ; implicit-def: $vgpr125_vgpr126
.LBB61_624:
	ds_read_b64 v[125:126], v127
.LBB61_625:
	v_cmp_ne_u32_e32 vcc, 2, v0
	s_and_saveexec_b64 s[10:11], vcc
	s_cbranch_execz .LBB61_627
; %bb.626:
	buffer_load_dword v129, v128, s[0:3], 0 offen offset:8
	buffer_load_dword v130, v128, s[0:3], 0 offen offset:12
	buffer_load_dword v131, off, s[0:3], 0 offset:16
	buffer_load_dword v132, off, s[0:3], 0 offset:20
	ds_read_b64 v[133:134], v127 offset:8
	v_mov_b32_e32 v135, 0
	ds_read_b64 v[135:136], v135 offset:512
	s_waitcnt vmcnt(2) lgkmcnt(1)
	v_fma_f64 v[125:126], v[129:130], v[133:134], v[125:126]
	s_waitcnt vmcnt(0) lgkmcnt(0)
	v_fma_f64 v[129:130], v[131:132], v[135:136], v[125:126]
	v_cndmask_b32_e64 v126, v126, v130, s[6:7]
	v_cndmask_b32_e64 v125, v125, v129, s[6:7]
.LBB61_627:
	s_or_b64 exec, exec, s[10:11]
	v_mov_b32_e32 v129, 0
	ds_read_b64 v[129:130], v129 offset:24
	s_waitcnt lgkmcnt(0)
	v_mul_f64 v[125:126], v[125:126], v[129:130]
	buffer_store_dword v126, off, s[0:3], 0 offset:28
	buffer_store_dword v125, off, s[0:3], 0 offset:24
.LBB61_628:
	s_or_b64 exec, exec, s[8:9]
	buffer_load_dword v125, off, s[0:3], 0 offset:32
	buffer_load_dword v126, off, s[0:3], 0 offset:36
	v_cmp_gt_u32_e32 vcc, 4, v0
	s_waitcnt vmcnt(0)
	ds_write_b64 v127, v[125:126]
	s_waitcnt lgkmcnt(0)
	; wave barrier
	s_and_saveexec_b64 s[6:7], vcc
	s_cbranch_execz .LBB61_638
; %bb.629:
	s_and_b64 vcc, exec, s[4:5]
	s_cbranch_vccnz .LBB61_631
; %bb.630:
	buffer_load_dword v125, v128, s[0:3], 0 offen
	buffer_load_dword v126, v128, s[0:3], 0 offen offset:4
	ds_read_b64 v[129:130], v127
	s_waitcnt vmcnt(0) lgkmcnt(0)
	v_mul_f64 v[125:126], v[125:126], v[129:130]
	s_cbranch_execz .LBB61_632
	s_branch .LBB61_633
.LBB61_631:
                                        ; implicit-def: $vgpr125_vgpr126
.LBB61_632:
	ds_read_b64 v[125:126], v127
.LBB61_633:
	v_cmp_ne_u32_e32 vcc, 3, v0
	s_and_saveexec_b64 s[8:9], vcc
	s_cbranch_execz .LBB61_637
; %bb.634:
	s_mov_b32 s10, 0
	v_add_u32_e32 v129, 0x1f8, v139
	v_add3_u32 v130, v139, s10, 8
	s_mov_b64 s[10:11], 0
	v_mov_b32_e32 v131, v0
.LBB61_635:                             ; =>This Inner Loop Header: Depth=1
	buffer_load_dword v132, v130, s[0:3], 0 offen
	buffer_load_dword v133, v130, s[0:3], 0 offen offset:4
	ds_read_b64 v[134:135], v129
	v_add_u32_e32 v131, 1, v131
	v_cmp_lt_u32_e32 vcc, 2, v131
	v_add_u32_e32 v129, 8, v129
	s_or_b64 s[10:11], vcc, s[10:11]
	v_add_u32_e32 v130, 8, v130
	s_waitcnt vmcnt(0) lgkmcnt(0)
	v_fma_f64 v[125:126], v[132:133], v[134:135], v[125:126]
	s_andn2_b64 exec, exec, s[10:11]
	s_cbranch_execnz .LBB61_635
; %bb.636:
	s_or_b64 exec, exec, s[10:11]
.LBB61_637:
	s_or_b64 exec, exec, s[8:9]
	v_mov_b32_e32 v129, 0
	ds_read_b64 v[129:130], v129 offset:32
	s_waitcnt lgkmcnt(0)
	v_mul_f64 v[125:126], v[125:126], v[129:130]
	buffer_store_dword v126, off, s[0:3], 0 offset:36
	buffer_store_dword v125, off, s[0:3], 0 offset:32
.LBB61_638:
	s_or_b64 exec, exec, s[6:7]
	buffer_load_dword v125, off, s[0:3], 0 offset:40
	buffer_load_dword v126, off, s[0:3], 0 offset:44
	v_cmp_gt_u32_e32 vcc, 5, v0
	s_waitcnt vmcnt(0)
	ds_write_b64 v127, v[125:126]
	s_waitcnt lgkmcnt(0)
	; wave barrier
	s_and_saveexec_b64 s[6:7], vcc
	s_cbranch_execz .LBB61_648
; %bb.639:
	s_and_b64 vcc, exec, s[4:5]
	s_cbranch_vccnz .LBB61_641
; %bb.640:
	buffer_load_dword v125, v128, s[0:3], 0 offen
	buffer_load_dword v126, v128, s[0:3], 0 offen offset:4
	ds_read_b64 v[129:130], v127
	s_waitcnt vmcnt(0) lgkmcnt(0)
	v_mul_f64 v[125:126], v[125:126], v[129:130]
	s_cbranch_execz .LBB61_642
	s_branch .LBB61_643
.LBB61_641:
                                        ; implicit-def: $vgpr125_vgpr126
.LBB61_642:
	ds_read_b64 v[125:126], v127
.LBB61_643:
	v_cmp_ne_u32_e32 vcc, 4, v0
	s_and_saveexec_b64 s[8:9], vcc
	s_cbranch_execz .LBB61_647
; %bb.644:
	s_mov_b32 s10, 0
	v_add_u32_e32 v129, 0x1f8, v139
	v_add3_u32 v130, v139, s10, 8
	s_mov_b64 s[10:11], 0
	v_mov_b32_e32 v131, v0
.LBB61_645:                             ; =>This Inner Loop Header: Depth=1
	buffer_load_dword v132, v130, s[0:3], 0 offen
	buffer_load_dword v133, v130, s[0:3], 0 offen offset:4
	ds_read_b64 v[134:135], v129
	v_add_u32_e32 v131, 1, v131
	v_cmp_lt_u32_e32 vcc, 3, v131
	v_add_u32_e32 v129, 8, v129
	s_or_b64 s[10:11], vcc, s[10:11]
	v_add_u32_e32 v130, 8, v130
	s_waitcnt vmcnt(0) lgkmcnt(0)
	v_fma_f64 v[125:126], v[132:133], v[134:135], v[125:126]
	s_andn2_b64 exec, exec, s[10:11]
	s_cbranch_execnz .LBB61_645
; %bb.646:
	s_or_b64 exec, exec, s[10:11]
.LBB61_647:
	s_or_b64 exec, exec, s[8:9]
	v_mov_b32_e32 v129, 0
	ds_read_b64 v[129:130], v129 offset:40
	s_waitcnt lgkmcnt(0)
	v_mul_f64 v[125:126], v[125:126], v[129:130]
	buffer_store_dword v126, off, s[0:3], 0 offset:44
	buffer_store_dword v125, off, s[0:3], 0 offset:40
.LBB61_648:
	s_or_b64 exec, exec, s[6:7]
	buffer_load_dword v125, off, s[0:3], 0 offset:48
	buffer_load_dword v126, off, s[0:3], 0 offset:52
	v_cmp_gt_u32_e32 vcc, 6, v0
	s_waitcnt vmcnt(0)
	ds_write_b64 v127, v[125:126]
	s_waitcnt lgkmcnt(0)
	; wave barrier
	s_and_saveexec_b64 s[6:7], vcc
	s_cbranch_execz .LBB61_658
; %bb.649:
	s_and_b64 vcc, exec, s[4:5]
	s_cbranch_vccnz .LBB61_651
; %bb.650:
	buffer_load_dword v125, v128, s[0:3], 0 offen
	buffer_load_dword v126, v128, s[0:3], 0 offen offset:4
	ds_read_b64 v[129:130], v127
	s_waitcnt vmcnt(0) lgkmcnt(0)
	v_mul_f64 v[125:126], v[125:126], v[129:130]
	s_cbranch_execz .LBB61_652
	s_branch .LBB61_653
.LBB61_651:
                                        ; implicit-def: $vgpr125_vgpr126
.LBB61_652:
	ds_read_b64 v[125:126], v127
.LBB61_653:
	v_cmp_ne_u32_e32 vcc, 5, v0
	s_and_saveexec_b64 s[8:9], vcc
	s_cbranch_execz .LBB61_657
; %bb.654:
	s_mov_b32 s10, 0
	v_add_u32_e32 v129, 0x1f8, v139
	v_add3_u32 v130, v139, s10, 8
	s_mov_b64 s[10:11], 0
	v_mov_b32_e32 v131, v0
.LBB61_655:                             ; =>This Inner Loop Header: Depth=1
	buffer_load_dword v132, v130, s[0:3], 0 offen
	buffer_load_dword v133, v130, s[0:3], 0 offen offset:4
	ds_read_b64 v[134:135], v129
	v_add_u32_e32 v131, 1, v131
	v_cmp_lt_u32_e32 vcc, 4, v131
	v_add_u32_e32 v129, 8, v129
	s_or_b64 s[10:11], vcc, s[10:11]
	v_add_u32_e32 v130, 8, v130
	s_waitcnt vmcnt(0) lgkmcnt(0)
	v_fma_f64 v[125:126], v[132:133], v[134:135], v[125:126]
	s_andn2_b64 exec, exec, s[10:11]
	s_cbranch_execnz .LBB61_655
; %bb.656:
	s_or_b64 exec, exec, s[10:11]
.LBB61_657:
	s_or_b64 exec, exec, s[8:9]
	v_mov_b32_e32 v129, 0
	ds_read_b64 v[129:130], v129 offset:48
	s_waitcnt lgkmcnt(0)
	v_mul_f64 v[125:126], v[125:126], v[129:130]
	buffer_store_dword v126, off, s[0:3], 0 offset:52
	buffer_store_dword v125, off, s[0:3], 0 offset:48
.LBB61_658:
	s_or_b64 exec, exec, s[6:7]
	buffer_load_dword v125, off, s[0:3], 0 offset:56
	buffer_load_dword v126, off, s[0:3], 0 offset:60
	v_cmp_gt_u32_e32 vcc, 7, v0
	s_waitcnt vmcnt(0)
	ds_write_b64 v127, v[125:126]
	s_waitcnt lgkmcnt(0)
	; wave barrier
	s_and_saveexec_b64 s[6:7], vcc
	s_cbranch_execz .LBB61_668
; %bb.659:
	s_and_b64 vcc, exec, s[4:5]
	s_cbranch_vccnz .LBB61_661
; %bb.660:
	buffer_load_dword v125, v128, s[0:3], 0 offen
	buffer_load_dword v126, v128, s[0:3], 0 offen offset:4
	ds_read_b64 v[129:130], v127
	s_waitcnt vmcnt(0) lgkmcnt(0)
	v_mul_f64 v[125:126], v[125:126], v[129:130]
	s_cbranch_execz .LBB61_662
	s_branch .LBB61_663
.LBB61_661:
                                        ; implicit-def: $vgpr125_vgpr126
.LBB61_662:
	ds_read_b64 v[125:126], v127
.LBB61_663:
	v_cmp_ne_u32_e32 vcc, 6, v0
	s_and_saveexec_b64 s[8:9], vcc
	s_cbranch_execz .LBB61_667
; %bb.664:
	s_mov_b32 s10, 0
	v_add_u32_e32 v129, 0x1f8, v139
	v_add3_u32 v130, v139, s10, 8
	s_mov_b64 s[10:11], 0
	v_mov_b32_e32 v131, v0
.LBB61_665:                             ; =>This Inner Loop Header: Depth=1
	buffer_load_dword v132, v130, s[0:3], 0 offen
	buffer_load_dword v133, v130, s[0:3], 0 offen offset:4
	ds_read_b64 v[134:135], v129
	v_add_u32_e32 v131, 1, v131
	v_cmp_lt_u32_e32 vcc, 5, v131
	v_add_u32_e32 v129, 8, v129
	s_or_b64 s[10:11], vcc, s[10:11]
	v_add_u32_e32 v130, 8, v130
	s_waitcnt vmcnt(0) lgkmcnt(0)
	v_fma_f64 v[125:126], v[132:133], v[134:135], v[125:126]
	s_andn2_b64 exec, exec, s[10:11]
	s_cbranch_execnz .LBB61_665
; %bb.666:
	s_or_b64 exec, exec, s[10:11]
.LBB61_667:
	s_or_b64 exec, exec, s[8:9]
	v_mov_b32_e32 v129, 0
	ds_read_b64 v[129:130], v129 offset:56
	s_waitcnt lgkmcnt(0)
	v_mul_f64 v[125:126], v[125:126], v[129:130]
	buffer_store_dword v126, off, s[0:3], 0 offset:60
	buffer_store_dword v125, off, s[0:3], 0 offset:56
.LBB61_668:
	s_or_b64 exec, exec, s[6:7]
	buffer_load_dword v125, off, s[0:3], 0 offset:64
	buffer_load_dword v126, off, s[0:3], 0 offset:68
	v_cmp_gt_u32_e32 vcc, 8, v0
	s_waitcnt vmcnt(0)
	ds_write_b64 v127, v[125:126]
	s_waitcnt lgkmcnt(0)
	; wave barrier
	s_and_saveexec_b64 s[6:7], vcc
	s_cbranch_execz .LBB61_678
; %bb.669:
	s_and_b64 vcc, exec, s[4:5]
	s_cbranch_vccnz .LBB61_671
; %bb.670:
	buffer_load_dword v125, v128, s[0:3], 0 offen
	buffer_load_dword v126, v128, s[0:3], 0 offen offset:4
	ds_read_b64 v[129:130], v127
	s_waitcnt vmcnt(0) lgkmcnt(0)
	v_mul_f64 v[125:126], v[125:126], v[129:130]
	s_cbranch_execz .LBB61_672
	s_branch .LBB61_673
.LBB61_671:
                                        ; implicit-def: $vgpr125_vgpr126
.LBB61_672:
	ds_read_b64 v[125:126], v127
.LBB61_673:
	v_cmp_ne_u32_e32 vcc, 7, v0
	s_and_saveexec_b64 s[8:9], vcc
	s_cbranch_execz .LBB61_677
; %bb.674:
	s_mov_b32 s10, 0
	v_add_u32_e32 v129, 0x1f8, v139
	v_add3_u32 v130, v139, s10, 8
	s_mov_b64 s[10:11], 0
	v_mov_b32_e32 v131, v0
.LBB61_675:                             ; =>This Inner Loop Header: Depth=1
	buffer_load_dword v132, v130, s[0:3], 0 offen
	buffer_load_dword v133, v130, s[0:3], 0 offen offset:4
	ds_read_b64 v[134:135], v129
	v_add_u32_e32 v131, 1, v131
	v_cmp_lt_u32_e32 vcc, 6, v131
	v_add_u32_e32 v129, 8, v129
	s_or_b64 s[10:11], vcc, s[10:11]
	v_add_u32_e32 v130, 8, v130
	s_waitcnt vmcnt(0) lgkmcnt(0)
	v_fma_f64 v[125:126], v[132:133], v[134:135], v[125:126]
	s_andn2_b64 exec, exec, s[10:11]
	s_cbranch_execnz .LBB61_675
; %bb.676:
	s_or_b64 exec, exec, s[10:11]
.LBB61_677:
	s_or_b64 exec, exec, s[8:9]
	v_mov_b32_e32 v129, 0
	ds_read_b64 v[129:130], v129 offset:64
	s_waitcnt lgkmcnt(0)
	v_mul_f64 v[125:126], v[125:126], v[129:130]
	buffer_store_dword v126, off, s[0:3], 0 offset:68
	buffer_store_dword v125, off, s[0:3], 0 offset:64
.LBB61_678:
	s_or_b64 exec, exec, s[6:7]
	buffer_load_dword v125, off, s[0:3], 0 offset:72
	buffer_load_dword v126, off, s[0:3], 0 offset:76
	v_cmp_gt_u32_e32 vcc, 9, v0
	s_waitcnt vmcnt(0)
	ds_write_b64 v127, v[125:126]
	s_waitcnt lgkmcnt(0)
	; wave barrier
	s_and_saveexec_b64 s[6:7], vcc
	s_cbranch_execz .LBB61_688
; %bb.679:
	s_and_b64 vcc, exec, s[4:5]
	s_cbranch_vccnz .LBB61_681
; %bb.680:
	buffer_load_dword v125, v128, s[0:3], 0 offen
	buffer_load_dword v126, v128, s[0:3], 0 offen offset:4
	ds_read_b64 v[129:130], v127
	s_waitcnt vmcnt(0) lgkmcnt(0)
	v_mul_f64 v[125:126], v[125:126], v[129:130]
	s_cbranch_execz .LBB61_682
	s_branch .LBB61_683
.LBB61_681:
                                        ; implicit-def: $vgpr125_vgpr126
.LBB61_682:
	ds_read_b64 v[125:126], v127
.LBB61_683:
	v_cmp_ne_u32_e32 vcc, 8, v0
	s_and_saveexec_b64 s[8:9], vcc
	s_cbranch_execz .LBB61_687
; %bb.684:
	s_mov_b32 s10, 0
	v_add_u32_e32 v129, 0x1f8, v139
	v_add3_u32 v130, v139, s10, 8
	s_mov_b64 s[10:11], 0
	v_mov_b32_e32 v131, v0
.LBB61_685:                             ; =>This Inner Loop Header: Depth=1
	buffer_load_dword v132, v130, s[0:3], 0 offen
	buffer_load_dword v133, v130, s[0:3], 0 offen offset:4
	ds_read_b64 v[134:135], v129
	v_add_u32_e32 v131, 1, v131
	v_cmp_lt_u32_e32 vcc, 7, v131
	v_add_u32_e32 v129, 8, v129
	s_or_b64 s[10:11], vcc, s[10:11]
	v_add_u32_e32 v130, 8, v130
	s_waitcnt vmcnt(0) lgkmcnt(0)
	v_fma_f64 v[125:126], v[132:133], v[134:135], v[125:126]
	s_andn2_b64 exec, exec, s[10:11]
	s_cbranch_execnz .LBB61_685
; %bb.686:
	s_or_b64 exec, exec, s[10:11]
.LBB61_687:
	s_or_b64 exec, exec, s[8:9]
	v_mov_b32_e32 v129, 0
	ds_read_b64 v[129:130], v129 offset:72
	s_waitcnt lgkmcnt(0)
	v_mul_f64 v[125:126], v[125:126], v[129:130]
	buffer_store_dword v126, off, s[0:3], 0 offset:76
	buffer_store_dword v125, off, s[0:3], 0 offset:72
.LBB61_688:
	s_or_b64 exec, exec, s[6:7]
	buffer_load_dword v125, off, s[0:3], 0 offset:80
	buffer_load_dword v126, off, s[0:3], 0 offset:84
	v_cmp_gt_u32_e32 vcc, 10, v0
	s_waitcnt vmcnt(0)
	ds_write_b64 v127, v[125:126]
	s_waitcnt lgkmcnt(0)
	; wave barrier
	s_and_saveexec_b64 s[6:7], vcc
	s_cbranch_execz .LBB61_698
; %bb.689:
	s_and_b64 vcc, exec, s[4:5]
	s_cbranch_vccnz .LBB61_691
; %bb.690:
	buffer_load_dword v125, v128, s[0:3], 0 offen
	buffer_load_dword v126, v128, s[0:3], 0 offen offset:4
	ds_read_b64 v[129:130], v127
	s_waitcnt vmcnt(0) lgkmcnt(0)
	v_mul_f64 v[125:126], v[125:126], v[129:130]
	s_cbranch_execz .LBB61_692
	s_branch .LBB61_693
.LBB61_691:
                                        ; implicit-def: $vgpr125_vgpr126
.LBB61_692:
	ds_read_b64 v[125:126], v127
.LBB61_693:
	v_cmp_ne_u32_e32 vcc, 9, v0
	s_and_saveexec_b64 s[8:9], vcc
	s_cbranch_execz .LBB61_697
; %bb.694:
	s_mov_b32 s10, 0
	v_add_u32_e32 v129, 0x1f8, v139
	v_add3_u32 v130, v139, s10, 8
	s_mov_b64 s[10:11], 0
	v_mov_b32_e32 v131, v0
.LBB61_695:                             ; =>This Inner Loop Header: Depth=1
	buffer_load_dword v132, v130, s[0:3], 0 offen
	buffer_load_dword v133, v130, s[0:3], 0 offen offset:4
	ds_read_b64 v[134:135], v129
	v_add_u32_e32 v131, 1, v131
	v_cmp_lt_u32_e32 vcc, 8, v131
	v_add_u32_e32 v129, 8, v129
	s_or_b64 s[10:11], vcc, s[10:11]
	v_add_u32_e32 v130, 8, v130
	s_waitcnt vmcnt(0) lgkmcnt(0)
	v_fma_f64 v[125:126], v[132:133], v[134:135], v[125:126]
	s_andn2_b64 exec, exec, s[10:11]
	s_cbranch_execnz .LBB61_695
; %bb.696:
	s_or_b64 exec, exec, s[10:11]
.LBB61_697:
	s_or_b64 exec, exec, s[8:9]
	v_mov_b32_e32 v129, 0
	ds_read_b64 v[129:130], v129 offset:80
	s_waitcnt lgkmcnt(0)
	v_mul_f64 v[125:126], v[125:126], v[129:130]
	buffer_store_dword v126, off, s[0:3], 0 offset:84
	buffer_store_dword v125, off, s[0:3], 0 offset:80
.LBB61_698:
	s_or_b64 exec, exec, s[6:7]
	buffer_load_dword v125, off, s[0:3], 0 offset:88
	buffer_load_dword v126, off, s[0:3], 0 offset:92
	v_cmp_gt_u32_e32 vcc, 11, v0
	s_waitcnt vmcnt(0)
	ds_write_b64 v127, v[125:126]
	s_waitcnt lgkmcnt(0)
	; wave barrier
	s_and_saveexec_b64 s[6:7], vcc
	s_cbranch_execz .LBB61_708
; %bb.699:
	s_and_b64 vcc, exec, s[4:5]
	s_cbranch_vccnz .LBB61_701
; %bb.700:
	buffer_load_dword v125, v128, s[0:3], 0 offen
	buffer_load_dword v126, v128, s[0:3], 0 offen offset:4
	ds_read_b64 v[129:130], v127
	s_waitcnt vmcnt(0) lgkmcnt(0)
	v_mul_f64 v[125:126], v[125:126], v[129:130]
	s_cbranch_execz .LBB61_702
	s_branch .LBB61_703
.LBB61_701:
                                        ; implicit-def: $vgpr125_vgpr126
.LBB61_702:
	ds_read_b64 v[125:126], v127
.LBB61_703:
	v_cmp_ne_u32_e32 vcc, 10, v0
	s_and_saveexec_b64 s[8:9], vcc
	s_cbranch_execz .LBB61_707
; %bb.704:
	s_mov_b32 s10, 0
	v_add_u32_e32 v129, 0x1f8, v139
	v_add3_u32 v130, v139, s10, 8
	s_mov_b64 s[10:11], 0
	v_mov_b32_e32 v131, v0
.LBB61_705:                             ; =>This Inner Loop Header: Depth=1
	buffer_load_dword v132, v130, s[0:3], 0 offen
	buffer_load_dword v133, v130, s[0:3], 0 offen offset:4
	ds_read_b64 v[134:135], v129
	v_add_u32_e32 v131, 1, v131
	v_cmp_lt_u32_e32 vcc, 9, v131
	v_add_u32_e32 v129, 8, v129
	s_or_b64 s[10:11], vcc, s[10:11]
	v_add_u32_e32 v130, 8, v130
	s_waitcnt vmcnt(0) lgkmcnt(0)
	v_fma_f64 v[125:126], v[132:133], v[134:135], v[125:126]
	s_andn2_b64 exec, exec, s[10:11]
	s_cbranch_execnz .LBB61_705
; %bb.706:
	s_or_b64 exec, exec, s[10:11]
.LBB61_707:
	s_or_b64 exec, exec, s[8:9]
	v_mov_b32_e32 v129, 0
	ds_read_b64 v[129:130], v129 offset:88
	s_waitcnt lgkmcnt(0)
	v_mul_f64 v[125:126], v[125:126], v[129:130]
	buffer_store_dword v126, off, s[0:3], 0 offset:92
	buffer_store_dword v125, off, s[0:3], 0 offset:88
.LBB61_708:
	s_or_b64 exec, exec, s[6:7]
	buffer_load_dword v125, off, s[0:3], 0 offset:96
	buffer_load_dword v126, off, s[0:3], 0 offset:100
	v_cmp_gt_u32_e32 vcc, 12, v0
	s_waitcnt vmcnt(0)
	ds_write_b64 v127, v[125:126]
	s_waitcnt lgkmcnt(0)
	; wave barrier
	s_and_saveexec_b64 s[6:7], vcc
	s_cbranch_execz .LBB61_718
; %bb.709:
	s_and_b64 vcc, exec, s[4:5]
	s_cbranch_vccnz .LBB61_711
; %bb.710:
	buffer_load_dword v125, v128, s[0:3], 0 offen
	buffer_load_dword v126, v128, s[0:3], 0 offen offset:4
	ds_read_b64 v[129:130], v127
	s_waitcnt vmcnt(0) lgkmcnt(0)
	v_mul_f64 v[125:126], v[125:126], v[129:130]
	s_cbranch_execz .LBB61_712
	s_branch .LBB61_713
.LBB61_711:
                                        ; implicit-def: $vgpr125_vgpr126
.LBB61_712:
	ds_read_b64 v[125:126], v127
.LBB61_713:
	v_cmp_ne_u32_e32 vcc, 11, v0
	s_and_saveexec_b64 s[8:9], vcc
	s_cbranch_execz .LBB61_717
; %bb.714:
	s_mov_b32 s10, 0
	v_add_u32_e32 v129, 0x1f8, v139
	v_add3_u32 v130, v139, s10, 8
	s_mov_b64 s[10:11], 0
	v_mov_b32_e32 v131, v0
.LBB61_715:                             ; =>This Inner Loop Header: Depth=1
	buffer_load_dword v132, v130, s[0:3], 0 offen
	buffer_load_dword v133, v130, s[0:3], 0 offen offset:4
	ds_read_b64 v[134:135], v129
	v_add_u32_e32 v131, 1, v131
	v_cmp_lt_u32_e32 vcc, 10, v131
	v_add_u32_e32 v129, 8, v129
	s_or_b64 s[10:11], vcc, s[10:11]
	v_add_u32_e32 v130, 8, v130
	s_waitcnt vmcnt(0) lgkmcnt(0)
	v_fma_f64 v[125:126], v[132:133], v[134:135], v[125:126]
	s_andn2_b64 exec, exec, s[10:11]
	s_cbranch_execnz .LBB61_715
; %bb.716:
	s_or_b64 exec, exec, s[10:11]
.LBB61_717:
	s_or_b64 exec, exec, s[8:9]
	v_mov_b32_e32 v129, 0
	ds_read_b64 v[129:130], v129 offset:96
	s_waitcnt lgkmcnt(0)
	v_mul_f64 v[125:126], v[125:126], v[129:130]
	buffer_store_dword v126, off, s[0:3], 0 offset:100
	buffer_store_dword v125, off, s[0:3], 0 offset:96
.LBB61_718:
	s_or_b64 exec, exec, s[6:7]
	buffer_load_dword v125, off, s[0:3], 0 offset:104
	buffer_load_dword v126, off, s[0:3], 0 offset:108
	v_cmp_gt_u32_e32 vcc, 13, v0
	s_waitcnt vmcnt(0)
	ds_write_b64 v127, v[125:126]
	s_waitcnt lgkmcnt(0)
	; wave barrier
	s_and_saveexec_b64 s[6:7], vcc
	s_cbranch_execz .LBB61_728
; %bb.719:
	s_and_b64 vcc, exec, s[4:5]
	s_cbranch_vccnz .LBB61_721
; %bb.720:
	buffer_load_dword v125, v128, s[0:3], 0 offen
	buffer_load_dword v126, v128, s[0:3], 0 offen offset:4
	ds_read_b64 v[129:130], v127
	s_waitcnt vmcnt(0) lgkmcnt(0)
	v_mul_f64 v[125:126], v[125:126], v[129:130]
	s_cbranch_execz .LBB61_722
	s_branch .LBB61_723
.LBB61_721:
                                        ; implicit-def: $vgpr125_vgpr126
.LBB61_722:
	ds_read_b64 v[125:126], v127
.LBB61_723:
	v_cmp_ne_u32_e32 vcc, 12, v0
	s_and_saveexec_b64 s[8:9], vcc
	s_cbranch_execz .LBB61_727
; %bb.724:
	s_mov_b32 s10, 0
	v_add_u32_e32 v129, 0x1f8, v139
	v_add3_u32 v130, v139, s10, 8
	s_mov_b64 s[10:11], 0
	v_mov_b32_e32 v131, v0
.LBB61_725:                             ; =>This Inner Loop Header: Depth=1
	buffer_load_dword v132, v130, s[0:3], 0 offen
	buffer_load_dword v133, v130, s[0:3], 0 offen offset:4
	ds_read_b64 v[134:135], v129
	v_add_u32_e32 v131, 1, v131
	v_cmp_lt_u32_e32 vcc, 11, v131
	v_add_u32_e32 v129, 8, v129
	s_or_b64 s[10:11], vcc, s[10:11]
	v_add_u32_e32 v130, 8, v130
	s_waitcnt vmcnt(0) lgkmcnt(0)
	v_fma_f64 v[125:126], v[132:133], v[134:135], v[125:126]
	s_andn2_b64 exec, exec, s[10:11]
	s_cbranch_execnz .LBB61_725
; %bb.726:
	s_or_b64 exec, exec, s[10:11]
.LBB61_727:
	s_or_b64 exec, exec, s[8:9]
	v_mov_b32_e32 v129, 0
	ds_read_b64 v[129:130], v129 offset:104
	s_waitcnt lgkmcnt(0)
	v_mul_f64 v[125:126], v[125:126], v[129:130]
	buffer_store_dword v126, off, s[0:3], 0 offset:108
	buffer_store_dword v125, off, s[0:3], 0 offset:104
.LBB61_728:
	s_or_b64 exec, exec, s[6:7]
	buffer_load_dword v125, off, s[0:3], 0 offset:112
	buffer_load_dword v126, off, s[0:3], 0 offset:116
	v_cmp_gt_u32_e32 vcc, 14, v0
	s_waitcnt vmcnt(0)
	ds_write_b64 v127, v[125:126]
	s_waitcnt lgkmcnt(0)
	; wave barrier
	s_and_saveexec_b64 s[6:7], vcc
	s_cbranch_execz .LBB61_738
; %bb.729:
	s_and_b64 vcc, exec, s[4:5]
	s_cbranch_vccnz .LBB61_731
; %bb.730:
	buffer_load_dword v125, v128, s[0:3], 0 offen
	buffer_load_dword v126, v128, s[0:3], 0 offen offset:4
	ds_read_b64 v[129:130], v127
	s_waitcnt vmcnt(0) lgkmcnt(0)
	v_mul_f64 v[125:126], v[125:126], v[129:130]
	s_cbranch_execz .LBB61_732
	s_branch .LBB61_733
.LBB61_731:
                                        ; implicit-def: $vgpr125_vgpr126
.LBB61_732:
	ds_read_b64 v[125:126], v127
.LBB61_733:
	v_cmp_ne_u32_e32 vcc, 13, v0
	s_and_saveexec_b64 s[8:9], vcc
	s_cbranch_execz .LBB61_737
; %bb.734:
	s_mov_b32 s10, 0
	v_add_u32_e32 v129, 0x1f8, v139
	v_add3_u32 v130, v139, s10, 8
	s_mov_b64 s[10:11], 0
	v_mov_b32_e32 v131, v0
.LBB61_735:                             ; =>This Inner Loop Header: Depth=1
	buffer_load_dword v132, v130, s[0:3], 0 offen
	buffer_load_dword v133, v130, s[0:3], 0 offen offset:4
	ds_read_b64 v[134:135], v129
	v_add_u32_e32 v131, 1, v131
	v_cmp_lt_u32_e32 vcc, 12, v131
	v_add_u32_e32 v129, 8, v129
	s_or_b64 s[10:11], vcc, s[10:11]
	v_add_u32_e32 v130, 8, v130
	s_waitcnt vmcnt(0) lgkmcnt(0)
	v_fma_f64 v[125:126], v[132:133], v[134:135], v[125:126]
	s_andn2_b64 exec, exec, s[10:11]
	s_cbranch_execnz .LBB61_735
; %bb.736:
	s_or_b64 exec, exec, s[10:11]
.LBB61_737:
	s_or_b64 exec, exec, s[8:9]
	v_mov_b32_e32 v129, 0
	ds_read_b64 v[129:130], v129 offset:112
	s_waitcnt lgkmcnt(0)
	v_mul_f64 v[125:126], v[125:126], v[129:130]
	buffer_store_dword v126, off, s[0:3], 0 offset:116
	buffer_store_dword v125, off, s[0:3], 0 offset:112
.LBB61_738:
	s_or_b64 exec, exec, s[6:7]
	buffer_load_dword v125, off, s[0:3], 0 offset:120
	buffer_load_dword v126, off, s[0:3], 0 offset:124
	v_cmp_gt_u32_e32 vcc, 15, v0
	s_waitcnt vmcnt(0)
	ds_write_b64 v127, v[125:126]
	s_waitcnt lgkmcnt(0)
	; wave barrier
	s_and_saveexec_b64 s[6:7], vcc
	s_cbranch_execz .LBB61_748
; %bb.739:
	s_and_b64 vcc, exec, s[4:5]
	s_cbranch_vccnz .LBB61_741
; %bb.740:
	buffer_load_dword v125, v128, s[0:3], 0 offen
	buffer_load_dword v126, v128, s[0:3], 0 offen offset:4
	ds_read_b64 v[129:130], v127
	s_waitcnt vmcnt(0) lgkmcnt(0)
	v_mul_f64 v[125:126], v[125:126], v[129:130]
	s_cbranch_execz .LBB61_742
	s_branch .LBB61_743
.LBB61_741:
                                        ; implicit-def: $vgpr125_vgpr126
.LBB61_742:
	ds_read_b64 v[125:126], v127
.LBB61_743:
	v_cmp_ne_u32_e32 vcc, 14, v0
	s_and_saveexec_b64 s[8:9], vcc
	s_cbranch_execz .LBB61_747
; %bb.744:
	s_mov_b32 s10, 0
	v_add_u32_e32 v129, 0x1f8, v139
	v_add3_u32 v130, v139, s10, 8
	s_mov_b64 s[10:11], 0
	v_mov_b32_e32 v131, v0
.LBB61_745:                             ; =>This Inner Loop Header: Depth=1
	buffer_load_dword v132, v130, s[0:3], 0 offen
	buffer_load_dword v133, v130, s[0:3], 0 offen offset:4
	ds_read_b64 v[134:135], v129
	v_add_u32_e32 v131, 1, v131
	v_cmp_lt_u32_e32 vcc, 13, v131
	v_add_u32_e32 v129, 8, v129
	s_or_b64 s[10:11], vcc, s[10:11]
	v_add_u32_e32 v130, 8, v130
	s_waitcnt vmcnt(0) lgkmcnt(0)
	v_fma_f64 v[125:126], v[132:133], v[134:135], v[125:126]
	s_andn2_b64 exec, exec, s[10:11]
	s_cbranch_execnz .LBB61_745
; %bb.746:
	s_or_b64 exec, exec, s[10:11]
.LBB61_747:
	s_or_b64 exec, exec, s[8:9]
	v_mov_b32_e32 v129, 0
	ds_read_b64 v[129:130], v129 offset:120
	s_waitcnt lgkmcnt(0)
	v_mul_f64 v[125:126], v[125:126], v[129:130]
	buffer_store_dword v126, off, s[0:3], 0 offset:124
	buffer_store_dword v125, off, s[0:3], 0 offset:120
.LBB61_748:
	s_or_b64 exec, exec, s[6:7]
	buffer_load_dword v125, off, s[0:3], 0 offset:128
	buffer_load_dword v126, off, s[0:3], 0 offset:132
	v_cmp_gt_u32_e32 vcc, 16, v0
	s_waitcnt vmcnt(0)
	ds_write_b64 v127, v[125:126]
	s_waitcnt lgkmcnt(0)
	; wave barrier
	s_and_saveexec_b64 s[6:7], vcc
	s_cbranch_execz .LBB61_758
; %bb.749:
	s_and_b64 vcc, exec, s[4:5]
	s_cbranch_vccnz .LBB61_751
; %bb.750:
	buffer_load_dword v125, v128, s[0:3], 0 offen
	buffer_load_dword v126, v128, s[0:3], 0 offen offset:4
	ds_read_b64 v[129:130], v127
	s_waitcnt vmcnt(0) lgkmcnt(0)
	v_mul_f64 v[125:126], v[125:126], v[129:130]
	s_cbranch_execz .LBB61_752
	s_branch .LBB61_753
.LBB61_751:
                                        ; implicit-def: $vgpr125_vgpr126
.LBB61_752:
	ds_read_b64 v[125:126], v127
.LBB61_753:
	v_cmp_ne_u32_e32 vcc, 15, v0
	s_and_saveexec_b64 s[8:9], vcc
	s_cbranch_execz .LBB61_757
; %bb.754:
	s_mov_b32 s10, 0
	v_add_u32_e32 v129, 0x1f8, v139
	v_add3_u32 v130, v139, s10, 8
	s_mov_b64 s[10:11], 0
	v_mov_b32_e32 v131, v0
.LBB61_755:                             ; =>This Inner Loop Header: Depth=1
	buffer_load_dword v132, v130, s[0:3], 0 offen
	buffer_load_dword v133, v130, s[0:3], 0 offen offset:4
	ds_read_b64 v[134:135], v129
	v_add_u32_e32 v131, 1, v131
	v_cmp_lt_u32_e32 vcc, 14, v131
	v_add_u32_e32 v129, 8, v129
	s_or_b64 s[10:11], vcc, s[10:11]
	v_add_u32_e32 v130, 8, v130
	s_waitcnt vmcnt(0) lgkmcnt(0)
	v_fma_f64 v[125:126], v[132:133], v[134:135], v[125:126]
	s_andn2_b64 exec, exec, s[10:11]
	s_cbranch_execnz .LBB61_755
; %bb.756:
	s_or_b64 exec, exec, s[10:11]
.LBB61_757:
	s_or_b64 exec, exec, s[8:9]
	v_mov_b32_e32 v129, 0
	ds_read_b64 v[129:130], v129 offset:128
	s_waitcnt lgkmcnt(0)
	v_mul_f64 v[125:126], v[125:126], v[129:130]
	buffer_store_dword v126, off, s[0:3], 0 offset:132
	buffer_store_dword v125, off, s[0:3], 0 offset:128
.LBB61_758:
	s_or_b64 exec, exec, s[6:7]
	buffer_load_dword v125, off, s[0:3], 0 offset:136
	buffer_load_dword v126, off, s[0:3], 0 offset:140
	v_cmp_gt_u32_e32 vcc, 17, v0
	s_waitcnt vmcnt(0)
	ds_write_b64 v127, v[125:126]
	s_waitcnt lgkmcnt(0)
	; wave barrier
	s_and_saveexec_b64 s[6:7], vcc
	s_cbranch_execz .LBB61_768
; %bb.759:
	s_and_b64 vcc, exec, s[4:5]
	s_cbranch_vccnz .LBB61_761
; %bb.760:
	buffer_load_dword v125, v128, s[0:3], 0 offen
	buffer_load_dword v126, v128, s[0:3], 0 offen offset:4
	ds_read_b64 v[129:130], v127
	s_waitcnt vmcnt(0) lgkmcnt(0)
	v_mul_f64 v[125:126], v[125:126], v[129:130]
	s_cbranch_execz .LBB61_762
	s_branch .LBB61_763
.LBB61_761:
                                        ; implicit-def: $vgpr125_vgpr126
.LBB61_762:
	ds_read_b64 v[125:126], v127
.LBB61_763:
	v_cmp_ne_u32_e32 vcc, 16, v0
	s_and_saveexec_b64 s[8:9], vcc
	s_cbranch_execz .LBB61_767
; %bb.764:
	s_mov_b32 s10, 0
	v_add_u32_e32 v129, 0x1f8, v139
	v_add3_u32 v130, v139, s10, 8
	s_mov_b64 s[10:11], 0
	v_mov_b32_e32 v131, v0
.LBB61_765:                             ; =>This Inner Loop Header: Depth=1
	buffer_load_dword v132, v130, s[0:3], 0 offen
	buffer_load_dword v133, v130, s[0:3], 0 offen offset:4
	ds_read_b64 v[134:135], v129
	v_add_u32_e32 v131, 1, v131
	v_cmp_lt_u32_e32 vcc, 15, v131
	v_add_u32_e32 v129, 8, v129
	s_or_b64 s[10:11], vcc, s[10:11]
	v_add_u32_e32 v130, 8, v130
	s_waitcnt vmcnt(0) lgkmcnt(0)
	v_fma_f64 v[125:126], v[132:133], v[134:135], v[125:126]
	s_andn2_b64 exec, exec, s[10:11]
	s_cbranch_execnz .LBB61_765
; %bb.766:
	s_or_b64 exec, exec, s[10:11]
.LBB61_767:
	s_or_b64 exec, exec, s[8:9]
	v_mov_b32_e32 v129, 0
	ds_read_b64 v[129:130], v129 offset:136
	s_waitcnt lgkmcnt(0)
	v_mul_f64 v[125:126], v[125:126], v[129:130]
	buffer_store_dword v126, off, s[0:3], 0 offset:140
	buffer_store_dword v125, off, s[0:3], 0 offset:136
.LBB61_768:
	s_or_b64 exec, exec, s[6:7]
	buffer_load_dword v125, off, s[0:3], 0 offset:144
	buffer_load_dword v126, off, s[0:3], 0 offset:148
	v_cmp_gt_u32_e32 vcc, 18, v0
	s_waitcnt vmcnt(0)
	ds_write_b64 v127, v[125:126]
	s_waitcnt lgkmcnt(0)
	; wave barrier
	s_and_saveexec_b64 s[6:7], vcc
	s_cbranch_execz .LBB61_778
; %bb.769:
	s_and_b64 vcc, exec, s[4:5]
	s_cbranch_vccnz .LBB61_771
; %bb.770:
	buffer_load_dword v125, v128, s[0:3], 0 offen
	buffer_load_dword v126, v128, s[0:3], 0 offen offset:4
	ds_read_b64 v[129:130], v127
	s_waitcnt vmcnt(0) lgkmcnt(0)
	v_mul_f64 v[125:126], v[125:126], v[129:130]
	s_cbranch_execz .LBB61_772
	s_branch .LBB61_773
.LBB61_771:
                                        ; implicit-def: $vgpr125_vgpr126
.LBB61_772:
	ds_read_b64 v[125:126], v127
.LBB61_773:
	v_cmp_ne_u32_e32 vcc, 17, v0
	s_and_saveexec_b64 s[8:9], vcc
	s_cbranch_execz .LBB61_777
; %bb.774:
	s_mov_b32 s10, 0
	v_add_u32_e32 v129, 0x1f8, v139
	v_add3_u32 v130, v139, s10, 8
	s_mov_b64 s[10:11], 0
	v_mov_b32_e32 v131, v0
.LBB61_775:                             ; =>This Inner Loop Header: Depth=1
	buffer_load_dword v132, v130, s[0:3], 0 offen
	buffer_load_dword v133, v130, s[0:3], 0 offen offset:4
	ds_read_b64 v[134:135], v129
	v_add_u32_e32 v131, 1, v131
	v_cmp_lt_u32_e32 vcc, 16, v131
	v_add_u32_e32 v129, 8, v129
	s_or_b64 s[10:11], vcc, s[10:11]
	v_add_u32_e32 v130, 8, v130
	s_waitcnt vmcnt(0) lgkmcnt(0)
	v_fma_f64 v[125:126], v[132:133], v[134:135], v[125:126]
	s_andn2_b64 exec, exec, s[10:11]
	s_cbranch_execnz .LBB61_775
; %bb.776:
	s_or_b64 exec, exec, s[10:11]
.LBB61_777:
	s_or_b64 exec, exec, s[8:9]
	v_mov_b32_e32 v129, 0
	ds_read_b64 v[129:130], v129 offset:144
	s_waitcnt lgkmcnt(0)
	v_mul_f64 v[125:126], v[125:126], v[129:130]
	buffer_store_dword v126, off, s[0:3], 0 offset:148
	buffer_store_dword v125, off, s[0:3], 0 offset:144
.LBB61_778:
	s_or_b64 exec, exec, s[6:7]
	buffer_load_dword v125, off, s[0:3], 0 offset:152
	buffer_load_dword v126, off, s[0:3], 0 offset:156
	v_cmp_gt_u32_e32 vcc, 19, v0
	s_waitcnt vmcnt(0)
	ds_write_b64 v127, v[125:126]
	s_waitcnt lgkmcnt(0)
	; wave barrier
	s_and_saveexec_b64 s[6:7], vcc
	s_cbranch_execz .LBB61_788
; %bb.779:
	s_and_b64 vcc, exec, s[4:5]
	s_cbranch_vccnz .LBB61_781
; %bb.780:
	buffer_load_dword v125, v128, s[0:3], 0 offen
	buffer_load_dword v126, v128, s[0:3], 0 offen offset:4
	ds_read_b64 v[129:130], v127
	s_waitcnt vmcnt(0) lgkmcnt(0)
	v_mul_f64 v[125:126], v[125:126], v[129:130]
	s_cbranch_execz .LBB61_782
	s_branch .LBB61_783
.LBB61_781:
                                        ; implicit-def: $vgpr125_vgpr126
.LBB61_782:
	ds_read_b64 v[125:126], v127
.LBB61_783:
	v_cmp_ne_u32_e32 vcc, 18, v0
	s_and_saveexec_b64 s[8:9], vcc
	s_cbranch_execz .LBB61_787
; %bb.784:
	s_mov_b32 s10, 0
	v_add_u32_e32 v129, 0x1f8, v139
	v_add3_u32 v130, v139, s10, 8
	s_mov_b64 s[10:11], 0
	v_mov_b32_e32 v131, v0
.LBB61_785:                             ; =>This Inner Loop Header: Depth=1
	buffer_load_dword v132, v130, s[0:3], 0 offen
	buffer_load_dword v133, v130, s[0:3], 0 offen offset:4
	ds_read_b64 v[134:135], v129
	v_add_u32_e32 v131, 1, v131
	v_cmp_lt_u32_e32 vcc, 17, v131
	v_add_u32_e32 v129, 8, v129
	s_or_b64 s[10:11], vcc, s[10:11]
	v_add_u32_e32 v130, 8, v130
	s_waitcnt vmcnt(0) lgkmcnt(0)
	v_fma_f64 v[125:126], v[132:133], v[134:135], v[125:126]
	s_andn2_b64 exec, exec, s[10:11]
	s_cbranch_execnz .LBB61_785
; %bb.786:
	s_or_b64 exec, exec, s[10:11]
.LBB61_787:
	s_or_b64 exec, exec, s[8:9]
	v_mov_b32_e32 v129, 0
	ds_read_b64 v[129:130], v129 offset:152
	s_waitcnt lgkmcnt(0)
	v_mul_f64 v[125:126], v[125:126], v[129:130]
	buffer_store_dword v126, off, s[0:3], 0 offset:156
	buffer_store_dword v125, off, s[0:3], 0 offset:152
.LBB61_788:
	s_or_b64 exec, exec, s[6:7]
	buffer_load_dword v125, off, s[0:3], 0 offset:160
	buffer_load_dword v126, off, s[0:3], 0 offset:164
	v_cmp_gt_u32_e32 vcc, 20, v0
	s_waitcnt vmcnt(0)
	ds_write_b64 v127, v[125:126]
	s_waitcnt lgkmcnt(0)
	; wave barrier
	s_and_saveexec_b64 s[6:7], vcc
	s_cbranch_execz .LBB61_798
; %bb.789:
	s_and_b64 vcc, exec, s[4:5]
	s_cbranch_vccnz .LBB61_791
; %bb.790:
	buffer_load_dword v125, v128, s[0:3], 0 offen
	buffer_load_dword v126, v128, s[0:3], 0 offen offset:4
	ds_read_b64 v[129:130], v127
	s_waitcnt vmcnt(0) lgkmcnt(0)
	v_mul_f64 v[125:126], v[125:126], v[129:130]
	s_cbranch_execz .LBB61_792
	s_branch .LBB61_793
.LBB61_791:
                                        ; implicit-def: $vgpr125_vgpr126
.LBB61_792:
	ds_read_b64 v[125:126], v127
.LBB61_793:
	v_cmp_ne_u32_e32 vcc, 19, v0
	s_and_saveexec_b64 s[8:9], vcc
	s_cbranch_execz .LBB61_797
; %bb.794:
	s_mov_b32 s10, 0
	v_add_u32_e32 v129, 0x1f8, v139
	v_add3_u32 v130, v139, s10, 8
	s_mov_b64 s[10:11], 0
	v_mov_b32_e32 v131, v0
.LBB61_795:                             ; =>This Inner Loop Header: Depth=1
	buffer_load_dword v132, v130, s[0:3], 0 offen
	buffer_load_dword v133, v130, s[0:3], 0 offen offset:4
	ds_read_b64 v[134:135], v129
	v_add_u32_e32 v131, 1, v131
	v_cmp_lt_u32_e32 vcc, 18, v131
	v_add_u32_e32 v129, 8, v129
	s_or_b64 s[10:11], vcc, s[10:11]
	v_add_u32_e32 v130, 8, v130
	s_waitcnt vmcnt(0) lgkmcnt(0)
	v_fma_f64 v[125:126], v[132:133], v[134:135], v[125:126]
	s_andn2_b64 exec, exec, s[10:11]
	s_cbranch_execnz .LBB61_795
; %bb.796:
	s_or_b64 exec, exec, s[10:11]
.LBB61_797:
	s_or_b64 exec, exec, s[8:9]
	v_mov_b32_e32 v129, 0
	ds_read_b64 v[129:130], v129 offset:160
	s_waitcnt lgkmcnt(0)
	v_mul_f64 v[125:126], v[125:126], v[129:130]
	buffer_store_dword v126, off, s[0:3], 0 offset:164
	buffer_store_dword v125, off, s[0:3], 0 offset:160
.LBB61_798:
	s_or_b64 exec, exec, s[6:7]
	buffer_load_dword v125, off, s[0:3], 0 offset:168
	buffer_load_dword v126, off, s[0:3], 0 offset:172
	v_cmp_gt_u32_e32 vcc, 21, v0
	s_waitcnt vmcnt(0)
	ds_write_b64 v127, v[125:126]
	s_waitcnt lgkmcnt(0)
	; wave barrier
	s_and_saveexec_b64 s[6:7], vcc
	s_cbranch_execz .LBB61_808
; %bb.799:
	s_and_b64 vcc, exec, s[4:5]
	s_cbranch_vccnz .LBB61_801
; %bb.800:
	buffer_load_dword v125, v128, s[0:3], 0 offen
	buffer_load_dword v126, v128, s[0:3], 0 offen offset:4
	ds_read_b64 v[129:130], v127
	s_waitcnt vmcnt(0) lgkmcnt(0)
	v_mul_f64 v[125:126], v[125:126], v[129:130]
	s_cbranch_execz .LBB61_802
	s_branch .LBB61_803
.LBB61_801:
                                        ; implicit-def: $vgpr125_vgpr126
.LBB61_802:
	ds_read_b64 v[125:126], v127
.LBB61_803:
	v_cmp_ne_u32_e32 vcc, 20, v0
	s_and_saveexec_b64 s[8:9], vcc
	s_cbranch_execz .LBB61_807
; %bb.804:
	s_mov_b32 s10, 0
	v_add_u32_e32 v129, 0x1f8, v139
	v_add3_u32 v130, v139, s10, 8
	s_mov_b64 s[10:11], 0
	v_mov_b32_e32 v131, v0
.LBB61_805:                             ; =>This Inner Loop Header: Depth=1
	buffer_load_dword v132, v130, s[0:3], 0 offen
	buffer_load_dword v133, v130, s[0:3], 0 offen offset:4
	ds_read_b64 v[134:135], v129
	v_add_u32_e32 v131, 1, v131
	v_cmp_lt_u32_e32 vcc, 19, v131
	v_add_u32_e32 v129, 8, v129
	s_or_b64 s[10:11], vcc, s[10:11]
	v_add_u32_e32 v130, 8, v130
	s_waitcnt vmcnt(0) lgkmcnt(0)
	v_fma_f64 v[125:126], v[132:133], v[134:135], v[125:126]
	s_andn2_b64 exec, exec, s[10:11]
	s_cbranch_execnz .LBB61_805
; %bb.806:
	s_or_b64 exec, exec, s[10:11]
.LBB61_807:
	s_or_b64 exec, exec, s[8:9]
	v_mov_b32_e32 v129, 0
	ds_read_b64 v[129:130], v129 offset:168
	s_waitcnt lgkmcnt(0)
	v_mul_f64 v[125:126], v[125:126], v[129:130]
	buffer_store_dword v126, off, s[0:3], 0 offset:172
	buffer_store_dword v125, off, s[0:3], 0 offset:168
.LBB61_808:
	s_or_b64 exec, exec, s[6:7]
	buffer_load_dword v125, off, s[0:3], 0 offset:176
	buffer_load_dword v126, off, s[0:3], 0 offset:180
	v_cmp_gt_u32_e32 vcc, 22, v0
	s_waitcnt vmcnt(0)
	ds_write_b64 v127, v[125:126]
	s_waitcnt lgkmcnt(0)
	; wave barrier
	s_and_saveexec_b64 s[6:7], vcc
	s_cbranch_execz .LBB61_818
; %bb.809:
	s_and_b64 vcc, exec, s[4:5]
	s_cbranch_vccnz .LBB61_811
; %bb.810:
	buffer_load_dword v125, v128, s[0:3], 0 offen
	buffer_load_dword v126, v128, s[0:3], 0 offen offset:4
	ds_read_b64 v[129:130], v127
	s_waitcnt vmcnt(0) lgkmcnt(0)
	v_mul_f64 v[125:126], v[125:126], v[129:130]
	s_cbranch_execz .LBB61_812
	s_branch .LBB61_813
.LBB61_811:
                                        ; implicit-def: $vgpr125_vgpr126
.LBB61_812:
	ds_read_b64 v[125:126], v127
.LBB61_813:
	v_cmp_ne_u32_e32 vcc, 21, v0
	s_and_saveexec_b64 s[8:9], vcc
	s_cbranch_execz .LBB61_817
; %bb.814:
	s_mov_b32 s10, 0
	v_add_u32_e32 v129, 0x1f8, v139
	v_add3_u32 v130, v139, s10, 8
	s_mov_b64 s[10:11], 0
	v_mov_b32_e32 v131, v0
.LBB61_815:                             ; =>This Inner Loop Header: Depth=1
	buffer_load_dword v132, v130, s[0:3], 0 offen
	buffer_load_dword v133, v130, s[0:3], 0 offen offset:4
	ds_read_b64 v[134:135], v129
	v_add_u32_e32 v131, 1, v131
	v_cmp_lt_u32_e32 vcc, 20, v131
	v_add_u32_e32 v129, 8, v129
	s_or_b64 s[10:11], vcc, s[10:11]
	v_add_u32_e32 v130, 8, v130
	s_waitcnt vmcnt(0) lgkmcnt(0)
	v_fma_f64 v[125:126], v[132:133], v[134:135], v[125:126]
	s_andn2_b64 exec, exec, s[10:11]
	s_cbranch_execnz .LBB61_815
; %bb.816:
	s_or_b64 exec, exec, s[10:11]
.LBB61_817:
	s_or_b64 exec, exec, s[8:9]
	v_mov_b32_e32 v129, 0
	ds_read_b64 v[129:130], v129 offset:176
	s_waitcnt lgkmcnt(0)
	v_mul_f64 v[125:126], v[125:126], v[129:130]
	buffer_store_dword v126, off, s[0:3], 0 offset:180
	buffer_store_dword v125, off, s[0:3], 0 offset:176
.LBB61_818:
	s_or_b64 exec, exec, s[6:7]
	buffer_load_dword v125, off, s[0:3], 0 offset:184
	buffer_load_dword v126, off, s[0:3], 0 offset:188
	v_cmp_gt_u32_e32 vcc, 23, v0
	s_waitcnt vmcnt(0)
	ds_write_b64 v127, v[125:126]
	s_waitcnt lgkmcnt(0)
	; wave barrier
	s_and_saveexec_b64 s[6:7], vcc
	s_cbranch_execz .LBB61_828
; %bb.819:
	s_and_b64 vcc, exec, s[4:5]
	s_cbranch_vccnz .LBB61_821
; %bb.820:
	buffer_load_dword v125, v128, s[0:3], 0 offen
	buffer_load_dword v126, v128, s[0:3], 0 offen offset:4
	ds_read_b64 v[129:130], v127
	s_waitcnt vmcnt(0) lgkmcnt(0)
	v_mul_f64 v[125:126], v[125:126], v[129:130]
	s_cbranch_execz .LBB61_822
	s_branch .LBB61_823
.LBB61_821:
                                        ; implicit-def: $vgpr125_vgpr126
.LBB61_822:
	ds_read_b64 v[125:126], v127
.LBB61_823:
	v_cmp_ne_u32_e32 vcc, 22, v0
	s_and_saveexec_b64 s[8:9], vcc
	s_cbranch_execz .LBB61_827
; %bb.824:
	s_mov_b32 s10, 0
	v_add_u32_e32 v129, 0x1f8, v139
	v_add3_u32 v130, v139, s10, 8
	s_mov_b64 s[10:11], 0
	v_mov_b32_e32 v131, v0
.LBB61_825:                             ; =>This Inner Loop Header: Depth=1
	buffer_load_dword v132, v130, s[0:3], 0 offen
	buffer_load_dword v133, v130, s[0:3], 0 offen offset:4
	ds_read_b64 v[134:135], v129
	v_add_u32_e32 v131, 1, v131
	v_cmp_lt_u32_e32 vcc, 21, v131
	v_add_u32_e32 v129, 8, v129
	s_or_b64 s[10:11], vcc, s[10:11]
	v_add_u32_e32 v130, 8, v130
	s_waitcnt vmcnt(0) lgkmcnt(0)
	v_fma_f64 v[125:126], v[132:133], v[134:135], v[125:126]
	s_andn2_b64 exec, exec, s[10:11]
	s_cbranch_execnz .LBB61_825
; %bb.826:
	s_or_b64 exec, exec, s[10:11]
.LBB61_827:
	s_or_b64 exec, exec, s[8:9]
	v_mov_b32_e32 v129, 0
	ds_read_b64 v[129:130], v129 offset:184
	s_waitcnt lgkmcnt(0)
	v_mul_f64 v[125:126], v[125:126], v[129:130]
	buffer_store_dword v126, off, s[0:3], 0 offset:188
	buffer_store_dword v125, off, s[0:3], 0 offset:184
.LBB61_828:
	s_or_b64 exec, exec, s[6:7]
	buffer_load_dword v125, off, s[0:3], 0 offset:192
	buffer_load_dword v126, off, s[0:3], 0 offset:196
	v_cmp_gt_u32_e32 vcc, 24, v0
	s_waitcnt vmcnt(0)
	ds_write_b64 v127, v[125:126]
	s_waitcnt lgkmcnt(0)
	; wave barrier
	s_and_saveexec_b64 s[6:7], vcc
	s_cbranch_execz .LBB61_838
; %bb.829:
	s_and_b64 vcc, exec, s[4:5]
	s_cbranch_vccnz .LBB61_831
; %bb.830:
	buffer_load_dword v125, v128, s[0:3], 0 offen
	buffer_load_dword v126, v128, s[0:3], 0 offen offset:4
	ds_read_b64 v[129:130], v127
	s_waitcnt vmcnt(0) lgkmcnt(0)
	v_mul_f64 v[125:126], v[125:126], v[129:130]
	s_cbranch_execz .LBB61_832
	s_branch .LBB61_833
.LBB61_831:
                                        ; implicit-def: $vgpr125_vgpr126
.LBB61_832:
	ds_read_b64 v[125:126], v127
.LBB61_833:
	v_cmp_ne_u32_e32 vcc, 23, v0
	s_and_saveexec_b64 s[8:9], vcc
	s_cbranch_execz .LBB61_837
; %bb.834:
	s_mov_b32 s10, 0
	v_add_u32_e32 v129, 0x1f8, v139
	v_add3_u32 v130, v139, s10, 8
	s_mov_b64 s[10:11], 0
	v_mov_b32_e32 v131, v0
.LBB61_835:                             ; =>This Inner Loop Header: Depth=1
	buffer_load_dword v132, v130, s[0:3], 0 offen
	buffer_load_dword v133, v130, s[0:3], 0 offen offset:4
	ds_read_b64 v[134:135], v129
	v_add_u32_e32 v131, 1, v131
	v_cmp_lt_u32_e32 vcc, 22, v131
	v_add_u32_e32 v129, 8, v129
	s_or_b64 s[10:11], vcc, s[10:11]
	v_add_u32_e32 v130, 8, v130
	s_waitcnt vmcnt(0) lgkmcnt(0)
	v_fma_f64 v[125:126], v[132:133], v[134:135], v[125:126]
	s_andn2_b64 exec, exec, s[10:11]
	s_cbranch_execnz .LBB61_835
; %bb.836:
	s_or_b64 exec, exec, s[10:11]
.LBB61_837:
	s_or_b64 exec, exec, s[8:9]
	v_mov_b32_e32 v129, 0
	ds_read_b64 v[129:130], v129 offset:192
	s_waitcnt lgkmcnt(0)
	v_mul_f64 v[125:126], v[125:126], v[129:130]
	buffer_store_dword v126, off, s[0:3], 0 offset:196
	buffer_store_dword v125, off, s[0:3], 0 offset:192
.LBB61_838:
	s_or_b64 exec, exec, s[6:7]
	buffer_load_dword v125, off, s[0:3], 0 offset:200
	buffer_load_dword v126, off, s[0:3], 0 offset:204
	v_cmp_gt_u32_e32 vcc, 25, v0
	s_waitcnt vmcnt(0)
	ds_write_b64 v127, v[125:126]
	s_waitcnt lgkmcnt(0)
	; wave barrier
	s_and_saveexec_b64 s[6:7], vcc
	s_cbranch_execz .LBB61_848
; %bb.839:
	s_and_b64 vcc, exec, s[4:5]
	s_cbranch_vccnz .LBB61_841
; %bb.840:
	buffer_load_dword v125, v128, s[0:3], 0 offen
	buffer_load_dword v126, v128, s[0:3], 0 offen offset:4
	ds_read_b64 v[129:130], v127
	s_waitcnt vmcnt(0) lgkmcnt(0)
	v_mul_f64 v[125:126], v[125:126], v[129:130]
	s_cbranch_execz .LBB61_842
	s_branch .LBB61_843
.LBB61_841:
                                        ; implicit-def: $vgpr125_vgpr126
.LBB61_842:
	ds_read_b64 v[125:126], v127
.LBB61_843:
	v_cmp_ne_u32_e32 vcc, 24, v0
	s_and_saveexec_b64 s[8:9], vcc
	s_cbranch_execz .LBB61_847
; %bb.844:
	s_mov_b32 s10, 0
	v_add_u32_e32 v129, 0x1f8, v139
	v_add3_u32 v130, v139, s10, 8
	s_mov_b64 s[10:11], 0
	v_mov_b32_e32 v131, v0
.LBB61_845:                             ; =>This Inner Loop Header: Depth=1
	buffer_load_dword v132, v130, s[0:3], 0 offen
	buffer_load_dword v133, v130, s[0:3], 0 offen offset:4
	ds_read_b64 v[134:135], v129
	v_add_u32_e32 v131, 1, v131
	v_cmp_lt_u32_e32 vcc, 23, v131
	v_add_u32_e32 v129, 8, v129
	s_or_b64 s[10:11], vcc, s[10:11]
	v_add_u32_e32 v130, 8, v130
	s_waitcnt vmcnt(0) lgkmcnt(0)
	v_fma_f64 v[125:126], v[132:133], v[134:135], v[125:126]
	s_andn2_b64 exec, exec, s[10:11]
	s_cbranch_execnz .LBB61_845
; %bb.846:
	s_or_b64 exec, exec, s[10:11]
.LBB61_847:
	s_or_b64 exec, exec, s[8:9]
	v_mov_b32_e32 v129, 0
	ds_read_b64 v[129:130], v129 offset:200
	s_waitcnt lgkmcnt(0)
	v_mul_f64 v[125:126], v[125:126], v[129:130]
	buffer_store_dword v126, off, s[0:3], 0 offset:204
	buffer_store_dword v125, off, s[0:3], 0 offset:200
.LBB61_848:
	s_or_b64 exec, exec, s[6:7]
	buffer_load_dword v125, off, s[0:3], 0 offset:208
	buffer_load_dword v126, off, s[0:3], 0 offset:212
	v_cmp_gt_u32_e32 vcc, 26, v0
	s_waitcnt vmcnt(0)
	ds_write_b64 v127, v[125:126]
	s_waitcnt lgkmcnt(0)
	; wave barrier
	s_and_saveexec_b64 s[6:7], vcc
	s_cbranch_execz .LBB61_858
; %bb.849:
	s_and_b64 vcc, exec, s[4:5]
	s_cbranch_vccnz .LBB61_851
; %bb.850:
	buffer_load_dword v125, v128, s[0:3], 0 offen
	buffer_load_dword v126, v128, s[0:3], 0 offen offset:4
	ds_read_b64 v[129:130], v127
	s_waitcnt vmcnt(0) lgkmcnt(0)
	v_mul_f64 v[125:126], v[125:126], v[129:130]
	s_cbranch_execz .LBB61_852
	s_branch .LBB61_853
.LBB61_851:
                                        ; implicit-def: $vgpr125_vgpr126
.LBB61_852:
	ds_read_b64 v[125:126], v127
.LBB61_853:
	v_cmp_ne_u32_e32 vcc, 25, v0
	s_and_saveexec_b64 s[8:9], vcc
	s_cbranch_execz .LBB61_857
; %bb.854:
	s_mov_b32 s10, 0
	v_add_u32_e32 v129, 0x1f8, v139
	v_add3_u32 v130, v139, s10, 8
	s_mov_b64 s[10:11], 0
	v_mov_b32_e32 v131, v0
.LBB61_855:                             ; =>This Inner Loop Header: Depth=1
	buffer_load_dword v132, v130, s[0:3], 0 offen
	buffer_load_dword v133, v130, s[0:3], 0 offen offset:4
	ds_read_b64 v[134:135], v129
	v_add_u32_e32 v131, 1, v131
	v_cmp_lt_u32_e32 vcc, 24, v131
	v_add_u32_e32 v129, 8, v129
	s_or_b64 s[10:11], vcc, s[10:11]
	v_add_u32_e32 v130, 8, v130
	s_waitcnt vmcnt(0) lgkmcnt(0)
	v_fma_f64 v[125:126], v[132:133], v[134:135], v[125:126]
	s_andn2_b64 exec, exec, s[10:11]
	s_cbranch_execnz .LBB61_855
; %bb.856:
	s_or_b64 exec, exec, s[10:11]
.LBB61_857:
	s_or_b64 exec, exec, s[8:9]
	v_mov_b32_e32 v129, 0
	ds_read_b64 v[129:130], v129 offset:208
	s_waitcnt lgkmcnt(0)
	v_mul_f64 v[125:126], v[125:126], v[129:130]
	buffer_store_dword v126, off, s[0:3], 0 offset:212
	buffer_store_dword v125, off, s[0:3], 0 offset:208
.LBB61_858:
	s_or_b64 exec, exec, s[6:7]
	buffer_load_dword v125, off, s[0:3], 0 offset:216
	buffer_load_dword v126, off, s[0:3], 0 offset:220
	v_cmp_gt_u32_e32 vcc, 27, v0
	s_waitcnt vmcnt(0)
	ds_write_b64 v127, v[125:126]
	s_waitcnt lgkmcnt(0)
	; wave barrier
	s_and_saveexec_b64 s[6:7], vcc
	s_cbranch_execz .LBB61_868
; %bb.859:
	s_and_b64 vcc, exec, s[4:5]
	s_cbranch_vccnz .LBB61_861
; %bb.860:
	buffer_load_dword v125, v128, s[0:3], 0 offen
	buffer_load_dword v126, v128, s[0:3], 0 offen offset:4
	ds_read_b64 v[129:130], v127
	s_waitcnt vmcnt(0) lgkmcnt(0)
	v_mul_f64 v[125:126], v[125:126], v[129:130]
	s_cbranch_execz .LBB61_862
	s_branch .LBB61_863
.LBB61_861:
                                        ; implicit-def: $vgpr125_vgpr126
.LBB61_862:
	ds_read_b64 v[125:126], v127
.LBB61_863:
	v_cmp_ne_u32_e32 vcc, 26, v0
	s_and_saveexec_b64 s[8:9], vcc
	s_cbranch_execz .LBB61_867
; %bb.864:
	s_mov_b32 s10, 0
	v_add_u32_e32 v129, 0x1f8, v139
	v_add3_u32 v130, v139, s10, 8
	s_mov_b64 s[10:11], 0
	v_mov_b32_e32 v131, v0
.LBB61_865:                             ; =>This Inner Loop Header: Depth=1
	buffer_load_dword v132, v130, s[0:3], 0 offen
	buffer_load_dword v133, v130, s[0:3], 0 offen offset:4
	ds_read_b64 v[134:135], v129
	v_add_u32_e32 v131, 1, v131
	v_cmp_lt_u32_e32 vcc, 25, v131
	v_add_u32_e32 v129, 8, v129
	s_or_b64 s[10:11], vcc, s[10:11]
	v_add_u32_e32 v130, 8, v130
	s_waitcnt vmcnt(0) lgkmcnt(0)
	v_fma_f64 v[125:126], v[132:133], v[134:135], v[125:126]
	s_andn2_b64 exec, exec, s[10:11]
	s_cbranch_execnz .LBB61_865
; %bb.866:
	s_or_b64 exec, exec, s[10:11]
.LBB61_867:
	s_or_b64 exec, exec, s[8:9]
	v_mov_b32_e32 v129, 0
	ds_read_b64 v[129:130], v129 offset:216
	s_waitcnt lgkmcnt(0)
	v_mul_f64 v[125:126], v[125:126], v[129:130]
	buffer_store_dword v126, off, s[0:3], 0 offset:220
	buffer_store_dword v125, off, s[0:3], 0 offset:216
.LBB61_868:
	s_or_b64 exec, exec, s[6:7]
	buffer_load_dword v125, off, s[0:3], 0 offset:224
	buffer_load_dword v126, off, s[0:3], 0 offset:228
	v_cmp_gt_u32_e32 vcc, 28, v0
	s_waitcnt vmcnt(0)
	ds_write_b64 v127, v[125:126]
	s_waitcnt lgkmcnt(0)
	; wave barrier
	s_and_saveexec_b64 s[6:7], vcc
	s_cbranch_execz .LBB61_878
; %bb.869:
	s_and_b64 vcc, exec, s[4:5]
	s_cbranch_vccnz .LBB61_871
; %bb.870:
	buffer_load_dword v125, v128, s[0:3], 0 offen
	buffer_load_dword v126, v128, s[0:3], 0 offen offset:4
	ds_read_b64 v[129:130], v127
	s_waitcnt vmcnt(0) lgkmcnt(0)
	v_mul_f64 v[125:126], v[125:126], v[129:130]
	s_cbranch_execz .LBB61_872
	s_branch .LBB61_873
.LBB61_871:
                                        ; implicit-def: $vgpr125_vgpr126
.LBB61_872:
	ds_read_b64 v[125:126], v127
.LBB61_873:
	v_cmp_ne_u32_e32 vcc, 27, v0
	s_and_saveexec_b64 s[8:9], vcc
	s_cbranch_execz .LBB61_877
; %bb.874:
	s_mov_b32 s10, 0
	v_add_u32_e32 v129, 0x1f8, v139
	v_add3_u32 v130, v139, s10, 8
	s_mov_b64 s[10:11], 0
	v_mov_b32_e32 v131, v0
.LBB61_875:                             ; =>This Inner Loop Header: Depth=1
	buffer_load_dword v132, v130, s[0:3], 0 offen
	buffer_load_dword v133, v130, s[0:3], 0 offen offset:4
	ds_read_b64 v[134:135], v129
	v_add_u32_e32 v131, 1, v131
	v_cmp_lt_u32_e32 vcc, 26, v131
	v_add_u32_e32 v129, 8, v129
	s_or_b64 s[10:11], vcc, s[10:11]
	v_add_u32_e32 v130, 8, v130
	s_waitcnt vmcnt(0) lgkmcnt(0)
	v_fma_f64 v[125:126], v[132:133], v[134:135], v[125:126]
	s_andn2_b64 exec, exec, s[10:11]
	s_cbranch_execnz .LBB61_875
; %bb.876:
	s_or_b64 exec, exec, s[10:11]
.LBB61_877:
	s_or_b64 exec, exec, s[8:9]
	v_mov_b32_e32 v129, 0
	ds_read_b64 v[129:130], v129 offset:224
	s_waitcnt lgkmcnt(0)
	v_mul_f64 v[125:126], v[125:126], v[129:130]
	buffer_store_dword v126, off, s[0:3], 0 offset:228
	buffer_store_dword v125, off, s[0:3], 0 offset:224
.LBB61_878:
	s_or_b64 exec, exec, s[6:7]
	buffer_load_dword v125, off, s[0:3], 0 offset:232
	buffer_load_dword v126, off, s[0:3], 0 offset:236
	v_cmp_gt_u32_e32 vcc, 29, v0
	s_waitcnt vmcnt(0)
	ds_write_b64 v127, v[125:126]
	s_waitcnt lgkmcnt(0)
	; wave barrier
	s_and_saveexec_b64 s[6:7], vcc
	s_cbranch_execz .LBB61_888
; %bb.879:
	s_and_b64 vcc, exec, s[4:5]
	s_cbranch_vccnz .LBB61_881
; %bb.880:
	buffer_load_dword v125, v128, s[0:3], 0 offen
	buffer_load_dword v126, v128, s[0:3], 0 offen offset:4
	ds_read_b64 v[129:130], v127
	s_waitcnt vmcnt(0) lgkmcnt(0)
	v_mul_f64 v[125:126], v[125:126], v[129:130]
	s_cbranch_execz .LBB61_882
	s_branch .LBB61_883
.LBB61_881:
                                        ; implicit-def: $vgpr125_vgpr126
.LBB61_882:
	ds_read_b64 v[125:126], v127
.LBB61_883:
	v_cmp_ne_u32_e32 vcc, 28, v0
	s_and_saveexec_b64 s[8:9], vcc
	s_cbranch_execz .LBB61_887
; %bb.884:
	s_mov_b32 s10, 0
	v_add_u32_e32 v129, 0x1f8, v139
	v_add3_u32 v130, v139, s10, 8
	s_mov_b64 s[10:11], 0
	v_mov_b32_e32 v131, v0
.LBB61_885:                             ; =>This Inner Loop Header: Depth=1
	buffer_load_dword v132, v130, s[0:3], 0 offen
	buffer_load_dword v133, v130, s[0:3], 0 offen offset:4
	ds_read_b64 v[134:135], v129
	v_add_u32_e32 v131, 1, v131
	v_cmp_lt_u32_e32 vcc, 27, v131
	v_add_u32_e32 v129, 8, v129
	s_or_b64 s[10:11], vcc, s[10:11]
	v_add_u32_e32 v130, 8, v130
	s_waitcnt vmcnt(0) lgkmcnt(0)
	v_fma_f64 v[125:126], v[132:133], v[134:135], v[125:126]
	s_andn2_b64 exec, exec, s[10:11]
	s_cbranch_execnz .LBB61_885
; %bb.886:
	s_or_b64 exec, exec, s[10:11]
.LBB61_887:
	s_or_b64 exec, exec, s[8:9]
	v_mov_b32_e32 v129, 0
	ds_read_b64 v[129:130], v129 offset:232
	s_waitcnt lgkmcnt(0)
	v_mul_f64 v[125:126], v[125:126], v[129:130]
	buffer_store_dword v126, off, s[0:3], 0 offset:236
	buffer_store_dword v125, off, s[0:3], 0 offset:232
.LBB61_888:
	s_or_b64 exec, exec, s[6:7]
	buffer_load_dword v125, off, s[0:3], 0 offset:240
	buffer_load_dword v126, off, s[0:3], 0 offset:244
	v_cmp_gt_u32_e32 vcc, 30, v0
	s_waitcnt vmcnt(0)
	ds_write_b64 v127, v[125:126]
	s_waitcnt lgkmcnt(0)
	; wave barrier
	s_and_saveexec_b64 s[6:7], vcc
	s_cbranch_execz .LBB61_898
; %bb.889:
	s_and_b64 vcc, exec, s[4:5]
	s_cbranch_vccnz .LBB61_891
; %bb.890:
	buffer_load_dword v125, v128, s[0:3], 0 offen
	buffer_load_dword v126, v128, s[0:3], 0 offen offset:4
	ds_read_b64 v[129:130], v127
	s_waitcnt vmcnt(0) lgkmcnt(0)
	v_mul_f64 v[125:126], v[125:126], v[129:130]
	s_cbranch_execz .LBB61_892
	s_branch .LBB61_893
.LBB61_891:
                                        ; implicit-def: $vgpr125_vgpr126
.LBB61_892:
	ds_read_b64 v[125:126], v127
.LBB61_893:
	v_cmp_ne_u32_e32 vcc, 29, v0
	s_and_saveexec_b64 s[8:9], vcc
	s_cbranch_execz .LBB61_897
; %bb.894:
	s_mov_b32 s10, 0
	v_add_u32_e32 v129, 0x1f8, v139
	v_add3_u32 v130, v139, s10, 8
	s_mov_b64 s[10:11], 0
	v_mov_b32_e32 v131, v0
.LBB61_895:                             ; =>This Inner Loop Header: Depth=1
	buffer_load_dword v132, v130, s[0:3], 0 offen
	buffer_load_dword v133, v130, s[0:3], 0 offen offset:4
	ds_read_b64 v[134:135], v129
	v_add_u32_e32 v131, 1, v131
	v_cmp_lt_u32_e32 vcc, 28, v131
	v_add_u32_e32 v129, 8, v129
	s_or_b64 s[10:11], vcc, s[10:11]
	v_add_u32_e32 v130, 8, v130
	s_waitcnt vmcnt(0) lgkmcnt(0)
	v_fma_f64 v[125:126], v[132:133], v[134:135], v[125:126]
	s_andn2_b64 exec, exec, s[10:11]
	s_cbranch_execnz .LBB61_895
; %bb.896:
	s_or_b64 exec, exec, s[10:11]
.LBB61_897:
	s_or_b64 exec, exec, s[8:9]
	v_mov_b32_e32 v129, 0
	ds_read_b64 v[129:130], v129 offset:240
	s_waitcnt lgkmcnt(0)
	v_mul_f64 v[125:126], v[125:126], v[129:130]
	buffer_store_dword v126, off, s[0:3], 0 offset:244
	buffer_store_dword v125, off, s[0:3], 0 offset:240
.LBB61_898:
	s_or_b64 exec, exec, s[6:7]
	buffer_load_dword v125, off, s[0:3], 0 offset:248
	buffer_load_dword v126, off, s[0:3], 0 offset:252
	v_cmp_gt_u32_e32 vcc, 31, v0
	s_waitcnt vmcnt(0)
	ds_write_b64 v127, v[125:126]
	s_waitcnt lgkmcnt(0)
	; wave barrier
	s_and_saveexec_b64 s[6:7], vcc
	s_cbranch_execz .LBB61_908
; %bb.899:
	s_and_b64 vcc, exec, s[4:5]
	s_cbranch_vccnz .LBB61_901
; %bb.900:
	buffer_load_dword v125, v128, s[0:3], 0 offen
	buffer_load_dword v126, v128, s[0:3], 0 offen offset:4
	ds_read_b64 v[129:130], v127
	s_waitcnt vmcnt(0) lgkmcnt(0)
	v_mul_f64 v[125:126], v[125:126], v[129:130]
	s_cbranch_execz .LBB61_902
	s_branch .LBB61_903
.LBB61_901:
                                        ; implicit-def: $vgpr125_vgpr126
.LBB61_902:
	ds_read_b64 v[125:126], v127
.LBB61_903:
	v_cmp_ne_u32_e32 vcc, 30, v0
	s_and_saveexec_b64 s[8:9], vcc
	s_cbranch_execz .LBB61_907
; %bb.904:
	s_mov_b32 s10, 0
	v_add_u32_e32 v129, 0x1f8, v139
	v_add3_u32 v130, v139, s10, 8
	s_mov_b64 s[10:11], 0
	v_mov_b32_e32 v131, v0
.LBB61_905:                             ; =>This Inner Loop Header: Depth=1
	buffer_load_dword v132, v130, s[0:3], 0 offen
	buffer_load_dword v133, v130, s[0:3], 0 offen offset:4
	ds_read_b64 v[134:135], v129
	v_add_u32_e32 v131, 1, v131
	v_cmp_lt_u32_e32 vcc, 29, v131
	v_add_u32_e32 v129, 8, v129
	s_or_b64 s[10:11], vcc, s[10:11]
	v_add_u32_e32 v130, 8, v130
	s_waitcnt vmcnt(0) lgkmcnt(0)
	v_fma_f64 v[125:126], v[132:133], v[134:135], v[125:126]
	s_andn2_b64 exec, exec, s[10:11]
	s_cbranch_execnz .LBB61_905
; %bb.906:
	s_or_b64 exec, exec, s[10:11]
.LBB61_907:
	s_or_b64 exec, exec, s[8:9]
	v_mov_b32_e32 v129, 0
	ds_read_b64 v[129:130], v129 offset:248
	s_waitcnt lgkmcnt(0)
	v_mul_f64 v[125:126], v[125:126], v[129:130]
	buffer_store_dword v126, off, s[0:3], 0 offset:252
	buffer_store_dword v125, off, s[0:3], 0 offset:248
.LBB61_908:
	s_or_b64 exec, exec, s[6:7]
	buffer_load_dword v125, off, s[0:3], 0 offset:256
	buffer_load_dword v126, off, s[0:3], 0 offset:260
	v_cmp_gt_u32_e32 vcc, 32, v0
	s_waitcnt vmcnt(0)
	ds_write_b64 v127, v[125:126]
	s_waitcnt lgkmcnt(0)
	; wave barrier
	s_and_saveexec_b64 s[6:7], vcc
	s_cbranch_execz .LBB61_918
; %bb.909:
	s_and_b64 vcc, exec, s[4:5]
	s_cbranch_vccnz .LBB61_911
; %bb.910:
	buffer_load_dword v125, v128, s[0:3], 0 offen
	buffer_load_dword v126, v128, s[0:3], 0 offen offset:4
	ds_read_b64 v[129:130], v127
	s_waitcnt vmcnt(0) lgkmcnt(0)
	v_mul_f64 v[125:126], v[125:126], v[129:130]
	s_cbranch_execz .LBB61_912
	s_branch .LBB61_913
.LBB61_911:
                                        ; implicit-def: $vgpr125_vgpr126
.LBB61_912:
	ds_read_b64 v[125:126], v127
.LBB61_913:
	v_cmp_ne_u32_e32 vcc, 31, v0
	s_and_saveexec_b64 s[8:9], vcc
	s_cbranch_execz .LBB61_917
; %bb.914:
	s_mov_b32 s10, 0
	v_add_u32_e32 v129, 0x1f8, v139
	v_add3_u32 v130, v139, s10, 8
	s_mov_b64 s[10:11], 0
	v_mov_b32_e32 v131, v0
.LBB61_915:                             ; =>This Inner Loop Header: Depth=1
	buffer_load_dword v132, v130, s[0:3], 0 offen
	buffer_load_dword v133, v130, s[0:3], 0 offen offset:4
	ds_read_b64 v[134:135], v129
	v_add_u32_e32 v131, 1, v131
	v_cmp_lt_u32_e32 vcc, 30, v131
	v_add_u32_e32 v129, 8, v129
	s_or_b64 s[10:11], vcc, s[10:11]
	v_add_u32_e32 v130, 8, v130
	s_waitcnt vmcnt(0) lgkmcnt(0)
	v_fma_f64 v[125:126], v[132:133], v[134:135], v[125:126]
	s_andn2_b64 exec, exec, s[10:11]
	s_cbranch_execnz .LBB61_915
; %bb.916:
	s_or_b64 exec, exec, s[10:11]
.LBB61_917:
	s_or_b64 exec, exec, s[8:9]
	v_mov_b32_e32 v129, 0
	ds_read_b64 v[129:130], v129 offset:256
	s_waitcnt lgkmcnt(0)
	v_mul_f64 v[125:126], v[125:126], v[129:130]
	buffer_store_dword v126, off, s[0:3], 0 offset:260
	buffer_store_dword v125, off, s[0:3], 0 offset:256
.LBB61_918:
	s_or_b64 exec, exec, s[6:7]
	buffer_load_dword v125, off, s[0:3], 0 offset:264
	buffer_load_dword v126, off, s[0:3], 0 offset:268
	v_cmp_gt_u32_e32 vcc, 33, v0
	s_waitcnt vmcnt(0)
	ds_write_b64 v127, v[125:126]
	s_waitcnt lgkmcnt(0)
	; wave barrier
	s_and_saveexec_b64 s[6:7], vcc
	s_cbranch_execz .LBB61_928
; %bb.919:
	s_and_b64 vcc, exec, s[4:5]
	s_cbranch_vccnz .LBB61_921
; %bb.920:
	buffer_load_dword v125, v128, s[0:3], 0 offen
	buffer_load_dword v126, v128, s[0:3], 0 offen offset:4
	ds_read_b64 v[129:130], v127
	s_waitcnt vmcnt(0) lgkmcnt(0)
	v_mul_f64 v[125:126], v[125:126], v[129:130]
	s_cbranch_execz .LBB61_922
	s_branch .LBB61_923
.LBB61_921:
                                        ; implicit-def: $vgpr125_vgpr126
.LBB61_922:
	ds_read_b64 v[125:126], v127
.LBB61_923:
	v_cmp_ne_u32_e32 vcc, 32, v0
	s_and_saveexec_b64 s[8:9], vcc
	s_cbranch_execz .LBB61_927
; %bb.924:
	s_mov_b32 s10, 0
	v_add_u32_e32 v129, 0x1f8, v139
	v_add3_u32 v130, v139, s10, 8
	s_mov_b64 s[10:11], 0
	v_mov_b32_e32 v131, v0
.LBB61_925:                             ; =>This Inner Loop Header: Depth=1
	buffer_load_dword v132, v130, s[0:3], 0 offen
	buffer_load_dword v133, v130, s[0:3], 0 offen offset:4
	ds_read_b64 v[134:135], v129
	v_add_u32_e32 v131, 1, v131
	v_cmp_lt_u32_e32 vcc, 31, v131
	v_add_u32_e32 v129, 8, v129
	s_or_b64 s[10:11], vcc, s[10:11]
	v_add_u32_e32 v130, 8, v130
	s_waitcnt vmcnt(0) lgkmcnt(0)
	v_fma_f64 v[125:126], v[132:133], v[134:135], v[125:126]
	s_andn2_b64 exec, exec, s[10:11]
	s_cbranch_execnz .LBB61_925
; %bb.926:
	s_or_b64 exec, exec, s[10:11]
.LBB61_927:
	s_or_b64 exec, exec, s[8:9]
	v_mov_b32_e32 v129, 0
	ds_read_b64 v[129:130], v129 offset:264
	s_waitcnt lgkmcnt(0)
	v_mul_f64 v[125:126], v[125:126], v[129:130]
	buffer_store_dword v126, off, s[0:3], 0 offset:268
	buffer_store_dword v125, off, s[0:3], 0 offset:264
.LBB61_928:
	s_or_b64 exec, exec, s[6:7]
	buffer_load_dword v125, off, s[0:3], 0 offset:272
	buffer_load_dword v126, off, s[0:3], 0 offset:276
	v_cmp_gt_u32_e32 vcc, 34, v0
	s_waitcnt vmcnt(0)
	ds_write_b64 v127, v[125:126]
	s_waitcnt lgkmcnt(0)
	; wave barrier
	s_and_saveexec_b64 s[6:7], vcc
	s_cbranch_execz .LBB61_938
; %bb.929:
	s_and_b64 vcc, exec, s[4:5]
	s_cbranch_vccnz .LBB61_931
; %bb.930:
	buffer_load_dword v125, v128, s[0:3], 0 offen
	buffer_load_dword v126, v128, s[0:3], 0 offen offset:4
	ds_read_b64 v[129:130], v127
	s_waitcnt vmcnt(0) lgkmcnt(0)
	v_mul_f64 v[125:126], v[125:126], v[129:130]
	s_cbranch_execz .LBB61_932
	s_branch .LBB61_933
.LBB61_931:
                                        ; implicit-def: $vgpr125_vgpr126
.LBB61_932:
	ds_read_b64 v[125:126], v127
.LBB61_933:
	v_cmp_ne_u32_e32 vcc, 33, v0
	s_and_saveexec_b64 s[8:9], vcc
	s_cbranch_execz .LBB61_937
; %bb.934:
	s_mov_b32 s10, 0
	v_add_u32_e32 v129, 0x1f8, v139
	v_add3_u32 v130, v139, s10, 8
	s_mov_b64 s[10:11], 0
	v_mov_b32_e32 v131, v0
.LBB61_935:                             ; =>This Inner Loop Header: Depth=1
	buffer_load_dword v132, v130, s[0:3], 0 offen
	buffer_load_dword v133, v130, s[0:3], 0 offen offset:4
	ds_read_b64 v[134:135], v129
	v_add_u32_e32 v131, 1, v131
	v_cmp_lt_u32_e32 vcc, 32, v131
	v_add_u32_e32 v129, 8, v129
	s_or_b64 s[10:11], vcc, s[10:11]
	v_add_u32_e32 v130, 8, v130
	s_waitcnt vmcnt(0) lgkmcnt(0)
	v_fma_f64 v[125:126], v[132:133], v[134:135], v[125:126]
	s_andn2_b64 exec, exec, s[10:11]
	s_cbranch_execnz .LBB61_935
; %bb.936:
	s_or_b64 exec, exec, s[10:11]
.LBB61_937:
	s_or_b64 exec, exec, s[8:9]
	v_mov_b32_e32 v129, 0
	ds_read_b64 v[129:130], v129 offset:272
	s_waitcnt lgkmcnt(0)
	v_mul_f64 v[125:126], v[125:126], v[129:130]
	buffer_store_dword v126, off, s[0:3], 0 offset:276
	buffer_store_dword v125, off, s[0:3], 0 offset:272
.LBB61_938:
	s_or_b64 exec, exec, s[6:7]
	buffer_load_dword v125, off, s[0:3], 0 offset:280
	buffer_load_dword v126, off, s[0:3], 0 offset:284
	v_cmp_gt_u32_e32 vcc, 35, v0
	s_waitcnt vmcnt(0)
	ds_write_b64 v127, v[125:126]
	s_waitcnt lgkmcnt(0)
	; wave barrier
	s_and_saveexec_b64 s[6:7], vcc
	s_cbranch_execz .LBB61_948
; %bb.939:
	s_and_b64 vcc, exec, s[4:5]
	s_cbranch_vccnz .LBB61_941
; %bb.940:
	buffer_load_dword v125, v128, s[0:3], 0 offen
	buffer_load_dword v126, v128, s[0:3], 0 offen offset:4
	ds_read_b64 v[129:130], v127
	s_waitcnt vmcnt(0) lgkmcnt(0)
	v_mul_f64 v[125:126], v[125:126], v[129:130]
	s_cbranch_execz .LBB61_942
	s_branch .LBB61_943
.LBB61_941:
                                        ; implicit-def: $vgpr125_vgpr126
.LBB61_942:
	ds_read_b64 v[125:126], v127
.LBB61_943:
	v_cmp_ne_u32_e32 vcc, 34, v0
	s_and_saveexec_b64 s[8:9], vcc
	s_cbranch_execz .LBB61_947
; %bb.944:
	s_mov_b32 s10, 0
	v_add_u32_e32 v129, 0x1f8, v139
	v_add3_u32 v130, v139, s10, 8
	s_mov_b64 s[10:11], 0
	v_mov_b32_e32 v131, v0
.LBB61_945:                             ; =>This Inner Loop Header: Depth=1
	buffer_load_dword v132, v130, s[0:3], 0 offen
	buffer_load_dword v133, v130, s[0:3], 0 offen offset:4
	ds_read_b64 v[134:135], v129
	v_add_u32_e32 v131, 1, v131
	v_cmp_lt_u32_e32 vcc, 33, v131
	v_add_u32_e32 v129, 8, v129
	s_or_b64 s[10:11], vcc, s[10:11]
	v_add_u32_e32 v130, 8, v130
	s_waitcnt vmcnt(0) lgkmcnt(0)
	v_fma_f64 v[125:126], v[132:133], v[134:135], v[125:126]
	s_andn2_b64 exec, exec, s[10:11]
	s_cbranch_execnz .LBB61_945
; %bb.946:
	s_or_b64 exec, exec, s[10:11]
.LBB61_947:
	s_or_b64 exec, exec, s[8:9]
	v_mov_b32_e32 v129, 0
	ds_read_b64 v[129:130], v129 offset:280
	s_waitcnt lgkmcnt(0)
	v_mul_f64 v[125:126], v[125:126], v[129:130]
	buffer_store_dword v126, off, s[0:3], 0 offset:284
	buffer_store_dword v125, off, s[0:3], 0 offset:280
.LBB61_948:
	s_or_b64 exec, exec, s[6:7]
	buffer_load_dword v125, off, s[0:3], 0 offset:288
	buffer_load_dword v126, off, s[0:3], 0 offset:292
	v_cmp_gt_u32_e32 vcc, 36, v0
	s_waitcnt vmcnt(0)
	ds_write_b64 v127, v[125:126]
	s_waitcnt lgkmcnt(0)
	; wave barrier
	s_and_saveexec_b64 s[6:7], vcc
	s_cbranch_execz .LBB61_958
; %bb.949:
	s_and_b64 vcc, exec, s[4:5]
	s_cbranch_vccnz .LBB61_951
; %bb.950:
	buffer_load_dword v125, v128, s[0:3], 0 offen
	buffer_load_dword v126, v128, s[0:3], 0 offen offset:4
	ds_read_b64 v[129:130], v127
	s_waitcnt vmcnt(0) lgkmcnt(0)
	v_mul_f64 v[125:126], v[125:126], v[129:130]
	s_cbranch_execz .LBB61_952
	s_branch .LBB61_953
.LBB61_951:
                                        ; implicit-def: $vgpr125_vgpr126
.LBB61_952:
	ds_read_b64 v[125:126], v127
.LBB61_953:
	v_cmp_ne_u32_e32 vcc, 35, v0
	s_and_saveexec_b64 s[8:9], vcc
	s_cbranch_execz .LBB61_957
; %bb.954:
	s_mov_b32 s10, 0
	v_add_u32_e32 v129, 0x1f8, v139
	v_add3_u32 v130, v139, s10, 8
	s_mov_b64 s[10:11], 0
	v_mov_b32_e32 v131, v0
.LBB61_955:                             ; =>This Inner Loop Header: Depth=1
	buffer_load_dword v132, v130, s[0:3], 0 offen
	buffer_load_dword v133, v130, s[0:3], 0 offen offset:4
	ds_read_b64 v[134:135], v129
	v_add_u32_e32 v131, 1, v131
	v_cmp_lt_u32_e32 vcc, 34, v131
	v_add_u32_e32 v129, 8, v129
	s_or_b64 s[10:11], vcc, s[10:11]
	v_add_u32_e32 v130, 8, v130
	s_waitcnt vmcnt(0) lgkmcnt(0)
	v_fma_f64 v[125:126], v[132:133], v[134:135], v[125:126]
	s_andn2_b64 exec, exec, s[10:11]
	s_cbranch_execnz .LBB61_955
; %bb.956:
	s_or_b64 exec, exec, s[10:11]
.LBB61_957:
	s_or_b64 exec, exec, s[8:9]
	v_mov_b32_e32 v129, 0
	ds_read_b64 v[129:130], v129 offset:288
	s_waitcnt lgkmcnt(0)
	v_mul_f64 v[125:126], v[125:126], v[129:130]
	buffer_store_dword v126, off, s[0:3], 0 offset:292
	buffer_store_dword v125, off, s[0:3], 0 offset:288
.LBB61_958:
	s_or_b64 exec, exec, s[6:7]
	buffer_load_dword v125, off, s[0:3], 0 offset:296
	buffer_load_dword v126, off, s[0:3], 0 offset:300
	v_cmp_gt_u32_e32 vcc, 37, v0
	s_waitcnt vmcnt(0)
	ds_write_b64 v127, v[125:126]
	s_waitcnt lgkmcnt(0)
	; wave barrier
	s_and_saveexec_b64 s[6:7], vcc
	s_cbranch_execz .LBB61_968
; %bb.959:
	s_and_b64 vcc, exec, s[4:5]
	s_cbranch_vccnz .LBB61_961
; %bb.960:
	buffer_load_dword v125, v128, s[0:3], 0 offen
	buffer_load_dword v126, v128, s[0:3], 0 offen offset:4
	ds_read_b64 v[129:130], v127
	s_waitcnt vmcnt(0) lgkmcnt(0)
	v_mul_f64 v[125:126], v[125:126], v[129:130]
	s_cbranch_execz .LBB61_962
	s_branch .LBB61_963
.LBB61_961:
                                        ; implicit-def: $vgpr125_vgpr126
.LBB61_962:
	ds_read_b64 v[125:126], v127
.LBB61_963:
	v_cmp_ne_u32_e32 vcc, 36, v0
	s_and_saveexec_b64 s[8:9], vcc
	s_cbranch_execz .LBB61_967
; %bb.964:
	s_mov_b32 s10, 0
	v_add_u32_e32 v129, 0x1f8, v139
	v_add3_u32 v130, v139, s10, 8
	s_mov_b64 s[10:11], 0
	v_mov_b32_e32 v131, v0
.LBB61_965:                             ; =>This Inner Loop Header: Depth=1
	buffer_load_dword v132, v130, s[0:3], 0 offen
	buffer_load_dword v133, v130, s[0:3], 0 offen offset:4
	ds_read_b64 v[134:135], v129
	v_add_u32_e32 v131, 1, v131
	v_cmp_lt_u32_e32 vcc, 35, v131
	v_add_u32_e32 v129, 8, v129
	s_or_b64 s[10:11], vcc, s[10:11]
	v_add_u32_e32 v130, 8, v130
	s_waitcnt vmcnt(0) lgkmcnt(0)
	v_fma_f64 v[125:126], v[132:133], v[134:135], v[125:126]
	s_andn2_b64 exec, exec, s[10:11]
	s_cbranch_execnz .LBB61_965
; %bb.966:
	s_or_b64 exec, exec, s[10:11]
.LBB61_967:
	s_or_b64 exec, exec, s[8:9]
	v_mov_b32_e32 v129, 0
	ds_read_b64 v[129:130], v129 offset:296
	s_waitcnt lgkmcnt(0)
	v_mul_f64 v[125:126], v[125:126], v[129:130]
	buffer_store_dword v126, off, s[0:3], 0 offset:300
	buffer_store_dword v125, off, s[0:3], 0 offset:296
.LBB61_968:
	s_or_b64 exec, exec, s[6:7]
	buffer_load_dword v125, off, s[0:3], 0 offset:304
	buffer_load_dword v126, off, s[0:3], 0 offset:308
	v_cmp_gt_u32_e32 vcc, 38, v0
	s_waitcnt vmcnt(0)
	ds_write_b64 v127, v[125:126]
	s_waitcnt lgkmcnt(0)
	; wave barrier
	s_and_saveexec_b64 s[6:7], vcc
	s_cbranch_execz .LBB61_978
; %bb.969:
	s_and_b64 vcc, exec, s[4:5]
	s_cbranch_vccnz .LBB61_971
; %bb.970:
	buffer_load_dword v125, v128, s[0:3], 0 offen
	buffer_load_dword v126, v128, s[0:3], 0 offen offset:4
	ds_read_b64 v[129:130], v127
	s_waitcnt vmcnt(0) lgkmcnt(0)
	v_mul_f64 v[125:126], v[125:126], v[129:130]
	s_cbranch_execz .LBB61_972
	s_branch .LBB61_973
.LBB61_971:
                                        ; implicit-def: $vgpr125_vgpr126
.LBB61_972:
	ds_read_b64 v[125:126], v127
.LBB61_973:
	v_cmp_ne_u32_e32 vcc, 37, v0
	s_and_saveexec_b64 s[8:9], vcc
	s_cbranch_execz .LBB61_977
; %bb.974:
	s_mov_b32 s10, 0
	v_add_u32_e32 v129, 0x1f8, v139
	v_add3_u32 v130, v139, s10, 8
	s_mov_b64 s[10:11], 0
	v_mov_b32_e32 v131, v0
.LBB61_975:                             ; =>This Inner Loop Header: Depth=1
	buffer_load_dword v132, v130, s[0:3], 0 offen
	buffer_load_dword v133, v130, s[0:3], 0 offen offset:4
	ds_read_b64 v[134:135], v129
	v_add_u32_e32 v131, 1, v131
	v_cmp_lt_u32_e32 vcc, 36, v131
	v_add_u32_e32 v129, 8, v129
	s_or_b64 s[10:11], vcc, s[10:11]
	v_add_u32_e32 v130, 8, v130
	s_waitcnt vmcnt(0) lgkmcnt(0)
	v_fma_f64 v[125:126], v[132:133], v[134:135], v[125:126]
	s_andn2_b64 exec, exec, s[10:11]
	s_cbranch_execnz .LBB61_975
; %bb.976:
	s_or_b64 exec, exec, s[10:11]
.LBB61_977:
	s_or_b64 exec, exec, s[8:9]
	v_mov_b32_e32 v129, 0
	ds_read_b64 v[129:130], v129 offset:304
	s_waitcnt lgkmcnt(0)
	v_mul_f64 v[125:126], v[125:126], v[129:130]
	buffer_store_dword v126, off, s[0:3], 0 offset:308
	buffer_store_dword v125, off, s[0:3], 0 offset:304
.LBB61_978:
	s_or_b64 exec, exec, s[6:7]
	buffer_load_dword v125, off, s[0:3], 0 offset:312
	buffer_load_dword v126, off, s[0:3], 0 offset:316
	v_cmp_gt_u32_e32 vcc, 39, v0
	s_waitcnt vmcnt(0)
	ds_write_b64 v127, v[125:126]
	s_waitcnt lgkmcnt(0)
	; wave barrier
	s_and_saveexec_b64 s[6:7], vcc
	s_cbranch_execz .LBB61_988
; %bb.979:
	s_and_b64 vcc, exec, s[4:5]
	s_cbranch_vccnz .LBB61_981
; %bb.980:
	buffer_load_dword v125, v128, s[0:3], 0 offen
	buffer_load_dword v126, v128, s[0:3], 0 offen offset:4
	ds_read_b64 v[129:130], v127
	s_waitcnt vmcnt(0) lgkmcnt(0)
	v_mul_f64 v[125:126], v[125:126], v[129:130]
	s_cbranch_execz .LBB61_982
	s_branch .LBB61_983
.LBB61_981:
                                        ; implicit-def: $vgpr125_vgpr126
.LBB61_982:
	ds_read_b64 v[125:126], v127
.LBB61_983:
	v_cmp_ne_u32_e32 vcc, 38, v0
	s_and_saveexec_b64 s[8:9], vcc
	s_cbranch_execz .LBB61_987
; %bb.984:
	s_mov_b32 s10, 0
	v_add_u32_e32 v129, 0x1f8, v139
	v_add3_u32 v130, v139, s10, 8
	s_mov_b64 s[10:11], 0
	v_mov_b32_e32 v131, v0
.LBB61_985:                             ; =>This Inner Loop Header: Depth=1
	buffer_load_dword v132, v130, s[0:3], 0 offen
	buffer_load_dword v133, v130, s[0:3], 0 offen offset:4
	ds_read_b64 v[134:135], v129
	v_add_u32_e32 v131, 1, v131
	v_cmp_lt_u32_e32 vcc, 37, v131
	v_add_u32_e32 v129, 8, v129
	s_or_b64 s[10:11], vcc, s[10:11]
	v_add_u32_e32 v130, 8, v130
	s_waitcnt vmcnt(0) lgkmcnt(0)
	v_fma_f64 v[125:126], v[132:133], v[134:135], v[125:126]
	s_andn2_b64 exec, exec, s[10:11]
	s_cbranch_execnz .LBB61_985
; %bb.986:
	s_or_b64 exec, exec, s[10:11]
.LBB61_987:
	s_or_b64 exec, exec, s[8:9]
	v_mov_b32_e32 v129, 0
	ds_read_b64 v[129:130], v129 offset:312
	s_waitcnt lgkmcnt(0)
	v_mul_f64 v[125:126], v[125:126], v[129:130]
	buffer_store_dword v126, off, s[0:3], 0 offset:316
	buffer_store_dword v125, off, s[0:3], 0 offset:312
.LBB61_988:
	s_or_b64 exec, exec, s[6:7]
	buffer_load_dword v125, off, s[0:3], 0 offset:320
	buffer_load_dword v126, off, s[0:3], 0 offset:324
	v_cmp_gt_u32_e32 vcc, 40, v0
	s_waitcnt vmcnt(0)
	ds_write_b64 v127, v[125:126]
	s_waitcnt lgkmcnt(0)
	; wave barrier
	s_and_saveexec_b64 s[6:7], vcc
	s_cbranch_execz .LBB61_998
; %bb.989:
	s_and_b64 vcc, exec, s[4:5]
	s_cbranch_vccnz .LBB61_991
; %bb.990:
	buffer_load_dword v125, v128, s[0:3], 0 offen
	buffer_load_dword v126, v128, s[0:3], 0 offen offset:4
	ds_read_b64 v[129:130], v127
	s_waitcnt vmcnt(0) lgkmcnt(0)
	v_mul_f64 v[125:126], v[125:126], v[129:130]
	s_cbranch_execz .LBB61_992
	s_branch .LBB61_993
.LBB61_991:
                                        ; implicit-def: $vgpr125_vgpr126
.LBB61_992:
	ds_read_b64 v[125:126], v127
.LBB61_993:
	v_cmp_ne_u32_e32 vcc, 39, v0
	s_and_saveexec_b64 s[8:9], vcc
	s_cbranch_execz .LBB61_997
; %bb.994:
	s_mov_b32 s10, 0
	v_add_u32_e32 v129, 0x1f8, v139
	v_add3_u32 v130, v139, s10, 8
	s_mov_b64 s[10:11], 0
	v_mov_b32_e32 v131, v0
.LBB61_995:                             ; =>This Inner Loop Header: Depth=1
	buffer_load_dword v132, v130, s[0:3], 0 offen
	buffer_load_dword v133, v130, s[0:3], 0 offen offset:4
	ds_read_b64 v[134:135], v129
	v_add_u32_e32 v131, 1, v131
	v_cmp_lt_u32_e32 vcc, 38, v131
	v_add_u32_e32 v129, 8, v129
	s_or_b64 s[10:11], vcc, s[10:11]
	v_add_u32_e32 v130, 8, v130
	s_waitcnt vmcnt(0) lgkmcnt(0)
	v_fma_f64 v[125:126], v[132:133], v[134:135], v[125:126]
	s_andn2_b64 exec, exec, s[10:11]
	s_cbranch_execnz .LBB61_995
; %bb.996:
	s_or_b64 exec, exec, s[10:11]
.LBB61_997:
	s_or_b64 exec, exec, s[8:9]
	v_mov_b32_e32 v129, 0
	ds_read_b64 v[129:130], v129 offset:320
	s_waitcnt lgkmcnt(0)
	v_mul_f64 v[125:126], v[125:126], v[129:130]
	buffer_store_dword v126, off, s[0:3], 0 offset:324
	buffer_store_dword v125, off, s[0:3], 0 offset:320
.LBB61_998:
	s_or_b64 exec, exec, s[6:7]
	buffer_load_dword v125, off, s[0:3], 0 offset:328
	buffer_load_dword v126, off, s[0:3], 0 offset:332
	v_cmp_gt_u32_e32 vcc, 41, v0
	s_waitcnt vmcnt(0)
	ds_write_b64 v127, v[125:126]
	s_waitcnt lgkmcnt(0)
	; wave barrier
	s_and_saveexec_b64 s[6:7], vcc
	s_cbranch_execz .LBB61_1008
; %bb.999:
	s_and_b64 vcc, exec, s[4:5]
	s_cbranch_vccnz .LBB61_1001
; %bb.1000:
	buffer_load_dword v125, v128, s[0:3], 0 offen
	buffer_load_dword v126, v128, s[0:3], 0 offen offset:4
	ds_read_b64 v[129:130], v127
	s_waitcnt vmcnt(0) lgkmcnt(0)
	v_mul_f64 v[125:126], v[125:126], v[129:130]
	s_cbranch_execz .LBB61_1002
	s_branch .LBB61_1003
.LBB61_1001:
                                        ; implicit-def: $vgpr125_vgpr126
.LBB61_1002:
	ds_read_b64 v[125:126], v127
.LBB61_1003:
	v_cmp_ne_u32_e32 vcc, 40, v0
	s_and_saveexec_b64 s[8:9], vcc
	s_cbranch_execz .LBB61_1007
; %bb.1004:
	s_mov_b32 s10, 0
	v_add_u32_e32 v129, 0x1f8, v139
	v_add3_u32 v130, v139, s10, 8
	s_mov_b64 s[10:11], 0
	v_mov_b32_e32 v131, v0
.LBB61_1005:                            ; =>This Inner Loop Header: Depth=1
	buffer_load_dword v132, v130, s[0:3], 0 offen
	buffer_load_dword v133, v130, s[0:3], 0 offen offset:4
	ds_read_b64 v[134:135], v129
	v_add_u32_e32 v131, 1, v131
	v_cmp_lt_u32_e32 vcc, 39, v131
	v_add_u32_e32 v129, 8, v129
	s_or_b64 s[10:11], vcc, s[10:11]
	v_add_u32_e32 v130, 8, v130
	s_waitcnt vmcnt(0) lgkmcnt(0)
	v_fma_f64 v[125:126], v[132:133], v[134:135], v[125:126]
	s_andn2_b64 exec, exec, s[10:11]
	s_cbranch_execnz .LBB61_1005
; %bb.1006:
	s_or_b64 exec, exec, s[10:11]
.LBB61_1007:
	s_or_b64 exec, exec, s[8:9]
	v_mov_b32_e32 v129, 0
	ds_read_b64 v[129:130], v129 offset:328
	s_waitcnt lgkmcnt(0)
	v_mul_f64 v[125:126], v[125:126], v[129:130]
	buffer_store_dword v126, off, s[0:3], 0 offset:332
	buffer_store_dword v125, off, s[0:3], 0 offset:328
.LBB61_1008:
	s_or_b64 exec, exec, s[6:7]
	buffer_load_dword v125, off, s[0:3], 0 offset:336
	buffer_load_dword v126, off, s[0:3], 0 offset:340
	v_cmp_gt_u32_e32 vcc, 42, v0
	s_waitcnt vmcnt(0)
	ds_write_b64 v127, v[125:126]
	s_waitcnt lgkmcnt(0)
	; wave barrier
	s_and_saveexec_b64 s[6:7], vcc
	s_cbranch_execz .LBB61_1018
; %bb.1009:
	s_and_b64 vcc, exec, s[4:5]
	s_cbranch_vccnz .LBB61_1011
; %bb.1010:
	buffer_load_dword v125, v128, s[0:3], 0 offen
	buffer_load_dword v126, v128, s[0:3], 0 offen offset:4
	ds_read_b64 v[129:130], v127
	s_waitcnt vmcnt(0) lgkmcnt(0)
	v_mul_f64 v[125:126], v[125:126], v[129:130]
	s_cbranch_execz .LBB61_1012
	s_branch .LBB61_1013
.LBB61_1011:
                                        ; implicit-def: $vgpr125_vgpr126
.LBB61_1012:
	ds_read_b64 v[125:126], v127
.LBB61_1013:
	v_cmp_ne_u32_e32 vcc, 41, v0
	s_and_saveexec_b64 s[8:9], vcc
	s_cbranch_execz .LBB61_1017
; %bb.1014:
	s_mov_b32 s10, 0
	v_add_u32_e32 v129, 0x1f8, v139
	v_add3_u32 v130, v139, s10, 8
	s_mov_b64 s[10:11], 0
	v_mov_b32_e32 v131, v0
.LBB61_1015:                            ; =>This Inner Loop Header: Depth=1
	buffer_load_dword v132, v130, s[0:3], 0 offen
	buffer_load_dword v133, v130, s[0:3], 0 offen offset:4
	ds_read_b64 v[134:135], v129
	v_add_u32_e32 v131, 1, v131
	v_cmp_lt_u32_e32 vcc, 40, v131
	v_add_u32_e32 v129, 8, v129
	s_or_b64 s[10:11], vcc, s[10:11]
	v_add_u32_e32 v130, 8, v130
	s_waitcnt vmcnt(0) lgkmcnt(0)
	v_fma_f64 v[125:126], v[132:133], v[134:135], v[125:126]
	s_andn2_b64 exec, exec, s[10:11]
	s_cbranch_execnz .LBB61_1015
; %bb.1016:
	s_or_b64 exec, exec, s[10:11]
.LBB61_1017:
	s_or_b64 exec, exec, s[8:9]
	v_mov_b32_e32 v129, 0
	ds_read_b64 v[129:130], v129 offset:336
	s_waitcnt lgkmcnt(0)
	v_mul_f64 v[125:126], v[125:126], v[129:130]
	buffer_store_dword v126, off, s[0:3], 0 offset:340
	buffer_store_dword v125, off, s[0:3], 0 offset:336
.LBB61_1018:
	;; [unrolled: 59-line block ×19, first 2 shown]
	s_or_b64 exec, exec, s[6:7]
	buffer_load_dword v125, off, s[0:3], 0 offset:480
	buffer_load_dword v126, off, s[0:3], 0 offset:484
	v_cmp_gt_u32_e64 s[6:7], 60, v0
	s_waitcnt vmcnt(0)
	ds_write_b64 v127, v[125:126]
	s_waitcnt lgkmcnt(0)
	; wave barrier
	s_and_saveexec_b64 s[8:9], s[6:7]
	s_cbranch_execz .LBB61_1198
; %bb.1189:
	s_and_b64 vcc, exec, s[4:5]
	s_cbranch_vccnz .LBB61_1191
; %bb.1190:
	buffer_load_dword v125, v128, s[0:3], 0 offen
	buffer_load_dword v126, v128, s[0:3], 0 offen offset:4
	ds_read_b64 v[129:130], v127
	s_waitcnt vmcnt(0) lgkmcnt(0)
	v_mul_f64 v[125:126], v[125:126], v[129:130]
	s_cbranch_execz .LBB61_1192
	s_branch .LBB61_1193
.LBB61_1191:
                                        ; implicit-def: $vgpr125_vgpr126
.LBB61_1192:
	ds_read_b64 v[125:126], v127
.LBB61_1193:
	v_cmp_ne_u32_e32 vcc, 59, v0
	s_and_saveexec_b64 s[10:11], vcc
	s_cbranch_execz .LBB61_1197
; %bb.1194:
	s_mov_b32 s12, 0
	v_add_u32_e32 v129, 0x1f8, v139
	v_add3_u32 v130, v139, s12, 8
	s_mov_b64 s[12:13], 0
	v_mov_b32_e32 v131, v0
.LBB61_1195:                            ; =>This Inner Loop Header: Depth=1
	buffer_load_dword v132, v130, s[0:3], 0 offen
	buffer_load_dword v133, v130, s[0:3], 0 offen offset:4
	ds_read_b64 v[134:135], v129
	v_add_u32_e32 v131, 1, v131
	v_cmp_lt_u32_e32 vcc, 58, v131
	v_add_u32_e32 v129, 8, v129
	s_or_b64 s[12:13], vcc, s[12:13]
	v_add_u32_e32 v130, 8, v130
	s_waitcnt vmcnt(0) lgkmcnt(0)
	v_fma_f64 v[125:126], v[132:133], v[134:135], v[125:126]
	s_andn2_b64 exec, exec, s[12:13]
	s_cbranch_execnz .LBB61_1195
; %bb.1196:
	s_or_b64 exec, exec, s[12:13]
.LBB61_1197:
	s_or_b64 exec, exec, s[10:11]
	v_mov_b32_e32 v129, 0
	ds_read_b64 v[129:130], v129 offset:480
	s_waitcnt lgkmcnt(0)
	v_mul_f64 v[125:126], v[125:126], v[129:130]
	buffer_store_dword v126, off, s[0:3], 0 offset:484
	buffer_store_dword v125, off, s[0:3], 0 offset:480
.LBB61_1198:
	s_or_b64 exec, exec, s[8:9]
	buffer_load_dword v125, off, s[0:3], 0 offset:488
	buffer_load_dword v126, off, s[0:3], 0 offset:492
	v_cmp_ne_u32_e32 vcc, 61, v0
	s_waitcnt vmcnt(0)
	ds_write_b64 v127, v[125:126]
	s_waitcnt lgkmcnt(0)
	; wave barrier
	s_and_saveexec_b64 s[8:9], vcc
	s_cbranch_execz .LBB61_1208
; %bb.1199:
	s_and_b64 vcc, exec, s[4:5]
	s_cbranch_vccnz .LBB61_1201
; %bb.1200:
	buffer_load_dword v125, v128, s[0:3], 0 offen
	buffer_load_dword v126, v128, s[0:3], 0 offen offset:4
	ds_read_b64 v[128:129], v127
	s_waitcnt vmcnt(0) lgkmcnt(0)
	v_mul_f64 v[125:126], v[125:126], v[128:129]
	s_cbranch_execz .LBB61_1202
	s_branch .LBB61_1203
.LBB61_1201:
                                        ; implicit-def: $vgpr125_vgpr126
.LBB61_1202:
	ds_read_b64 v[125:126], v127
.LBB61_1203:
	s_and_saveexec_b64 s[4:5], s[6:7]
	s_cbranch_execz .LBB61_1207
; %bb.1204:
	s_mov_b32 s6, 0
	v_add_u32_e32 v127, 0x1f8, v139
	v_add3_u32 v128, v139, s6, 8
	s_mov_b64 s[6:7], 0
.LBB61_1205:                            ; =>This Inner Loop Header: Depth=1
	buffer_load_dword v129, v128, s[0:3], 0 offen
	buffer_load_dword v130, v128, s[0:3], 0 offen offset:4
	ds_read_b64 v[131:132], v127
	v_add_u32_e32 v0, 1, v0
	v_cmp_lt_u32_e32 vcc, 59, v0
	v_add_u32_e32 v127, 8, v127
	s_or_b64 s[6:7], vcc, s[6:7]
	v_add_u32_e32 v128, 8, v128
	s_waitcnt vmcnt(0) lgkmcnt(0)
	v_fma_f64 v[125:126], v[129:130], v[131:132], v[125:126]
	s_andn2_b64 exec, exec, s[6:7]
	s_cbranch_execnz .LBB61_1205
; %bb.1206:
	s_or_b64 exec, exec, s[6:7]
.LBB61_1207:
	s_or_b64 exec, exec, s[4:5]
	v_mov_b32_e32 v0, 0
	ds_read_b64 v[127:128], v0 offset:488
	s_waitcnt lgkmcnt(0)
	v_mul_f64 v[125:126], v[125:126], v[127:128]
	buffer_store_dword v126, off, s[0:3], 0 offset:492
	buffer_store_dword v125, off, s[0:3], 0 offset:488
.LBB61_1208:
	s_or_b64 exec, exec, s[8:9]
.LBB61_1209:
	buffer_load_dword v125, off, s[0:3], 0
	buffer_load_dword v126, off, s[0:3], 0 offset:4
	buffer_load_dword v127, off, s[0:3], 0 offset:8
	;; [unrolled: 1-line block ×123, first 2 shown]
	s_waitcnt vmcnt(62)
	global_store_dwordx2 v[1:2], v[125:126], off
	global_store_dwordx2 v[3:4], v[127:128], off
	;; [unrolled: 1-line block ×31, first 2 shown]
	s_waitcnt vmcnt(62)
	global_store_dwordx2 v[65:66], v[187:188], off
	global_store_dwordx2 v[67:68], v[189:190], off
	;; [unrolled: 1-line block ×15, first 2 shown]
	s_waitcnt vmcnt(62)
	global_store_dwordx2 v[95:96], v[217:218], off
	global_store_dwordx2 v[97:98], v[219:220], off
	;; [unrolled: 1-line block ×8, first 2 shown]
	s_waitcnt vmcnt(62)
	global_store_dwordx2 v[111:112], v[233:234], off
	global_store_dwordx2 v[113:114], v[235:236], off
	;; [unrolled: 1-line block ×4, first 2 shown]
	s_waitcnt vmcnt(62)
	global_store_dwordx2 v[119:120], v[241:242], off
	global_store_dwordx2 v[121:122], v[243:244], off
	s_waitcnt vmcnt(62)
	global_store_dwordx2 v[123:124], v[245:246], off
	s_waitcnt vmcnt(61)
	global_store_dwordx2 v[43:44], v[247:248], off
.LBB61_1210:
	s_endpgm
	.section	.rodata,"a",@progbits
	.p2align	6, 0x0
	.amdhsa_kernel _ZN9rocsolver6v33100L18trti2_kernel_smallILi62EdPdEEv13rocblas_fill_17rocblas_diagonal_T1_iil
		.amdhsa_group_segment_fixed_size 992
		.amdhsa_private_segment_fixed_size 512
		.amdhsa_kernarg_size 32
		.amdhsa_user_sgpr_count 6
		.amdhsa_user_sgpr_private_segment_buffer 1
		.amdhsa_user_sgpr_dispatch_ptr 0
		.amdhsa_user_sgpr_queue_ptr 0
		.amdhsa_user_sgpr_kernarg_segment_ptr 1
		.amdhsa_user_sgpr_dispatch_id 0
		.amdhsa_user_sgpr_flat_scratch_init 0
		.amdhsa_user_sgpr_private_segment_size 0
		.amdhsa_uses_dynamic_stack 0
		.amdhsa_system_sgpr_private_segment_wavefront_offset 1
		.amdhsa_system_sgpr_workgroup_id_x 1
		.amdhsa_system_sgpr_workgroup_id_y 0
		.amdhsa_system_sgpr_workgroup_id_z 0
		.amdhsa_system_sgpr_workgroup_info 0
		.amdhsa_system_vgpr_workitem_id 0
		.amdhsa_next_free_vgpr 249
		.amdhsa_next_free_sgpr 75
		.amdhsa_reserve_vcc 1
		.amdhsa_reserve_flat_scratch 0
		.amdhsa_float_round_mode_32 0
		.amdhsa_float_round_mode_16_64 0
		.amdhsa_float_denorm_mode_32 3
		.amdhsa_float_denorm_mode_16_64 3
		.amdhsa_dx10_clamp 1
		.amdhsa_ieee_mode 1
		.amdhsa_fp16_overflow 0
		.amdhsa_exception_fp_ieee_invalid_op 0
		.amdhsa_exception_fp_denorm_src 0
		.amdhsa_exception_fp_ieee_div_zero 0
		.amdhsa_exception_fp_ieee_overflow 0
		.amdhsa_exception_fp_ieee_underflow 0
		.amdhsa_exception_fp_ieee_inexact 0
		.amdhsa_exception_int_div_zero 0
	.end_amdhsa_kernel
	.section	.text._ZN9rocsolver6v33100L18trti2_kernel_smallILi62EdPdEEv13rocblas_fill_17rocblas_diagonal_T1_iil,"axG",@progbits,_ZN9rocsolver6v33100L18trti2_kernel_smallILi62EdPdEEv13rocblas_fill_17rocblas_diagonal_T1_iil,comdat
.Lfunc_end61:
	.size	_ZN9rocsolver6v33100L18trti2_kernel_smallILi62EdPdEEv13rocblas_fill_17rocblas_diagonal_T1_iil, .Lfunc_end61-_ZN9rocsolver6v33100L18trti2_kernel_smallILi62EdPdEEv13rocblas_fill_17rocblas_diagonal_T1_iil
                                        ; -- End function
	.set _ZN9rocsolver6v33100L18trti2_kernel_smallILi62EdPdEEv13rocblas_fill_17rocblas_diagonal_T1_iil.num_vgpr, 249
	.set _ZN9rocsolver6v33100L18trti2_kernel_smallILi62EdPdEEv13rocblas_fill_17rocblas_diagonal_T1_iil.num_agpr, 0
	.set _ZN9rocsolver6v33100L18trti2_kernel_smallILi62EdPdEEv13rocblas_fill_17rocblas_diagonal_T1_iil.numbered_sgpr, 75
	.set _ZN9rocsolver6v33100L18trti2_kernel_smallILi62EdPdEEv13rocblas_fill_17rocblas_diagonal_T1_iil.num_named_barrier, 0
	.set _ZN9rocsolver6v33100L18trti2_kernel_smallILi62EdPdEEv13rocblas_fill_17rocblas_diagonal_T1_iil.private_seg_size, 512
	.set _ZN9rocsolver6v33100L18trti2_kernel_smallILi62EdPdEEv13rocblas_fill_17rocblas_diagonal_T1_iil.uses_vcc, 1
	.set _ZN9rocsolver6v33100L18trti2_kernel_smallILi62EdPdEEv13rocblas_fill_17rocblas_diagonal_T1_iil.uses_flat_scratch, 0
	.set _ZN9rocsolver6v33100L18trti2_kernel_smallILi62EdPdEEv13rocblas_fill_17rocblas_diagonal_T1_iil.has_dyn_sized_stack, 0
	.set _ZN9rocsolver6v33100L18trti2_kernel_smallILi62EdPdEEv13rocblas_fill_17rocblas_diagonal_T1_iil.has_recursion, 0
	.set _ZN9rocsolver6v33100L18trti2_kernel_smallILi62EdPdEEv13rocblas_fill_17rocblas_diagonal_T1_iil.has_indirect_call, 0
	.section	.AMDGPU.csdata,"",@progbits
; Kernel info:
; codeLenInByte = 36608
; TotalNumSgprs: 79
; NumVgprs: 249
; ScratchSize: 512
; MemoryBound: 0
; FloatMode: 240
; IeeeMode: 1
; LDSByteSize: 992 bytes/workgroup (compile time only)
; SGPRBlocks: 9
; VGPRBlocks: 62
; NumSGPRsForWavesPerEU: 79
; NumVGPRsForWavesPerEU: 249
; Occupancy: 1
; WaveLimiterHint : 0
; COMPUTE_PGM_RSRC2:SCRATCH_EN: 1
; COMPUTE_PGM_RSRC2:USER_SGPR: 6
; COMPUTE_PGM_RSRC2:TRAP_HANDLER: 0
; COMPUTE_PGM_RSRC2:TGID_X_EN: 1
; COMPUTE_PGM_RSRC2:TGID_Y_EN: 0
; COMPUTE_PGM_RSRC2:TGID_Z_EN: 0
; COMPUTE_PGM_RSRC2:TIDIG_COMP_CNT: 0
	.section	.text._ZN9rocsolver6v33100L18trti2_kernel_smallILi63EdPdEEv13rocblas_fill_17rocblas_diagonal_T1_iil,"axG",@progbits,_ZN9rocsolver6v33100L18trti2_kernel_smallILi63EdPdEEv13rocblas_fill_17rocblas_diagonal_T1_iil,comdat
	.globl	_ZN9rocsolver6v33100L18trti2_kernel_smallILi63EdPdEEv13rocblas_fill_17rocblas_diagonal_T1_iil ; -- Begin function _ZN9rocsolver6v33100L18trti2_kernel_smallILi63EdPdEEv13rocblas_fill_17rocblas_diagonal_T1_iil
	.p2align	8
	.type	_ZN9rocsolver6v33100L18trti2_kernel_smallILi63EdPdEEv13rocblas_fill_17rocblas_diagonal_T1_iil,@function
_ZN9rocsolver6v33100L18trti2_kernel_smallILi63EdPdEEv13rocblas_fill_17rocblas_diagonal_T1_iil: ; @_ZN9rocsolver6v33100L18trti2_kernel_smallILi63EdPdEEv13rocblas_fill_17rocblas_diagonal_T1_iil
; %bb.0:
	s_add_u32 s0, s0, s7
	s_addc_u32 s1, s1, 0
	v_cmp_gt_u32_e32 vcc, 63, v0
	s_and_saveexec_b64 s[8:9], vcc
	s_cbranch_execz .LBB62_1230
; %bb.1:
	s_load_dwordx8 s[8:15], s[4:5], 0x0
	s_ashr_i32 s7, s6, 31
	v_lshlrev_b32_e32 v129, 3, v0
	s_waitcnt lgkmcnt(0)
	s_ashr_i32 s5, s12, 31
	s_mov_b32 s4, s12
	s_mul_hi_u32 s12, s14, s6
	s_mul_i32 s7, s14, s7
	s_add_i32 s7, s12, s7
	s_mul_i32 s12, s15, s6
	s_add_i32 s7, s7, s12
	s_mul_i32 s6, s14, s6
	s_lshl_b64 s[6:7], s[6:7], 3
	s_add_u32 s6, s10, s6
	s_addc_u32 s7, s11, s7
	s_lshl_b64 s[4:5], s[4:5], 3
	s_add_u32 s4, s6, s4
	s_addc_u32 s5, s7, s5
	s_add_i32 s6, s13, s13
	v_add_u32_e32 v3, s6, v0
	v_ashrrev_i32_e32 v4, 31, v3
	v_lshlrev_b64 v[1:2], 3, v[3:4]
	v_add_u32_e32 v5, s13, v3
	v_mov_b32_e32 v4, s5
	v_add_co_u32_e32 v1, vcc, s4, v1
	v_ashrrev_i32_e32 v6, 31, v5
	v_addc_co_u32_e32 v2, vcc, v4, v2, vcc
	v_lshlrev_b64 v[3:4], 3, v[5:6]
	v_add_u32_e32 v7, s13, v5
	v_mov_b32_e32 v6, s5
	v_add_co_u32_e32 v3, vcc, s4, v3
	v_ashrrev_i32_e32 v8, 31, v7
	v_addc_co_u32_e32 v4, vcc, v6, v4, vcc
	;; [unrolled: 6-line block ×8, first 2 shown]
	v_lshlrev_b64 v[17:18], 3, v[19:20]
	v_mov_b32_e32 v21, s5
	v_add_co_u32_e32 v17, vcc, s4, v17
	v_addc_co_u32_e32 v18, vcc, v21, v18, vcc
	v_add_u32_e32 v21, s13, v19
	v_ashrrev_i32_e32 v22, 31, v21
	v_lshlrev_b64 v[19:20], 3, v[21:22]
	v_mov_b32_e32 v23, s5
	v_add_co_u32_e32 v19, vcc, s4, v19
	v_addc_co_u32_e32 v20, vcc, v23, v20, vcc
	v_add_u32_e32 v23, s13, v21
	v_ashrrev_i32_e32 v24, 31, v23
	;; [unrolled: 6-line block ×45, first 2 shown]
	v_lshlrev_b64 v[107:108], 3, v[109:110]
	v_mov_b32_e32 v111, s5
	v_add_co_u32_e32 v107, vcc, s4, v107
	v_addc_co_u32_e32 v108, vcc, v111, v108, vcc
	v_mov_b32_e32 v110, s5
	v_add_co_u32_e32 v113, vcc, s4, v129
	s_ashr_i32 s7, s13, 31
	s_mov_b32 s6, s13
	v_addc_co_u32_e32 v114, vcc, 0, v110, vcc
	s_lshl_b64 s[6:7], s[6:7], 3
	v_mov_b32_e32 v110, s7
	v_add_co_u32_e32 v117, vcc, s6, v113
	global_load_dwordx2 v[127:128], v129, s[4:5]
	global_load_dwordx2 v[132:133], v[1:2], off
	global_load_dwordx2 v[134:135], v[3:4], off
	;; [unrolled: 1-line block ×3, first 2 shown]
	v_addc_co_u32_e32 v118, vcc, v114, v110, vcc
	global_load_dwordx2 v[130:131], v[117:118], off
	global_load_dwordx2 v[138:139], v[7:8], off
	;; [unrolled: 1-line block ×10, first 2 shown]
	v_add_u32_e32 v111, s13, v109
	v_ashrrev_i32_e32 v112, 31, v111
	v_lshlrev_b64 v[109:110], 3, v[111:112]
	v_mov_b32_e32 v115, s5
	v_add_co_u32_e32 v109, vcc, s4, v109
	v_addc_co_u32_e32 v110, vcc, v115, v110, vcc
	v_add_u32_e32 v115, s13, v111
	v_ashrrev_i32_e32 v116, 31, v115
	v_lshlrev_b64 v[111:112], 3, v[115:116]
	v_mov_b32_e32 v119, s5
	v_add_co_u32_e32 v111, vcc, s4, v111
	v_addc_co_u32_e32 v112, vcc, v119, v112, vcc
	v_add_u32_e32 v119, s13, v115
	v_ashrrev_i32_e32 v120, 31, v119
	v_lshlrev_b64 v[115:116], 3, v[119:120]
	v_mov_b32_e32 v121, s5
	v_add_co_u32_e32 v115, vcc, s4, v115
	global_load_dwordx2 v[156:157], v[25:26], off
	global_load_dwordx2 v[158:159], v[27:28], off
	v_addc_co_u32_e32 v116, vcc, v121, v116, vcc
	v_add_u32_e32 v121, s13, v119
	v_ashrrev_i32_e32 v122, 31, v121
	v_lshlrev_b64 v[119:120], 3, v[121:122]
	v_mov_b32_e32 v123, s5
	v_add_co_u32_e32 v119, vcc, s4, v119
	v_addc_co_u32_e32 v120, vcc, v123, v120, vcc
	v_add_u32_e32 v123, s13, v121
	v_ashrrev_i32_e32 v124, 31, v123
	v_lshlrev_b64 v[121:122], 3, v[123:124]
	global_load_dwordx2 v[160:161], v[29:30], off
	global_load_dwordx2 v[162:163], v[31:32], off
	v_mov_b32_e32 v125, s5
	v_add_co_u32_e32 v121, vcc, s4, v121
	v_addc_co_u32_e32 v122, vcc, v125, v122, vcc
	v_add_u32_e32 v125, s13, v123
	v_ashrrev_i32_e32 v126, 31, v125
	v_lshlrev_b64 v[123:124], 3, v[125:126]
	v_mov_b32_e32 v164, s5
	v_add_co_u32_e32 v123, vcc, s4, v123
	v_addc_co_u32_e32 v124, vcc, v164, v124, vcc
	global_load_dwordx2 v[164:165], v[33:34], off
	global_load_dwordx2 v[166:167], v[35:36], off
	v_add_u32_e32 v125, s13, v125
	v_ashrrev_i32_e32 v126, 31, v125
	v_lshlrev_b64 v[125:126], 3, v[125:126]
	v_mov_b32_e32 v168, s5
	v_add_co_u32_e32 v125, vcc, s4, v125
	v_addc_co_u32_e32 v126, vcc, v168, v126, vcc
	global_load_dwordx2 v[168:169], v[37:38], off
	global_load_dwordx2 v[170:171], v[125:126], off
	s_waitcnt vmcnt(21)
	buffer_store_dword v128, off, s[0:3], 0 offset:4
	buffer_store_dword v127, off, s[0:3], 0
	global_load_dwordx2 v[127:128], v[39:40], off
	s_waitcnt vmcnt(20)
	buffer_store_dword v131, off, s[0:3], 0 offset:12
	buffer_store_dword v130, off, s[0:3], 0 offset:8
	global_load_dwordx2 v[130:131], v[41:42], off
	s_nop 0
	global_load_dwordx2 v[172:173], v[43:44], off
	global_load_dwordx2 v[174:175], v[47:48], off
	;; [unrolled: 1-line block ×20, first 2 shown]
	s_cmpk_lg_i32 s9, 0x84
	buffer_store_dword v133, off, s[0:3], 0 offset:20
	buffer_store_dword v132, off, s[0:3], 0 offset:16
	global_load_dwordx2 v[132:133], v[45:46], off
	s_cselect_b64 s[10:11], -1, 0
	buffer_store_dword v135, off, s[0:3], 0 offset:28
	buffer_store_dword v134, off, s[0:3], 0 offset:24
	global_load_dwordx2 v[134:135], v[49:50], off
	s_cmpk_eq_i32 s9, 0x84
	buffer_store_dword v137, off, s[0:3], 0 offset:36
	buffer_store_dword v136, off, s[0:3], 0 offset:32
	global_load_dwordx2 v[136:137], v[53:54], off
	s_waitcnt vmcnt(51)
	buffer_store_dword v139, off, s[0:3], 0 offset:44
	buffer_store_dword v138, off, s[0:3], 0 offset:40
	global_load_dwordx2 v[138:139], v[57:58], off
	s_waitcnt vmcnt(53)
	;; [unrolled: 4-line block ×7, first 2 shown]
	buffer_store_dword v150, off, s[0:3], 0 offset:88
	buffer_store_dword v151, off, s[0:3], 0 offset:92
	global_load_dwordx2 v[150:151], v[81:82], off
	s_nop 0
	buffer_store_dword v152, off, s[0:3], 0 offset:96
	buffer_store_dword v153, off, s[0:3], 0 offset:100
	global_load_dwordx2 v[152:153], v[85:86], off
	s_waitcnt vmcnt(62)
	buffer_store_dword v154, off, s[0:3], 0 offset:104
	buffer_store_dword v155, off, s[0:3], 0 offset:108
	global_load_dwordx2 v[154:155], v[89:90], off
	s_nop 0
	buffer_store_dword v157, off, s[0:3], 0 offset:116
	buffer_store_dword v156, off, s[0:3], 0 offset:112
	global_load_dwordx2 v[156:157], v[93:94], off
	s_nop 0
	;; [unrolled: 4-line block ×5, first 2 shown]
	buffer_store_dword v164, off, s[0:3], 0 offset:144
	buffer_store_dword v165, off, s[0:3], 0 offset:148
	global_load_dwordx2 v[164:165], v[109:110], off
	s_waitcnt vmcnt(62)
	buffer_store_dword v167, off, s[0:3], 0 offset:156
	buffer_store_dword v166, off, s[0:3], 0 offset:152
	global_load_dwordx2 v[166:167], v[115:116], off
	s_nop 0
	buffer_store_dword v169, off, s[0:3], 0 offset:164
	buffer_store_dword v168, off, s[0:3], 0 offset:160
	global_load_dwordx2 v[168:169], v[121:122], off
	s_nop 0
	buffer_store_dword v127, off, s[0:3], 0 offset:168
	buffer_store_dword v128, off, s[0:3], 0 offset:172
	;; [unrolled: 1-line block ×6, first 2 shown]
	s_waitcnt vmcnt(60)
	buffer_store_dword v132, off, s[0:3], 0 offset:192
	buffer_store_dword v133, off, s[0:3], 0 offset:196
	buffer_store_dword v175, off, s[0:3], 0 offset:204
	buffer_store_dword v174, off, s[0:3], 0 offset:200
	s_waitcnt vmcnt(61)
	buffer_store_dword v135, off, s[0:3], 0 offset:212
	buffer_store_dword v134, off, s[0:3], 0 offset:208
	buffer_store_dword v176, off, s[0:3], 0 offset:216
	buffer_store_dword v177, off, s[0:3], 0 offset:220
	;; [unrolled: 5-line block ×6, first 2 shown]
	buffer_store_dword v144, off, s[0:3], 0 offset:288
	buffer_store_dword v145, off, s[0:3], 0 offset:292
	;; [unrolled: 1-line block ×4, first 2 shown]
	s_waitcnt vmcnt(62)
	buffer_store_dword v147, off, s[0:3], 0 offset:308
	buffer_store_dword v146, off, s[0:3], 0 offset:304
	;; [unrolled: 1-line block ×8, first 2 shown]
	s_waitcnt vmcnt(62)
	buffer_store_dword v150, off, s[0:3], 0 offset:336
	buffer_store_dword v151, off, s[0:3], 0 offset:340
	;; [unrolled: 1-line block ×12, first 2 shown]
	s_waitcnt vmcnt(62)
	buffer_store_dword v156, off, s[0:3], 0 offset:384
	buffer_store_dword v157, off, s[0:3], 0 offset:388
	;; [unrolled: 1-line block ×16, first 2 shown]
	s_waitcnt vmcnt(62)
	buffer_store_dword v165, off, s[0:3], 0 offset:452
	buffer_store_dword v164, off, s[0:3], 0 offset:448
	;; [unrolled: 1-line block ×13, first 2 shown]
	v_mov_b32_e32 v127, 0
	v_mov_b32_e32 v128, 0xbff00000
	buffer_store_dword v170, off, s[0:3], 0 offset:496
	s_cbranch_scc1 .LBB62_3
; %bb.2:
	v_mov_b32_e32 v127, 0
	v_lshl_add_u32 v138, v0, 3, v127
	buffer_load_dword v127, v138, s[0:3], 0 offen
	buffer_load_dword v128, v138, s[0:3], 0 offen offset:4
	s_waitcnt vmcnt(0)
	v_div_scale_f64 v[130:131], s[4:5], v[127:128], v[127:128], 1.0
	v_rcp_f64_e32 v[132:133], v[130:131]
	v_fma_f64 v[134:135], -v[130:131], v[132:133], 1.0
	v_fma_f64 v[132:133], v[132:133], v[134:135], v[132:133]
	v_div_scale_f64 v[134:135], vcc, 1.0, v[127:128], 1.0
	v_fma_f64 v[136:137], -v[130:131], v[132:133], 1.0
	v_fma_f64 v[132:133], v[132:133], v[136:137], v[132:133]
	v_mul_f64 v[136:137], v[134:135], v[132:133]
	v_fma_f64 v[130:131], -v[130:131], v[136:137], v[134:135]
	v_div_fmas_f64 v[130:131], v[130:131], v[132:133], v[136:137]
	v_div_fixup_f64 v[127:128], v[130:131], v[127:128], 1.0
	buffer_store_dword v127, v138, s[0:3], 0 offen
	buffer_store_dword v128, v138, s[0:3], 0 offen offset:4
	v_xor_b32_e32 v128, 0x80000000, v128
.LBB62_3:
	s_cmpk_eq_i32 s8, 0x79
	v_or_b32_e32 v130, 0x200, v129
	v_mov_b32_e32 v131, v129
	s_mov_b64 s[4:5], -1
	ds_write_b64 v129, v[127:128]
	s_cbranch_scc1 .LBB62_617
; %bb.4:
	buffer_load_dword v127, off, s[0:3], 0 offset:488
	buffer_load_dword v128, off, s[0:3], 0 offset:492
	s_movk_i32 s12, 0x48
	s_movk_i32 s13, 0x50
	;; [unrolled: 1-line block ×52, first 2 shown]
	v_cmp_eq_u32_e64 s[4:5], 62, v0
	s_waitcnt vmcnt(0)
	ds_write_b64 v130, v[127:128]
	s_waitcnt lgkmcnt(0)
	; wave barrier
	s_and_saveexec_b64 s[6:7], s[4:5]
	s_cbranch_execz .LBB62_10
; %bb.5:
	s_and_b64 vcc, exec, s[10:11]
	s_cbranch_vccz .LBB62_7
; %bb.6:
	buffer_load_dword v127, v131, s[0:3], 0 offen
	buffer_load_dword v128, v131, s[0:3], 0 offen offset:4
	ds_read_b64 v[132:133], v130
	s_waitcnt vmcnt(0) lgkmcnt(0)
	v_mul_f64 v[127:128], v[127:128], v[132:133]
	s_cbranch_execz .LBB62_8
	s_branch .LBB62_9
.LBB62_7:
                                        ; implicit-def: $vgpr127_vgpr128
.LBB62_8:
	ds_read_b64 v[127:128], v130
.LBB62_9:
	v_mov_b32_e32 v132, 0
	ds_read_b64 v[132:133], v132 offset:488
	s_waitcnt lgkmcnt(0)
	v_mul_f64 v[127:128], v[127:128], v[132:133]
	buffer_store_dword v128, off, s[0:3], 0 offset:492
	buffer_store_dword v127, off, s[0:3], 0 offset:488
.LBB62_10:
	s_or_b64 exec, exec, s[6:7]
	buffer_load_dword v127, off, s[0:3], 0 offset:480
	buffer_load_dword v128, off, s[0:3], 0 offset:484
	s_or_b32 s14, 0, 8
	s_mov_b32 s15, 16
	s_mov_b32 s16, 24
	;; [unrolled: 1-line block ×9, first 2 shown]
	v_cmp_lt_u32_e64 s[6:7], 60, v0
	s_waitcnt vmcnt(0)
	ds_write_b64 v130, v[127:128]
	s_waitcnt lgkmcnt(0)
	; wave barrier
	s_and_saveexec_b64 s[8:9], s[6:7]
	s_cbranch_execz .LBB62_16
; %bb.11:
	s_andn2_b64 vcc, exec, s[10:11]
	s_cbranch_vccnz .LBB62_13
; %bb.12:
	buffer_load_dword v127, v131, s[0:3], 0 offen
	buffer_load_dword v128, v131, s[0:3], 0 offen offset:4
	ds_read_b64 v[132:133], v130
	s_waitcnt vmcnt(0) lgkmcnt(0)
	v_mul_f64 v[127:128], v[127:128], v[132:133]
	s_cbranch_execz .LBB62_14
	s_branch .LBB62_15
.LBB62_13:
                                        ; implicit-def: $vgpr127_vgpr128
.LBB62_14:
	ds_read_b64 v[127:128], v130
.LBB62_15:
	buffer_load_dword v136, off, s[0:3], 0 offset:488
	buffer_load_dword v137, off, s[0:3], 0 offset:492
	v_mov_b32_e32 v132, 0
	ds_read2_b64 v[132:135], v132 offset0:60 offset1:125
	s_waitcnt vmcnt(0) lgkmcnt(0)
	v_fma_f64 v[134:135], v[136:137], v[134:135], v[127:128]
	v_cndmask_b32_e64 v128, v128, v135, s[4:5]
	v_cndmask_b32_e64 v127, v127, v134, s[4:5]
	v_mul_f64 v[127:128], v[127:128], v[132:133]
	buffer_store_dword v128, off, s[0:3], 0 offset:484
	buffer_store_dword v127, off, s[0:3], 0 offset:480
.LBB62_16:
	s_or_b64 exec, exec, s[8:9]
	buffer_load_dword v127, off, s[0:3], 0 offset:472
	buffer_load_dword v128, off, s[0:3], 0 offset:476
	v_cmp_lt_u32_e64 s[4:5], 59, v0
	s_waitcnt vmcnt(0)
	ds_write_b64 v130, v[127:128]
	s_waitcnt lgkmcnt(0)
	; wave barrier
	s_and_saveexec_b64 s[8:9], s[4:5]
	s_cbranch_execz .LBB62_26
; %bb.17:
	s_andn2_b64 vcc, exec, s[10:11]
	s_cbranch_vccnz .LBB62_19
; %bb.18:
	buffer_load_dword v127, v131, s[0:3], 0 offen
	buffer_load_dword v128, v131, s[0:3], 0 offen offset:4
	ds_read_b64 v[132:133], v130
	s_waitcnt vmcnt(0) lgkmcnt(0)
	v_mul_f64 v[127:128], v[127:128], v[132:133]
	s_cbranch_execz .LBB62_20
	s_branch .LBB62_21
.LBB62_19:
                                        ; implicit-def: $vgpr127_vgpr128
.LBB62_20:
	ds_read_b64 v[127:128], v130
.LBB62_21:
	s_and_saveexec_b64 s[12:13], s[6:7]
	s_cbranch_execz .LBB62_25
; %bb.22:
	v_subrev_u32_e32 v132, 60, v0
	s_movk_i32 s75, 0x3e0
	s_mov_b64 s[6:7], 0
.LBB62_23:                              ; =>This Inner Loop Header: Depth=1
	v_mov_b32_e32 v134, s74
	buffer_load_dword v133, v134, s[0:3], 0 offen
	s_nop 0
	buffer_load_dword v134, v134, s[0:3], 0 offen offset:4
	v_mov_b32_e32 v135, s75
	ds_read_b64 v[135:136], v135
	v_add_u32_e32 v132, -1, v132
	s_add_i32 s75, s75, 8
	s_add_i32 s74, s74, 8
	v_cmp_eq_u32_e32 vcc, 0, v132
	s_or_b64 s[6:7], vcc, s[6:7]
	s_waitcnt vmcnt(0) lgkmcnt(0)
	v_fma_f64 v[127:128], v[133:134], v[135:136], v[127:128]
	s_andn2_b64 exec, exec, s[6:7]
	s_cbranch_execnz .LBB62_23
; %bb.24:
	s_or_b64 exec, exec, s[6:7]
.LBB62_25:
	s_or_b64 exec, exec, s[12:13]
	v_mov_b32_e32 v132, 0
	ds_read_b64 v[132:133], v132 offset:472
	s_waitcnt lgkmcnt(0)
	v_mul_f64 v[127:128], v[127:128], v[132:133]
	buffer_store_dword v128, off, s[0:3], 0 offset:476
	buffer_store_dword v127, off, s[0:3], 0 offset:472
.LBB62_26:
	s_or_b64 exec, exec, s[8:9]
	buffer_load_dword v127, off, s[0:3], 0 offset:464
	buffer_load_dword v128, off, s[0:3], 0 offset:468
	v_cmp_lt_u32_e64 s[6:7], 58, v0
	s_waitcnt vmcnt(0)
	ds_write_b64 v130, v[127:128]
	s_waitcnt lgkmcnt(0)
	; wave barrier
	s_and_saveexec_b64 s[8:9], s[6:7]
	s_cbranch_execz .LBB62_36
; %bb.27:
	s_andn2_b64 vcc, exec, s[10:11]
	s_cbranch_vccnz .LBB62_29
; %bb.28:
	buffer_load_dword v127, v131, s[0:3], 0 offen
	buffer_load_dword v128, v131, s[0:3], 0 offen offset:4
	ds_read_b64 v[132:133], v130
	s_waitcnt vmcnt(0) lgkmcnt(0)
	v_mul_f64 v[127:128], v[127:128], v[132:133]
	s_cbranch_execz .LBB62_30
	s_branch .LBB62_31
.LBB62_29:
                                        ; implicit-def: $vgpr127_vgpr128
.LBB62_30:
	ds_read_b64 v[127:128], v130
.LBB62_31:
	s_and_saveexec_b64 s[12:13], s[4:5]
	s_cbranch_execz .LBB62_35
; %bb.32:
	v_subrev_u32_e32 v132, 59, v0
	s_movk_i32 s74, 0x3d8
	s_mov_b64 s[4:5], 0
.LBB62_33:                              ; =>This Inner Loop Header: Depth=1
	v_mov_b32_e32 v134, s73
	buffer_load_dword v133, v134, s[0:3], 0 offen
	s_nop 0
	buffer_load_dword v134, v134, s[0:3], 0 offen offset:4
	v_mov_b32_e32 v135, s74
	ds_read_b64 v[135:136], v135
	v_add_u32_e32 v132, -1, v132
	s_add_i32 s74, s74, 8
	s_add_i32 s73, s73, 8
	v_cmp_eq_u32_e32 vcc, 0, v132
	s_or_b64 s[4:5], vcc, s[4:5]
	s_waitcnt vmcnt(0) lgkmcnt(0)
	v_fma_f64 v[127:128], v[133:134], v[135:136], v[127:128]
	s_andn2_b64 exec, exec, s[4:5]
	s_cbranch_execnz .LBB62_33
; %bb.34:
	s_or_b64 exec, exec, s[4:5]
.LBB62_35:
	s_or_b64 exec, exec, s[12:13]
	v_mov_b32_e32 v132, 0
	ds_read_b64 v[132:133], v132 offset:464
	s_waitcnt lgkmcnt(0)
	v_mul_f64 v[127:128], v[127:128], v[132:133]
	buffer_store_dword v128, off, s[0:3], 0 offset:468
	buffer_store_dword v127, off, s[0:3], 0 offset:464
.LBB62_36:
	;; [unrolled: 59-line block ×8, first 2 shown]
	s_or_b64 exec, exec, s[8:9]
	buffer_load_dword v127, off, s[0:3], 0 offset:408
	buffer_load_dword v128, off, s[0:3], 0 offset:412
	v_cmp_lt_u32_e64 s[4:5], 51, v0
	s_waitcnt vmcnt(0)
	ds_write_b64 v130, v[127:128]
	s_waitcnt lgkmcnt(0)
	; wave barrier
	s_and_saveexec_b64 s[8:9], s[4:5]
	s_cbranch_execz .LBB62_106
; %bb.97:
	s_andn2_b64 vcc, exec, s[10:11]
	s_cbranch_vccnz .LBB62_99
; %bb.98:
	buffer_load_dword v127, v131, s[0:3], 0 offen
	buffer_load_dword v128, v131, s[0:3], 0 offen offset:4
	ds_read_b64 v[132:133], v130
	s_waitcnt vmcnt(0) lgkmcnt(0)
	v_mul_f64 v[127:128], v[127:128], v[132:133]
	s_cbranch_execz .LBB62_100
	s_branch .LBB62_101
.LBB62_99:
                                        ; implicit-def: $vgpr127_vgpr128
.LBB62_100:
	ds_read_b64 v[127:128], v130
.LBB62_101:
	s_and_saveexec_b64 s[12:13], s[6:7]
	s_cbranch_execz .LBB62_105
; %bb.102:
	v_subrev_u32_e32 v132, 52, v0
	s_movk_i32 s67, 0x3a0
	s_mov_b64 s[6:7], 0
.LBB62_103:                             ; =>This Inner Loop Header: Depth=1
	v_mov_b32_e32 v134, s66
	buffer_load_dword v133, v134, s[0:3], 0 offen
	s_nop 0
	buffer_load_dword v134, v134, s[0:3], 0 offen offset:4
	v_mov_b32_e32 v135, s67
	ds_read_b64 v[135:136], v135
	v_add_u32_e32 v132, -1, v132
	s_add_i32 s67, s67, 8
	s_add_i32 s66, s66, 8
	v_cmp_eq_u32_e32 vcc, 0, v132
	s_or_b64 s[6:7], vcc, s[6:7]
	s_waitcnt vmcnt(0) lgkmcnt(0)
	v_fma_f64 v[127:128], v[133:134], v[135:136], v[127:128]
	s_andn2_b64 exec, exec, s[6:7]
	s_cbranch_execnz .LBB62_103
; %bb.104:
	s_or_b64 exec, exec, s[6:7]
.LBB62_105:
	s_or_b64 exec, exec, s[12:13]
	v_mov_b32_e32 v132, 0
	ds_read_b64 v[132:133], v132 offset:408
	s_waitcnt lgkmcnt(0)
	v_mul_f64 v[127:128], v[127:128], v[132:133]
	buffer_store_dword v128, off, s[0:3], 0 offset:412
	buffer_store_dword v127, off, s[0:3], 0 offset:408
.LBB62_106:
	s_or_b64 exec, exec, s[8:9]
	buffer_load_dword v127, off, s[0:3], 0 offset:400
	buffer_load_dword v128, off, s[0:3], 0 offset:404
	v_cmp_lt_u32_e64 s[6:7], 50, v0
	s_waitcnt vmcnt(0)
	ds_write_b64 v130, v[127:128]
	s_waitcnt lgkmcnt(0)
	; wave barrier
	s_and_saveexec_b64 s[8:9], s[6:7]
	s_cbranch_execz .LBB62_116
; %bb.107:
	s_andn2_b64 vcc, exec, s[10:11]
	s_cbranch_vccnz .LBB62_109
; %bb.108:
	buffer_load_dword v127, v131, s[0:3], 0 offen
	buffer_load_dword v128, v131, s[0:3], 0 offen offset:4
	ds_read_b64 v[132:133], v130
	s_waitcnt vmcnt(0) lgkmcnt(0)
	v_mul_f64 v[127:128], v[127:128], v[132:133]
	s_cbranch_execz .LBB62_110
	s_branch .LBB62_111
.LBB62_109:
                                        ; implicit-def: $vgpr127_vgpr128
.LBB62_110:
	ds_read_b64 v[127:128], v130
.LBB62_111:
	s_and_saveexec_b64 s[12:13], s[4:5]
	s_cbranch_execz .LBB62_115
; %bb.112:
	v_subrev_u32_e32 v132, 51, v0
	s_movk_i32 s66, 0x398
	s_mov_b64 s[4:5], 0
.LBB62_113:                             ; =>This Inner Loop Header: Depth=1
	v_mov_b32_e32 v134, s65
	buffer_load_dword v133, v134, s[0:3], 0 offen
	s_nop 0
	buffer_load_dword v134, v134, s[0:3], 0 offen offset:4
	v_mov_b32_e32 v135, s66
	ds_read_b64 v[135:136], v135
	v_add_u32_e32 v132, -1, v132
	s_add_i32 s66, s66, 8
	s_add_i32 s65, s65, 8
	v_cmp_eq_u32_e32 vcc, 0, v132
	s_or_b64 s[4:5], vcc, s[4:5]
	s_waitcnt vmcnt(0) lgkmcnt(0)
	v_fma_f64 v[127:128], v[133:134], v[135:136], v[127:128]
	s_andn2_b64 exec, exec, s[4:5]
	s_cbranch_execnz .LBB62_113
; %bb.114:
	s_or_b64 exec, exec, s[4:5]
.LBB62_115:
	s_or_b64 exec, exec, s[12:13]
	v_mov_b32_e32 v132, 0
	ds_read_b64 v[132:133], v132 offset:400
	s_waitcnt lgkmcnt(0)
	v_mul_f64 v[127:128], v[127:128], v[132:133]
	buffer_store_dword v128, off, s[0:3], 0 offset:404
	buffer_store_dword v127, off, s[0:3], 0 offset:400
.LBB62_116:
	;; [unrolled: 59-line block ×36, first 2 shown]
	s_or_b64 exec, exec, s[8:9]
	buffer_load_dword v127, off, s[0:3], 0 offset:120
	buffer_load_dword v128, off, s[0:3], 0 offset:124
	v_cmp_lt_u32_e64 s[4:5], 15, v0
	s_waitcnt vmcnt(0)
	ds_write_b64 v130, v[127:128]
	s_waitcnt lgkmcnt(0)
	; wave barrier
	s_and_saveexec_b64 s[8:9], s[4:5]
	s_cbranch_execz .LBB62_466
; %bb.457:
	s_andn2_b64 vcc, exec, s[10:11]
	s_cbranch_vccnz .LBB62_459
; %bb.458:
	buffer_load_dword v127, v131, s[0:3], 0 offen
	buffer_load_dword v128, v131, s[0:3], 0 offen offset:4
	ds_read_b64 v[132:133], v130
	s_waitcnt vmcnt(0) lgkmcnt(0)
	v_mul_f64 v[127:128], v[127:128], v[132:133]
	s_cbranch_execz .LBB62_460
	s_branch .LBB62_461
.LBB62_459:
                                        ; implicit-def: $vgpr127_vgpr128
.LBB62_460:
	ds_read_b64 v[127:128], v130
.LBB62_461:
	s_and_saveexec_b64 s[12:13], s[6:7]
	s_cbranch_execz .LBB62_465
; %bb.462:
	v_add_u32_e32 v132, -16, v0
	s_movk_i32 s30, 0x280
	s_mov_b64 s[6:7], 0
.LBB62_463:                             ; =>This Inner Loop Header: Depth=1
	v_mov_b32_e32 v134, s29
	buffer_load_dword v133, v134, s[0:3], 0 offen
	s_nop 0
	buffer_load_dword v134, v134, s[0:3], 0 offen offset:4
	v_mov_b32_e32 v135, s30
	ds_read_b64 v[135:136], v135
	v_add_u32_e32 v132, -1, v132
	s_add_i32 s30, s30, 8
	s_add_i32 s29, s29, 8
	v_cmp_eq_u32_e32 vcc, 0, v132
	s_or_b64 s[6:7], vcc, s[6:7]
	s_waitcnt vmcnt(0) lgkmcnt(0)
	v_fma_f64 v[127:128], v[133:134], v[135:136], v[127:128]
	s_andn2_b64 exec, exec, s[6:7]
	s_cbranch_execnz .LBB62_463
; %bb.464:
	s_or_b64 exec, exec, s[6:7]
.LBB62_465:
	s_or_b64 exec, exec, s[12:13]
	v_mov_b32_e32 v132, 0
	ds_read_b64 v[132:133], v132 offset:120
	s_waitcnt lgkmcnt(0)
	v_mul_f64 v[127:128], v[127:128], v[132:133]
	buffer_store_dword v128, off, s[0:3], 0 offset:124
	buffer_store_dword v127, off, s[0:3], 0 offset:120
.LBB62_466:
	s_or_b64 exec, exec, s[8:9]
	buffer_load_dword v127, off, s[0:3], 0 offset:112
	buffer_load_dword v128, off, s[0:3], 0 offset:116
	v_cmp_lt_u32_e64 s[6:7], 14, v0
	s_waitcnt vmcnt(0)
	ds_write_b64 v130, v[127:128]
	s_waitcnt lgkmcnt(0)
	; wave barrier
	s_and_saveexec_b64 s[8:9], s[6:7]
	s_cbranch_execz .LBB62_476
; %bb.467:
	s_andn2_b64 vcc, exec, s[10:11]
	s_cbranch_vccnz .LBB62_469
; %bb.468:
	buffer_load_dword v127, v131, s[0:3], 0 offen
	buffer_load_dword v128, v131, s[0:3], 0 offen offset:4
	ds_read_b64 v[132:133], v130
	s_waitcnt vmcnt(0) lgkmcnt(0)
	v_mul_f64 v[127:128], v[127:128], v[132:133]
	s_cbranch_execz .LBB62_470
	s_branch .LBB62_471
.LBB62_469:
                                        ; implicit-def: $vgpr127_vgpr128
.LBB62_470:
	ds_read_b64 v[127:128], v130
.LBB62_471:
	s_and_saveexec_b64 s[12:13], s[4:5]
	s_cbranch_execz .LBB62_475
; %bb.472:
	v_add_u32_e32 v132, -15, v0
	s_movk_i32 s29, 0x278
	s_mov_b64 s[4:5], 0
.LBB62_473:                             ; =>This Inner Loop Header: Depth=1
	v_mov_b32_e32 v134, s28
	buffer_load_dword v133, v134, s[0:3], 0 offen
	s_nop 0
	buffer_load_dword v134, v134, s[0:3], 0 offen offset:4
	v_mov_b32_e32 v135, s29
	ds_read_b64 v[135:136], v135
	v_add_u32_e32 v132, -1, v132
	s_add_i32 s29, s29, 8
	s_add_i32 s28, s28, 8
	v_cmp_eq_u32_e32 vcc, 0, v132
	s_or_b64 s[4:5], vcc, s[4:5]
	s_waitcnt vmcnt(0) lgkmcnt(0)
	v_fma_f64 v[127:128], v[133:134], v[135:136], v[127:128]
	s_andn2_b64 exec, exec, s[4:5]
	s_cbranch_execnz .LBB62_473
; %bb.474:
	s_or_b64 exec, exec, s[4:5]
.LBB62_475:
	s_or_b64 exec, exec, s[12:13]
	v_mov_b32_e32 v132, 0
	ds_read_b64 v[132:133], v132 offset:112
	s_waitcnt lgkmcnt(0)
	v_mul_f64 v[127:128], v[127:128], v[132:133]
	buffer_store_dword v128, off, s[0:3], 0 offset:116
	buffer_store_dword v127, off, s[0:3], 0 offset:112
.LBB62_476:
	;; [unrolled: 59-line block ×15, first 2 shown]
	s_or_b64 exec, exec, s[8:9]
	buffer_load_dword v127, off, s[0:3], 0
	buffer_load_dword v128, off, s[0:3], 0 offset:4
	v_cmp_ne_u32_e32 vcc, 0, v0
	s_waitcnt vmcnt(0)
	ds_write_b64 v130, v[127:128]
	s_waitcnt lgkmcnt(0)
	; wave barrier
	s_and_saveexec_b64 s[6:7], vcc
	s_cbranch_execz .LBB62_616
; %bb.607:
	s_andn2_b64 vcc, exec, s[10:11]
	s_cbranch_vccnz .LBB62_609
; %bb.608:
	buffer_load_dword v127, v131, s[0:3], 0 offen
	buffer_load_dword v128, v131, s[0:3], 0 offen offset:4
	ds_read_b64 v[132:133], v130
	s_waitcnt vmcnt(0) lgkmcnt(0)
	v_mul_f64 v[127:128], v[127:128], v[132:133]
	s_cbranch_execz .LBB62_610
	s_branch .LBB62_611
.LBB62_609:
                                        ; implicit-def: $vgpr127_vgpr128
.LBB62_610:
	ds_read_b64 v[127:128], v130
.LBB62_611:
	s_and_saveexec_b64 s[8:9], s[4:5]
	s_cbranch_execz .LBB62_615
; %bb.612:
	v_add_u32_e32 v132, -1, v0
	s_movk_i32 s12, 0x208
	s_mov_b64 s[4:5], 0
.LBB62_613:                             ; =>This Inner Loop Header: Depth=1
	v_mov_b32_e32 v134, s14
	buffer_load_dword v133, v134, s[0:3], 0 offen
	s_nop 0
	buffer_load_dword v134, v134, s[0:3], 0 offen offset:4
	v_mov_b32_e32 v135, s12
	ds_read_b64 v[135:136], v135
	v_add_u32_e32 v132, -1, v132
	s_add_i32 s12, s12, 8
	s_add_i32 s14, s14, 8
	v_cmp_eq_u32_e32 vcc, 0, v132
	s_or_b64 s[4:5], vcc, s[4:5]
	s_waitcnt vmcnt(0) lgkmcnt(0)
	v_fma_f64 v[127:128], v[133:134], v[135:136], v[127:128]
	s_andn2_b64 exec, exec, s[4:5]
	s_cbranch_execnz .LBB62_613
; %bb.614:
	s_or_b64 exec, exec, s[4:5]
.LBB62_615:
	s_or_b64 exec, exec, s[8:9]
	v_mov_b32_e32 v132, 0
	ds_read_b64 v[132:133], v132
	s_waitcnt lgkmcnt(0)
	v_mul_f64 v[127:128], v[127:128], v[132:133]
	buffer_store_dword v128, off, s[0:3], 0 offset:4
	buffer_store_dword v127, off, s[0:3], 0
.LBB62_616:
	s_or_b64 exec, exec, s[6:7]
	s_mov_b64 s[4:5], 0
.LBB62_617:
	s_and_b64 vcc, exec, s[4:5]
	s_cbranch_vccz .LBB62_1229
; %bb.618:
	buffer_load_dword v127, off, s[0:3], 0 offset:8
	buffer_load_dword v128, off, s[0:3], 0 offset:12
	v_cmp_eq_u32_e64 s[6:7], 0, v0
	s_waitcnt vmcnt(0)
	ds_write_b64 v130, v[127:128]
	s_waitcnt lgkmcnt(0)
	; wave barrier
	s_and_saveexec_b64 s[4:5], s[6:7]
	s_cbranch_execz .LBB62_624
; %bb.619:
	s_and_b64 vcc, exec, s[10:11]
	s_cbranch_vccz .LBB62_621
; %bb.620:
	buffer_load_dword v127, v131, s[0:3], 0 offen
	buffer_load_dword v128, v131, s[0:3], 0 offen offset:4
	ds_read_b64 v[132:133], v130
	s_waitcnt vmcnt(0) lgkmcnt(0)
	v_mul_f64 v[127:128], v[127:128], v[132:133]
	s_cbranch_execz .LBB62_622
	s_branch .LBB62_623
.LBB62_621:
                                        ; implicit-def: $vgpr127_vgpr128
.LBB62_622:
	ds_read_b64 v[127:128], v130
.LBB62_623:
	v_mov_b32_e32 v132, 0
	ds_read_b64 v[132:133], v132 offset:8
	s_waitcnt lgkmcnt(0)
	v_mul_f64 v[127:128], v[127:128], v[132:133]
	buffer_store_dword v128, off, s[0:3], 0 offset:12
	buffer_store_dword v127, off, s[0:3], 0 offset:8
.LBB62_624:
	s_or_b64 exec, exec, s[4:5]
	buffer_load_dword v127, off, s[0:3], 0 offset:16
	buffer_load_dword v128, off, s[0:3], 0 offset:20
	v_cndmask_b32_e64 v132, 0, 1, s[10:11]
	v_cmp_gt_u32_e32 vcc, 2, v0
	v_cmp_ne_u32_e64 s[4:5], 1, v132
	s_waitcnt vmcnt(0)
	ds_write_b64 v130, v[127:128]
	s_waitcnt lgkmcnt(0)
	; wave barrier
	s_and_saveexec_b64 s[8:9], vcc
	s_cbranch_execz .LBB62_630
; %bb.625:
	s_and_b64 vcc, exec, s[4:5]
	s_cbranch_vccnz .LBB62_627
; %bb.626:
	buffer_load_dword v127, v131, s[0:3], 0 offen
	buffer_load_dword v128, v131, s[0:3], 0 offen offset:4
	ds_read_b64 v[132:133], v130
	s_waitcnt vmcnt(0) lgkmcnt(0)
	v_mul_f64 v[127:128], v[127:128], v[132:133]
	s_cbranch_execz .LBB62_628
	s_branch .LBB62_629
.LBB62_627:
                                        ; implicit-def: $vgpr127_vgpr128
.LBB62_628:
	ds_read_b64 v[127:128], v130
.LBB62_629:
	buffer_load_dword v136, off, s[0:3], 0 offset:8
	buffer_load_dword v137, off, s[0:3], 0 offset:12
	v_mov_b32_e32 v132, 0
	ds_read2_b64 v[132:135], v132 offset0:2 offset1:65
	s_waitcnt vmcnt(0) lgkmcnt(0)
	v_fma_f64 v[134:135], v[136:137], v[134:135], v[127:128]
	v_cndmask_b32_e64 v128, v128, v135, s[6:7]
	v_cndmask_b32_e64 v127, v127, v134, s[6:7]
	v_mul_f64 v[127:128], v[127:128], v[132:133]
	buffer_store_dword v128, off, s[0:3], 0 offset:20
	buffer_store_dword v127, off, s[0:3], 0 offset:16
.LBB62_630:
	s_or_b64 exec, exec, s[8:9]
	buffer_load_dword v127, off, s[0:3], 0 offset:24
	buffer_load_dword v128, off, s[0:3], 0 offset:28
	v_cmp_gt_u32_e32 vcc, 3, v0
	s_waitcnt vmcnt(0)
	ds_write_b64 v130, v[127:128]
	s_waitcnt lgkmcnt(0)
	; wave barrier
	s_and_saveexec_b64 s[8:9], vcc
	s_cbranch_execz .LBB62_638
; %bb.631:
	s_and_b64 vcc, exec, s[4:5]
	s_cbranch_vccnz .LBB62_633
; %bb.632:
	buffer_load_dword v127, v131, s[0:3], 0 offen
	buffer_load_dword v128, v131, s[0:3], 0 offen offset:4
	ds_read_b64 v[132:133], v130
	s_waitcnt vmcnt(0) lgkmcnt(0)
	v_mul_f64 v[127:128], v[127:128], v[132:133]
	s_cbranch_execz .LBB62_634
	s_branch .LBB62_635
.LBB62_633:
                                        ; implicit-def: $vgpr127_vgpr128
.LBB62_634:
	ds_read_b64 v[127:128], v130
.LBB62_635:
	v_cmp_ne_u32_e32 vcc, 2, v0
	s_and_saveexec_b64 s[10:11], vcc
	s_cbranch_execz .LBB62_637
; %bb.636:
	buffer_load_dword v132, v131, s[0:3], 0 offen offset:8
	buffer_load_dword v133, v131, s[0:3], 0 offen offset:12
	buffer_load_dword v134, off, s[0:3], 0 offset:16
	buffer_load_dword v135, off, s[0:3], 0 offset:20
	ds_read_b64 v[136:137], v130 offset:8
	v_mov_b32_e32 v138, 0
	ds_read_b64 v[138:139], v138 offset:528
	s_waitcnt vmcnt(2) lgkmcnt(1)
	v_fma_f64 v[127:128], v[132:133], v[136:137], v[127:128]
	s_waitcnt vmcnt(0) lgkmcnt(0)
	v_fma_f64 v[132:133], v[134:135], v[138:139], v[127:128]
	v_cndmask_b32_e64 v128, v128, v133, s[6:7]
	v_cndmask_b32_e64 v127, v127, v132, s[6:7]
.LBB62_637:
	s_or_b64 exec, exec, s[10:11]
	v_mov_b32_e32 v132, 0
	ds_read_b64 v[132:133], v132 offset:24
	s_waitcnt lgkmcnt(0)
	v_mul_f64 v[127:128], v[127:128], v[132:133]
	buffer_store_dword v128, off, s[0:3], 0 offset:28
	buffer_store_dword v127, off, s[0:3], 0 offset:24
.LBB62_638:
	s_or_b64 exec, exec, s[8:9]
	buffer_load_dword v127, off, s[0:3], 0 offset:32
	buffer_load_dword v128, off, s[0:3], 0 offset:36
	v_cmp_gt_u32_e32 vcc, 4, v0
	s_waitcnt vmcnt(0)
	ds_write_b64 v130, v[127:128]
	s_waitcnt lgkmcnt(0)
	; wave barrier
	s_and_saveexec_b64 s[6:7], vcc
	s_cbranch_execz .LBB62_648
; %bb.639:
	s_and_b64 vcc, exec, s[4:5]
	s_cbranch_vccnz .LBB62_641
; %bb.640:
	buffer_load_dword v127, v131, s[0:3], 0 offen
	buffer_load_dword v128, v131, s[0:3], 0 offen offset:4
	ds_read_b64 v[132:133], v130
	s_waitcnt vmcnt(0) lgkmcnt(0)
	v_mul_f64 v[127:128], v[127:128], v[132:133]
	s_cbranch_execz .LBB62_642
	s_branch .LBB62_643
.LBB62_641:
                                        ; implicit-def: $vgpr127_vgpr128
.LBB62_642:
	ds_read_b64 v[127:128], v130
.LBB62_643:
	v_cmp_ne_u32_e32 vcc, 3, v0
	s_and_saveexec_b64 s[8:9], vcc
	s_cbranch_execz .LBB62_647
; %bb.644:
	s_mov_b32 s10, 0
	v_add_u32_e32 v132, 0x208, v129
	v_add3_u32 v133, v129, s10, 8
	s_mov_b64 s[10:11], 0
	v_mov_b32_e32 v134, v0
.LBB62_645:                             ; =>This Inner Loop Header: Depth=1
	buffer_load_dword v135, v133, s[0:3], 0 offen
	buffer_load_dword v136, v133, s[0:3], 0 offen offset:4
	ds_read_b64 v[137:138], v132
	v_add_u32_e32 v134, 1, v134
	v_cmp_lt_u32_e32 vcc, 2, v134
	v_add_u32_e32 v132, 8, v132
	s_or_b64 s[10:11], vcc, s[10:11]
	v_add_u32_e32 v133, 8, v133
	s_waitcnt vmcnt(0) lgkmcnt(0)
	v_fma_f64 v[127:128], v[135:136], v[137:138], v[127:128]
	s_andn2_b64 exec, exec, s[10:11]
	s_cbranch_execnz .LBB62_645
; %bb.646:
	s_or_b64 exec, exec, s[10:11]
.LBB62_647:
	s_or_b64 exec, exec, s[8:9]
	v_mov_b32_e32 v132, 0
	ds_read_b64 v[132:133], v132 offset:32
	s_waitcnt lgkmcnt(0)
	v_mul_f64 v[127:128], v[127:128], v[132:133]
	buffer_store_dword v128, off, s[0:3], 0 offset:36
	buffer_store_dword v127, off, s[0:3], 0 offset:32
.LBB62_648:
	s_or_b64 exec, exec, s[6:7]
	buffer_load_dword v127, off, s[0:3], 0 offset:40
	buffer_load_dword v128, off, s[0:3], 0 offset:44
	v_cmp_gt_u32_e32 vcc, 5, v0
	s_waitcnt vmcnt(0)
	ds_write_b64 v130, v[127:128]
	s_waitcnt lgkmcnt(0)
	; wave barrier
	s_and_saveexec_b64 s[6:7], vcc
	s_cbranch_execz .LBB62_658
; %bb.649:
	s_and_b64 vcc, exec, s[4:5]
	s_cbranch_vccnz .LBB62_651
; %bb.650:
	buffer_load_dword v127, v131, s[0:3], 0 offen
	buffer_load_dword v128, v131, s[0:3], 0 offen offset:4
	ds_read_b64 v[132:133], v130
	s_waitcnt vmcnt(0) lgkmcnt(0)
	v_mul_f64 v[127:128], v[127:128], v[132:133]
	s_cbranch_execz .LBB62_652
	s_branch .LBB62_653
.LBB62_651:
                                        ; implicit-def: $vgpr127_vgpr128
.LBB62_652:
	ds_read_b64 v[127:128], v130
.LBB62_653:
	v_cmp_ne_u32_e32 vcc, 4, v0
	s_and_saveexec_b64 s[8:9], vcc
	s_cbranch_execz .LBB62_657
; %bb.654:
	s_mov_b32 s10, 0
	v_add_u32_e32 v132, 0x208, v129
	v_add3_u32 v133, v129, s10, 8
	s_mov_b64 s[10:11], 0
	v_mov_b32_e32 v134, v0
.LBB62_655:                             ; =>This Inner Loop Header: Depth=1
	buffer_load_dword v135, v133, s[0:3], 0 offen
	buffer_load_dword v136, v133, s[0:3], 0 offen offset:4
	ds_read_b64 v[137:138], v132
	v_add_u32_e32 v134, 1, v134
	v_cmp_lt_u32_e32 vcc, 3, v134
	v_add_u32_e32 v132, 8, v132
	s_or_b64 s[10:11], vcc, s[10:11]
	v_add_u32_e32 v133, 8, v133
	s_waitcnt vmcnt(0) lgkmcnt(0)
	v_fma_f64 v[127:128], v[135:136], v[137:138], v[127:128]
	s_andn2_b64 exec, exec, s[10:11]
	s_cbranch_execnz .LBB62_655
; %bb.656:
	s_or_b64 exec, exec, s[10:11]
.LBB62_657:
	s_or_b64 exec, exec, s[8:9]
	v_mov_b32_e32 v132, 0
	ds_read_b64 v[132:133], v132 offset:40
	s_waitcnt lgkmcnt(0)
	v_mul_f64 v[127:128], v[127:128], v[132:133]
	buffer_store_dword v128, off, s[0:3], 0 offset:44
	buffer_store_dword v127, off, s[0:3], 0 offset:40
.LBB62_658:
	;; [unrolled: 59-line block ×36, first 2 shown]
	s_or_b64 exec, exec, s[6:7]
	buffer_load_dword v127, off, s[0:3], 0 offset:320
	buffer_load_dword v128, off, s[0:3], 0 offset:324
	v_cmp_gt_u32_e32 vcc, 40, v0
	s_waitcnt vmcnt(0)
	ds_write_b64 v130, v[127:128]
	s_waitcnt lgkmcnt(0)
	; wave barrier
	s_and_saveexec_b64 s[6:7], vcc
	s_cbranch_execz .LBB62_1008
; %bb.999:
	s_and_b64 vcc, exec, s[4:5]
	s_cbranch_vccnz .LBB62_1001
; %bb.1000:
	buffer_load_dword v127, v131, s[0:3], 0 offen
	buffer_load_dword v128, v131, s[0:3], 0 offen offset:4
	ds_read_b64 v[132:133], v130
	s_waitcnt vmcnt(0) lgkmcnt(0)
	v_mul_f64 v[127:128], v[127:128], v[132:133]
	s_cbranch_execz .LBB62_1002
	s_branch .LBB62_1003
.LBB62_1001:
                                        ; implicit-def: $vgpr127_vgpr128
.LBB62_1002:
	ds_read_b64 v[127:128], v130
.LBB62_1003:
	v_cmp_ne_u32_e32 vcc, 39, v0
	s_and_saveexec_b64 s[8:9], vcc
	s_cbranch_execz .LBB62_1007
; %bb.1004:
	s_mov_b32 s10, 0
	v_add_u32_e32 v132, 0x208, v129
	v_add3_u32 v133, v129, s10, 8
	s_mov_b64 s[10:11], 0
	v_mov_b32_e32 v134, v0
.LBB62_1005:                            ; =>This Inner Loop Header: Depth=1
	buffer_load_dword v135, v133, s[0:3], 0 offen
	buffer_load_dword v136, v133, s[0:3], 0 offen offset:4
	ds_read_b64 v[137:138], v132
	v_add_u32_e32 v134, 1, v134
	v_cmp_lt_u32_e32 vcc, 38, v134
	v_add_u32_e32 v132, 8, v132
	s_or_b64 s[10:11], vcc, s[10:11]
	v_add_u32_e32 v133, 8, v133
	s_waitcnt vmcnt(0) lgkmcnt(0)
	v_fma_f64 v[127:128], v[135:136], v[137:138], v[127:128]
	s_andn2_b64 exec, exec, s[10:11]
	s_cbranch_execnz .LBB62_1005
; %bb.1006:
	s_or_b64 exec, exec, s[10:11]
.LBB62_1007:
	s_or_b64 exec, exec, s[8:9]
	v_mov_b32_e32 v132, 0
	ds_read_b64 v[132:133], v132 offset:320
	s_waitcnt lgkmcnt(0)
	v_mul_f64 v[127:128], v[127:128], v[132:133]
	buffer_store_dword v128, off, s[0:3], 0 offset:324
	buffer_store_dword v127, off, s[0:3], 0 offset:320
.LBB62_1008:
	s_or_b64 exec, exec, s[6:7]
	buffer_load_dword v127, off, s[0:3], 0 offset:328
	buffer_load_dword v128, off, s[0:3], 0 offset:332
	v_cmp_gt_u32_e32 vcc, 41, v0
	s_waitcnt vmcnt(0)
	ds_write_b64 v130, v[127:128]
	s_waitcnt lgkmcnt(0)
	; wave barrier
	s_and_saveexec_b64 s[6:7], vcc
	s_cbranch_execz .LBB62_1018
; %bb.1009:
	s_and_b64 vcc, exec, s[4:5]
	s_cbranch_vccnz .LBB62_1011
; %bb.1010:
	buffer_load_dword v127, v131, s[0:3], 0 offen
	buffer_load_dword v128, v131, s[0:3], 0 offen offset:4
	ds_read_b64 v[132:133], v130
	s_waitcnt vmcnt(0) lgkmcnt(0)
	v_mul_f64 v[127:128], v[127:128], v[132:133]
	s_cbranch_execz .LBB62_1012
	s_branch .LBB62_1013
.LBB62_1011:
                                        ; implicit-def: $vgpr127_vgpr128
.LBB62_1012:
	ds_read_b64 v[127:128], v130
.LBB62_1013:
	v_cmp_ne_u32_e32 vcc, 40, v0
	s_and_saveexec_b64 s[8:9], vcc
	s_cbranch_execz .LBB62_1017
; %bb.1014:
	s_mov_b32 s10, 0
	v_add_u32_e32 v132, 0x208, v129
	v_add3_u32 v133, v129, s10, 8
	s_mov_b64 s[10:11], 0
	v_mov_b32_e32 v134, v0
.LBB62_1015:                            ; =>This Inner Loop Header: Depth=1
	buffer_load_dword v135, v133, s[0:3], 0 offen
	buffer_load_dword v136, v133, s[0:3], 0 offen offset:4
	ds_read_b64 v[137:138], v132
	v_add_u32_e32 v134, 1, v134
	v_cmp_lt_u32_e32 vcc, 39, v134
	v_add_u32_e32 v132, 8, v132
	s_or_b64 s[10:11], vcc, s[10:11]
	v_add_u32_e32 v133, 8, v133
	s_waitcnt vmcnt(0) lgkmcnt(0)
	v_fma_f64 v[127:128], v[135:136], v[137:138], v[127:128]
	s_andn2_b64 exec, exec, s[10:11]
	s_cbranch_execnz .LBB62_1015
; %bb.1016:
	s_or_b64 exec, exec, s[10:11]
.LBB62_1017:
	s_or_b64 exec, exec, s[8:9]
	v_mov_b32_e32 v132, 0
	ds_read_b64 v[132:133], v132 offset:328
	s_waitcnt lgkmcnt(0)
	v_mul_f64 v[127:128], v[127:128], v[132:133]
	buffer_store_dword v128, off, s[0:3], 0 offset:332
	buffer_store_dword v127, off, s[0:3], 0 offset:328
.LBB62_1018:
	;; [unrolled: 59-line block ×21, first 2 shown]
	s_or_b64 exec, exec, s[6:7]
	buffer_load_dword v127, off, s[0:3], 0 offset:488
	buffer_load_dword v128, off, s[0:3], 0 offset:492
	v_cmp_gt_u32_e64 s[6:7], 61, v0
	s_waitcnt vmcnt(0)
	ds_write_b64 v130, v[127:128]
	s_waitcnt lgkmcnt(0)
	; wave barrier
	s_and_saveexec_b64 s[8:9], s[6:7]
	s_cbranch_execz .LBB62_1218
; %bb.1209:
	s_and_b64 vcc, exec, s[4:5]
	s_cbranch_vccnz .LBB62_1211
; %bb.1210:
	buffer_load_dword v127, v131, s[0:3], 0 offen
	buffer_load_dword v128, v131, s[0:3], 0 offen offset:4
	ds_read_b64 v[132:133], v130
	s_waitcnt vmcnt(0) lgkmcnt(0)
	v_mul_f64 v[127:128], v[127:128], v[132:133]
	s_cbranch_execz .LBB62_1212
	s_branch .LBB62_1213
.LBB62_1211:
                                        ; implicit-def: $vgpr127_vgpr128
.LBB62_1212:
	ds_read_b64 v[127:128], v130
.LBB62_1213:
	v_cmp_ne_u32_e32 vcc, 60, v0
	s_and_saveexec_b64 s[10:11], vcc
	s_cbranch_execz .LBB62_1217
; %bb.1214:
	s_mov_b32 s12, 0
	v_add_u32_e32 v132, 0x208, v129
	v_add3_u32 v133, v129, s12, 8
	s_mov_b64 s[12:13], 0
	v_mov_b32_e32 v134, v0
.LBB62_1215:                            ; =>This Inner Loop Header: Depth=1
	buffer_load_dword v135, v133, s[0:3], 0 offen
	buffer_load_dword v136, v133, s[0:3], 0 offen offset:4
	ds_read_b64 v[137:138], v132
	v_add_u32_e32 v134, 1, v134
	v_cmp_lt_u32_e32 vcc, 59, v134
	v_add_u32_e32 v132, 8, v132
	s_or_b64 s[12:13], vcc, s[12:13]
	v_add_u32_e32 v133, 8, v133
	s_waitcnt vmcnt(0) lgkmcnt(0)
	v_fma_f64 v[127:128], v[135:136], v[137:138], v[127:128]
	s_andn2_b64 exec, exec, s[12:13]
	s_cbranch_execnz .LBB62_1215
; %bb.1216:
	s_or_b64 exec, exec, s[12:13]
.LBB62_1217:
	s_or_b64 exec, exec, s[10:11]
	v_mov_b32_e32 v132, 0
	ds_read_b64 v[132:133], v132 offset:488
	s_waitcnt lgkmcnt(0)
	v_mul_f64 v[127:128], v[127:128], v[132:133]
	buffer_store_dword v128, off, s[0:3], 0 offset:492
	buffer_store_dword v127, off, s[0:3], 0 offset:488
.LBB62_1218:
	s_or_b64 exec, exec, s[8:9]
	buffer_load_dword v127, off, s[0:3], 0 offset:496
	buffer_load_dword v128, off, s[0:3], 0 offset:500
	v_cmp_ne_u32_e32 vcc, 62, v0
	s_waitcnt vmcnt(0)
	ds_write_b64 v130, v[127:128]
	s_waitcnt lgkmcnt(0)
	; wave barrier
	s_and_saveexec_b64 s[8:9], vcc
	s_cbranch_execz .LBB62_1228
; %bb.1219:
	s_and_b64 vcc, exec, s[4:5]
	s_cbranch_vccnz .LBB62_1221
; %bb.1220:
	buffer_load_dword v127, v131, s[0:3], 0 offen
	buffer_load_dword v128, v131, s[0:3], 0 offen offset:4
	ds_read_b64 v[131:132], v130
	s_waitcnt vmcnt(0) lgkmcnt(0)
	v_mul_f64 v[127:128], v[127:128], v[131:132]
	s_cbranch_execz .LBB62_1222
	s_branch .LBB62_1223
.LBB62_1221:
                                        ; implicit-def: $vgpr127_vgpr128
.LBB62_1222:
	ds_read_b64 v[127:128], v130
.LBB62_1223:
	s_and_saveexec_b64 s[4:5], s[6:7]
	s_cbranch_execz .LBB62_1227
; %bb.1224:
	s_mov_b32 s6, 0
	v_add_u32_e32 v130, 0x208, v129
	v_add3_u32 v129, v129, s6, 8
	s_mov_b64 s[6:7], 0
.LBB62_1225:                            ; =>This Inner Loop Header: Depth=1
	buffer_load_dword v131, v129, s[0:3], 0 offen
	buffer_load_dword v132, v129, s[0:3], 0 offen offset:4
	ds_read_b64 v[133:134], v130
	v_add_u32_e32 v0, 1, v0
	v_cmp_lt_u32_e32 vcc, 60, v0
	v_add_u32_e32 v130, 8, v130
	s_or_b64 s[6:7], vcc, s[6:7]
	v_add_u32_e32 v129, 8, v129
	s_waitcnt vmcnt(0) lgkmcnt(0)
	v_fma_f64 v[127:128], v[131:132], v[133:134], v[127:128]
	s_andn2_b64 exec, exec, s[6:7]
	s_cbranch_execnz .LBB62_1225
; %bb.1226:
	s_or_b64 exec, exec, s[6:7]
.LBB62_1227:
	s_or_b64 exec, exec, s[4:5]
	v_mov_b32_e32 v0, 0
	ds_read_b64 v[129:130], v0 offset:496
	s_waitcnt lgkmcnt(0)
	v_mul_f64 v[127:128], v[127:128], v[129:130]
	buffer_store_dword v128, off, s[0:3], 0 offset:500
	buffer_store_dword v127, off, s[0:3], 0 offset:496
.LBB62_1228:
	s_or_b64 exec, exec, s[8:9]
.LBB62_1229:
	buffer_load_dword v127, off, s[0:3], 0
	buffer_load_dword v128, off, s[0:3], 0 offset:4
	buffer_load_dword v129, off, s[0:3], 0 offset:8
	;; [unrolled: 1-line block ×125, first 2 shown]
	s_waitcnt vmcnt(62)
	global_store_dwordx2 v[113:114], v[127:128], off
	global_store_dwordx2 v[117:118], v[129:130], off
	;; [unrolled: 1-line block ×32, first 2 shown]
	s_waitcnt vmcnt(62)
	global_store_dwordx2 v[61:62], v[191:192], off
	global_store_dwordx2 v[63:64], v[193:194], off
	;; [unrolled: 1-line block ×16, first 2 shown]
	s_waitcnt vmcnt(62)
	global_store_dwordx2 v[93:94], v[223:224], off
	global_store_dwordx2 v[95:96], v[225:226], off
	;; [unrolled: 1-line block ×8, first 2 shown]
	s_waitcnt vmcnt(62)
	global_store_dwordx2 v[109:110], v[239:240], off
	global_store_dwordx2 v[111:112], v[241:242], off
	;; [unrolled: 1-line block ×4, first 2 shown]
	s_waitcnt vmcnt(62)
	global_store_dwordx2 v[121:122], v[247:248], off
	global_store_dwordx2 v[123:124], v[249:250], off
	s_waitcnt vmcnt(62)
	global_store_dwordx2 v[125:126], v[251:252], off
.LBB62_1230:
	s_endpgm
	.section	.rodata,"a",@progbits
	.p2align	6, 0x0
	.amdhsa_kernel _ZN9rocsolver6v33100L18trti2_kernel_smallILi63EdPdEEv13rocblas_fill_17rocblas_diagonal_T1_iil
		.amdhsa_group_segment_fixed_size 1016
		.amdhsa_private_segment_fixed_size 512
		.amdhsa_kernarg_size 32
		.amdhsa_user_sgpr_count 6
		.amdhsa_user_sgpr_private_segment_buffer 1
		.amdhsa_user_sgpr_dispatch_ptr 0
		.amdhsa_user_sgpr_queue_ptr 0
		.amdhsa_user_sgpr_kernarg_segment_ptr 1
		.amdhsa_user_sgpr_dispatch_id 0
		.amdhsa_user_sgpr_flat_scratch_init 0
		.amdhsa_user_sgpr_private_segment_size 0
		.amdhsa_uses_dynamic_stack 0
		.amdhsa_system_sgpr_private_segment_wavefront_offset 1
		.amdhsa_system_sgpr_workgroup_id_x 1
		.amdhsa_system_sgpr_workgroup_id_y 0
		.amdhsa_system_sgpr_workgroup_id_z 0
		.amdhsa_system_sgpr_workgroup_info 0
		.amdhsa_system_vgpr_workitem_id 0
		.amdhsa_next_free_vgpr 253
		.amdhsa_next_free_sgpr 76
		.amdhsa_reserve_vcc 1
		.amdhsa_reserve_flat_scratch 0
		.amdhsa_float_round_mode_32 0
		.amdhsa_float_round_mode_16_64 0
		.amdhsa_float_denorm_mode_32 3
		.amdhsa_float_denorm_mode_16_64 3
		.amdhsa_dx10_clamp 1
		.amdhsa_ieee_mode 1
		.amdhsa_fp16_overflow 0
		.amdhsa_exception_fp_ieee_invalid_op 0
		.amdhsa_exception_fp_denorm_src 0
		.amdhsa_exception_fp_ieee_div_zero 0
		.amdhsa_exception_fp_ieee_overflow 0
		.amdhsa_exception_fp_ieee_underflow 0
		.amdhsa_exception_fp_ieee_inexact 0
		.amdhsa_exception_int_div_zero 0
	.end_amdhsa_kernel
	.section	.text._ZN9rocsolver6v33100L18trti2_kernel_smallILi63EdPdEEv13rocblas_fill_17rocblas_diagonal_T1_iil,"axG",@progbits,_ZN9rocsolver6v33100L18trti2_kernel_smallILi63EdPdEEv13rocblas_fill_17rocblas_diagonal_T1_iil,comdat
.Lfunc_end62:
	.size	_ZN9rocsolver6v33100L18trti2_kernel_smallILi63EdPdEEv13rocblas_fill_17rocblas_diagonal_T1_iil, .Lfunc_end62-_ZN9rocsolver6v33100L18trti2_kernel_smallILi63EdPdEEv13rocblas_fill_17rocblas_diagonal_T1_iil
                                        ; -- End function
	.set _ZN9rocsolver6v33100L18trti2_kernel_smallILi63EdPdEEv13rocblas_fill_17rocblas_diagonal_T1_iil.num_vgpr, 253
	.set _ZN9rocsolver6v33100L18trti2_kernel_smallILi63EdPdEEv13rocblas_fill_17rocblas_diagonal_T1_iil.num_agpr, 0
	.set _ZN9rocsolver6v33100L18trti2_kernel_smallILi63EdPdEEv13rocblas_fill_17rocblas_diagonal_T1_iil.numbered_sgpr, 76
	.set _ZN9rocsolver6v33100L18trti2_kernel_smallILi63EdPdEEv13rocblas_fill_17rocblas_diagonal_T1_iil.num_named_barrier, 0
	.set _ZN9rocsolver6v33100L18trti2_kernel_smallILi63EdPdEEv13rocblas_fill_17rocblas_diagonal_T1_iil.private_seg_size, 512
	.set _ZN9rocsolver6v33100L18trti2_kernel_smallILi63EdPdEEv13rocblas_fill_17rocblas_diagonal_T1_iil.uses_vcc, 1
	.set _ZN9rocsolver6v33100L18trti2_kernel_smallILi63EdPdEEv13rocblas_fill_17rocblas_diagonal_T1_iil.uses_flat_scratch, 0
	.set _ZN9rocsolver6v33100L18trti2_kernel_smallILi63EdPdEEv13rocblas_fill_17rocblas_diagonal_T1_iil.has_dyn_sized_stack, 0
	.set _ZN9rocsolver6v33100L18trti2_kernel_smallILi63EdPdEEv13rocblas_fill_17rocblas_diagonal_T1_iil.has_recursion, 0
	.set _ZN9rocsolver6v33100L18trti2_kernel_smallILi63EdPdEEv13rocblas_fill_17rocblas_diagonal_T1_iil.has_indirect_call, 0
	.section	.AMDGPU.csdata,"",@progbits
; Kernel info:
; codeLenInByte = 37124
; TotalNumSgprs: 80
; NumVgprs: 253
; ScratchSize: 512
; MemoryBound: 0
; FloatMode: 240
; IeeeMode: 1
; LDSByteSize: 1016 bytes/workgroup (compile time only)
; SGPRBlocks: 9
; VGPRBlocks: 63
; NumSGPRsForWavesPerEU: 80
; NumVGPRsForWavesPerEU: 253
; Occupancy: 1
; WaveLimiterHint : 0
; COMPUTE_PGM_RSRC2:SCRATCH_EN: 1
; COMPUTE_PGM_RSRC2:USER_SGPR: 6
; COMPUTE_PGM_RSRC2:TRAP_HANDLER: 0
; COMPUTE_PGM_RSRC2:TGID_X_EN: 1
; COMPUTE_PGM_RSRC2:TGID_Y_EN: 0
; COMPUTE_PGM_RSRC2:TGID_Z_EN: 0
; COMPUTE_PGM_RSRC2:TIDIG_COMP_CNT: 0
	.section	.text._ZN9rocsolver6v33100L18trti2_kernel_smallILi64EdPdEEv13rocblas_fill_17rocblas_diagonal_T1_iil,"axG",@progbits,_ZN9rocsolver6v33100L18trti2_kernel_smallILi64EdPdEEv13rocblas_fill_17rocblas_diagonal_T1_iil,comdat
	.globl	_ZN9rocsolver6v33100L18trti2_kernel_smallILi64EdPdEEv13rocblas_fill_17rocblas_diagonal_T1_iil ; -- Begin function _ZN9rocsolver6v33100L18trti2_kernel_smallILi64EdPdEEv13rocblas_fill_17rocblas_diagonal_T1_iil
	.p2align	8
	.type	_ZN9rocsolver6v33100L18trti2_kernel_smallILi64EdPdEEv13rocblas_fill_17rocblas_diagonal_T1_iil,@function
_ZN9rocsolver6v33100L18trti2_kernel_smallILi64EdPdEEv13rocblas_fill_17rocblas_diagonal_T1_iil: ; @_ZN9rocsolver6v33100L18trti2_kernel_smallILi64EdPdEEv13rocblas_fill_17rocblas_diagonal_T1_iil
; %bb.0:
	s_add_u32 s0, s0, s7
	s_addc_u32 s1, s1, 0
	v_cmp_gt_u32_e32 vcc, 64, v0
	s_and_saveexec_b64 s[8:9], vcc
	s_cbranch_execz .LBB63_1250
; %bb.1:
	s_load_dwordx8 s[8:15], s[4:5], 0x0
	s_ashr_i32 s7, s6, 31
	v_lshlrev_b32_e32 v131, 3, v0
	s_waitcnt lgkmcnt(0)
	s_ashr_i32 s5, s12, 31
	s_mov_b32 s4, s12
	s_mul_hi_u32 s12, s14, s6
	s_mul_i32 s7, s14, s7
	s_add_i32 s7, s12, s7
	s_mul_i32 s12, s15, s6
	s_add_i32 s7, s7, s12
	s_mul_i32 s6, s14, s6
	s_lshl_b64 s[6:7], s[6:7], 3
	s_add_u32 s6, s10, s6
	s_addc_u32 s7, s11, s7
	s_lshl_b64 s[4:5], s[4:5], 3
	s_add_u32 s4, s6, s4
	s_addc_u32 s5, s7, s5
	s_add_i32 s6, s13, s13
	v_add_u32_e32 v3, s6, v0
	v_ashrrev_i32_e32 v4, 31, v3
	v_lshlrev_b64 v[1:2], 3, v[3:4]
	v_add_u32_e32 v5, s13, v3
	v_mov_b32_e32 v4, s5
	v_add_co_u32_e32 v1, vcc, s4, v1
	v_ashrrev_i32_e32 v6, 31, v5
	v_addc_co_u32_e32 v2, vcc, v4, v2, vcc
	v_lshlrev_b64 v[3:4], 3, v[5:6]
	v_add_u32_e32 v7, s13, v5
	v_mov_b32_e32 v6, s5
	v_add_co_u32_e32 v3, vcc, s4, v3
	v_ashrrev_i32_e32 v8, 31, v7
	v_addc_co_u32_e32 v4, vcc, v6, v4, vcc
	;; [unrolled: 6-line block ×8, first 2 shown]
	v_lshlrev_b64 v[17:18], 3, v[19:20]
	v_mov_b32_e32 v21, s5
	v_add_co_u32_e32 v17, vcc, s4, v17
	v_addc_co_u32_e32 v18, vcc, v21, v18, vcc
	v_add_u32_e32 v21, s13, v19
	v_ashrrev_i32_e32 v22, 31, v21
	v_lshlrev_b64 v[19:20], 3, v[21:22]
	v_mov_b32_e32 v23, s5
	v_add_co_u32_e32 v19, vcc, s4, v19
	v_addc_co_u32_e32 v20, vcc, v23, v20, vcc
	v_add_u32_e32 v23, s13, v21
	v_ashrrev_i32_e32 v24, 31, v23
	;; [unrolled: 6-line block ×46, first 2 shown]
	v_lshlrev_b64 v[109:110], 3, v[111:112]
	v_mov_b32_e32 v113, s5
	v_add_co_u32_e32 v109, vcc, s4, v109
	v_addc_co_u32_e32 v110, vcc, v113, v110, vcc
	v_mov_b32_e32 v112, s5
	v_add_co_u32_e32 v127, vcc, s4, v131
	s_ashr_i32 s7, s13, 31
	s_mov_b32 s6, s13
	v_addc_co_u32_e32 v128, vcc, 0, v112, vcc
	s_lshl_b64 s[6:7], s[6:7], 3
	v_mov_b32_e32 v112, s7
	v_add_co_u32_e32 v117, vcc, s6, v127
	global_load_dwordx2 v[129:130], v131, s[4:5]
	global_load_dwordx2 v[134:135], v[1:2], off
	v_addc_co_u32_e32 v118, vcc, v128, v112, vcc
	global_load_dwordx2 v[132:133], v[117:118], off
	global_load_dwordx2 v[136:137], v[3:4], off
	;; [unrolled: 1-line block ×9, first 2 shown]
	v_add_u32_e32 v113, s13, v111
	v_ashrrev_i32_e32 v114, 31, v113
	v_lshlrev_b64 v[111:112], 3, v[113:114]
	global_load_dwordx2 v[152:153], v[19:20], off
	global_load_dwordx2 v[154:155], v[21:22], off
	v_mov_b32_e32 v115, s5
	v_add_co_u32_e32 v111, vcc, s4, v111
	v_addc_co_u32_e32 v112, vcc, v115, v112, vcc
	v_add_u32_e32 v115, s13, v113
	v_ashrrev_i32_e32 v116, 31, v115
	v_lshlrev_b64 v[113:114], 3, v[115:116]
	v_mov_b32_e32 v119, s5
	v_add_co_u32_e32 v113, vcc, s4, v113
	v_addc_co_u32_e32 v114, vcc, v119, v114, vcc
	v_add_u32_e32 v119, s13, v115
	global_load_dwordx2 v[156:157], v[23:24], off
	global_load_dwordx2 v[158:159], v[25:26], off
	;; [unrolled: 1-line block ×4, first 2 shown]
	v_ashrrev_i32_e32 v120, 31, v119
	v_lshlrev_b64 v[115:116], 3, v[119:120]
	v_mov_b32_e32 v121, s5
	v_add_co_u32_e32 v115, vcc, s4, v115
	v_addc_co_u32_e32 v116, vcc, v121, v116, vcc
	v_add_u32_e32 v121, s13, v119
	v_ashrrev_i32_e32 v122, 31, v121
	v_lshlrev_b64 v[119:120], 3, v[121:122]
	v_mov_b32_e32 v123, s5
	v_add_co_u32_e32 v119, vcc, s4, v119
	v_addc_co_u32_e32 v120, vcc, v123, v120, vcc
	v_add_u32_e32 v123, s13, v121
	;; [unrolled: 6-line block ×3, first 2 shown]
	v_ashrrev_i32_e32 v126, 31, v125
	global_load_dwordx2 v[164:165], v[31:32], off
	v_lshlrev_b64 v[123:124], 3, v[125:126]
	v_mov_b32_e32 v166, s5
	v_add_co_u32_e32 v123, vcc, s4, v123
	v_addc_co_u32_e32 v124, vcc, v166, v124, vcc
	global_load_dwordx2 v[166:167], v[33:34], off
	global_load_dwordx2 v[168:169], v[35:36], off
	;; [unrolled: 1-line block ×3, first 2 shown]
	v_add_u32_e32 v125, s13, v125
	v_ashrrev_i32_e32 v126, 31, v125
	v_lshlrev_b64 v[125:126], 3, v[125:126]
	v_mov_b32_e32 v172, s5
	v_add_co_u32_e32 v125, vcc, s4, v125
	v_addc_co_u32_e32 v126, vcc, v172, v126, vcc
	global_load_dwordx2 v[172:173], v[125:126], off
	global_load_dwordx2 v[174:175], v[39:40], off
	s_cmpk_lg_i32 s9, 0x84
	s_cselect_b64 s[10:11], -1, 0
	s_waitcnt vmcnt(22)
	buffer_store_dword v130, off, s[0:3], 0 offset:4
	buffer_store_dword v129, off, s[0:3], 0
	s_waitcnt vmcnt(22)
	buffer_store_dword v133, off, s[0:3], 0 offset:12
	buffer_store_dword v132, off, s[0:3], 0 offset:8
	global_load_dwordx2 v[129:130], v[41:42], off
	s_nop 0
	buffer_store_dword v135, off, s[0:3], 0 offset:20
	buffer_store_dword v134, off, s[0:3], 0 offset:16
	global_load_dwordx2 v[132:133], v[43:44], off
	global_load_dwordx2 v[176:177], v[49:50], off
	;; [unrolled: 1-line block ×21, first 2 shown]
	s_cmpk_eq_i32 s9, 0x84
	s_waitcnt vmcnt(47)
	buffer_store_dword v137, off, s[0:3], 0 offset:28
	buffer_store_dword v136, off, s[0:3], 0 offset:24
	global_load_dwordx2 v[136:137], v[47:48], off
	s_waitcnt vmcnt(49)
	buffer_store_dword v139, off, s[0:3], 0 offset:36
	buffer_store_dword v138, off, s[0:3], 0 offset:32
	global_load_dwordx2 v[138:139], v[51:52], off
	;; [unrolled: 4-line block ×9, first 2 shown]
	s_nop 0
	buffer_store_dword v154, off, s[0:3], 0 offset:96
	buffer_store_dword v155, off, s[0:3], 0 offset:100
	global_load_dwordx2 v[154:155], v[83:84], off
	s_waitcnt vmcnt(62)
	buffer_store_dword v156, off, s[0:3], 0 offset:104
	buffer_store_dword v157, off, s[0:3], 0 offset:108
	global_load_dwordx2 v[156:157], v[87:88], off
	s_nop 0
	buffer_store_dword v159, off, s[0:3], 0 offset:116
	buffer_store_dword v158, off, s[0:3], 0 offset:112
	global_load_dwordx2 v[158:159], v[91:92], off
	s_nop 0
	;; [unrolled: 4-line block ×5, first 2 shown]
	buffer_store_dword v166, off, s[0:3], 0 offset:144
	buffer_store_dword v167, off, s[0:3], 0 offset:148
	global_load_dwordx2 v[166:167], v[107:108], off
	s_waitcnt vmcnt(62)
	buffer_store_dword v169, off, s[0:3], 0 offset:156
	buffer_store_dword v168, off, s[0:3], 0 offset:152
	global_load_dwordx2 v[168:169], v[111:112], off
	s_nop 0
	buffer_store_dword v171, off, s[0:3], 0 offset:164
	buffer_store_dword v170, off, s[0:3], 0 offset:160
	global_load_dwordx2 v[170:171], v[115:116], off
	s_nop 0
	;; [unrolled: 4-line block ×3, first 2 shown]
	buffer_store_dword v129, off, s[0:3], 0 offset:176
	buffer_store_dword v130, off, s[0:3], 0 offset:180
	buffer_store_dword v132, off, s[0:3], 0 offset:184
	buffer_store_dword v133, off, s[0:3], 0 offset:188
	buffer_store_dword v134, off, s[0:3], 0 offset:192
	buffer_store_dword v135, off, s[0:3], 0 offset:196
	s_waitcnt vmcnt(60)
	buffer_store_dword v137, off, s[0:3], 0 offset:204
	buffer_store_dword v136, off, s[0:3], 0 offset:200
	buffer_store_dword v177, off, s[0:3], 0 offset:212
	buffer_store_dword v176, off, s[0:3], 0 offset:208
	s_waitcnt vmcnt(61)
	buffer_store_dword v138, off, s[0:3], 0 offset:216
	buffer_store_dword v139, off, s[0:3], 0 offset:220
	buffer_store_dword v178, off, s[0:3], 0 offset:224
	buffer_store_dword v179, off, s[0:3], 0 offset:228
	;; [unrolled: 5-line block ×6, first 2 shown]
	buffer_store_dword v149, off, s[0:3], 0 offset:300
	buffer_store_dword v148, off, s[0:3], 0 offset:296
	;; [unrolled: 1-line block ×4, first 2 shown]
	s_waitcnt vmcnt(62)
	buffer_store_dword v150, off, s[0:3], 0 offset:312
	buffer_store_dword v151, off, s[0:3], 0 offset:316
	;; [unrolled: 1-line block ×8, first 2 shown]
	s_waitcnt vmcnt(62)
	buffer_store_dword v155, off, s[0:3], 0 offset:348
	buffer_store_dword v154, off, s[0:3], 0 offset:344
	;; [unrolled: 1-line block ×12, first 2 shown]
	s_waitcnt vmcnt(62)
	buffer_store_dword v161, off, s[0:3], 0 offset:396
	buffer_store_dword v160, off, s[0:3], 0 offset:392
	;; [unrolled: 1-line block ×16, first 2 shown]
	s_waitcnt vmcnt(62)
	buffer_store_dword v168, off, s[0:3], 0 offset:456
	buffer_store_dword v169, off, s[0:3], 0 offset:460
	;; [unrolled: 1-line block ×13, first 2 shown]
	v_mov_b32_e32 v129, 0
	v_mov_b32_e32 v130, 0xbff00000
	buffer_store_dword v173, off, s[0:3], 0 offset:508
	s_cbranch_scc1 .LBB63_3
; %bb.2:
	v_mov_b32_e32 v129, 0
	v_lshl_add_u32 v140, v0, 3, v129
	buffer_load_dword v129, v140, s[0:3], 0 offen
	buffer_load_dword v130, v140, s[0:3], 0 offen offset:4
	s_waitcnt vmcnt(0)
	v_div_scale_f64 v[132:133], s[4:5], v[129:130], v[129:130], 1.0
	v_rcp_f64_e32 v[134:135], v[132:133]
	v_fma_f64 v[136:137], -v[132:133], v[134:135], 1.0
	v_fma_f64 v[134:135], v[134:135], v[136:137], v[134:135]
	v_div_scale_f64 v[136:137], vcc, 1.0, v[129:130], 1.0
	v_fma_f64 v[138:139], -v[132:133], v[134:135], 1.0
	v_fma_f64 v[134:135], v[134:135], v[138:139], v[134:135]
	v_mul_f64 v[138:139], v[136:137], v[134:135]
	v_fma_f64 v[132:133], -v[132:133], v[138:139], v[136:137]
	v_div_fmas_f64 v[132:133], v[132:133], v[134:135], v[138:139]
	v_div_fixup_f64 v[129:130], v[132:133], v[129:130], 1.0
	buffer_store_dword v129, v140, s[0:3], 0 offen
	buffer_store_dword v130, v140, s[0:3], 0 offen offset:4
	v_xor_b32_e32 v130, 0x80000000, v130
.LBB63_3:
	s_cmpk_eq_i32 s8, 0x79
	v_or_b32_e32 v132, 0x200, v131
	v_mov_b32_e32 v133, v131
	s_mov_b64 s[4:5], -1
	ds_write_b64 v131, v[129:130]
	s_cbranch_scc1 .LBB63_627
; %bb.4:
	buffer_load_dword v129, off, s[0:3], 0 offset:496
	buffer_load_dword v130, off, s[0:3], 0 offset:500
	s_movk_i32 s12, 0x48
	s_movk_i32 s13, 0x50
	;; [unrolled: 1-line block ×53, first 2 shown]
	v_cmp_eq_u32_e64 s[4:5], 63, v0
	s_waitcnt vmcnt(0)
	ds_write_b64 v132, v[129:130]
	s_waitcnt lgkmcnt(0)
	; wave barrier
	s_and_saveexec_b64 s[6:7], s[4:5]
	s_cbranch_execz .LBB63_10
; %bb.5:
	s_and_b64 vcc, exec, s[10:11]
	s_cbranch_vccz .LBB63_7
; %bb.6:
	buffer_load_dword v129, v133, s[0:3], 0 offen
	buffer_load_dword v130, v133, s[0:3], 0 offen offset:4
	ds_read_b64 v[134:135], v132
	s_waitcnt vmcnt(0) lgkmcnt(0)
	v_mul_f64 v[129:130], v[129:130], v[134:135]
	s_cbranch_execz .LBB63_8
	s_branch .LBB63_9
.LBB63_7:
                                        ; implicit-def: $vgpr129_vgpr130
.LBB63_8:
	ds_read_b64 v[129:130], v132
.LBB63_9:
	v_mov_b32_e32 v134, 0
	ds_read_b64 v[134:135], v134 offset:496
	s_waitcnt lgkmcnt(0)
	v_mul_f64 v[129:130], v[129:130], v[134:135]
	buffer_store_dword v130, off, s[0:3], 0 offset:500
	buffer_store_dword v129, off, s[0:3], 0 offset:496
.LBB63_10:
	s_or_b64 exec, exec, s[6:7]
	buffer_load_dword v129, off, s[0:3], 0 offset:488
	buffer_load_dword v130, off, s[0:3], 0 offset:492
	s_or_b32 s14, 0, 8
	s_mov_b32 s15, 16
	s_mov_b32 s16, 24
	;; [unrolled: 1-line block ×9, first 2 shown]
	v_cmp_lt_u32_e64 s[6:7], 61, v0
	s_waitcnt vmcnt(0)
	ds_write_b64 v132, v[129:130]
	s_waitcnt lgkmcnt(0)
	; wave barrier
	s_and_saveexec_b64 s[8:9], s[6:7]
	s_cbranch_execz .LBB63_16
; %bb.11:
	s_andn2_b64 vcc, exec, s[10:11]
	s_cbranch_vccnz .LBB63_13
; %bb.12:
	buffer_load_dword v129, v133, s[0:3], 0 offen
	buffer_load_dword v130, v133, s[0:3], 0 offen offset:4
	ds_read_b64 v[134:135], v132
	s_waitcnt vmcnt(0) lgkmcnt(0)
	v_mul_f64 v[129:130], v[129:130], v[134:135]
	s_cbranch_execz .LBB63_14
	s_branch .LBB63_15
.LBB63_13:
                                        ; implicit-def: $vgpr129_vgpr130
.LBB63_14:
	ds_read_b64 v[129:130], v132
.LBB63_15:
	buffer_load_dword v138, off, s[0:3], 0 offset:496
	buffer_load_dword v139, off, s[0:3], 0 offset:500
	v_mov_b32_e32 v134, 0
	ds_read2_b64 v[134:137], v134 offset0:61 offset1:126
	s_waitcnt vmcnt(0) lgkmcnt(0)
	v_fma_f64 v[136:137], v[138:139], v[136:137], v[129:130]
	v_cndmask_b32_e64 v130, v130, v137, s[4:5]
	v_cndmask_b32_e64 v129, v129, v136, s[4:5]
	v_mul_f64 v[129:130], v[129:130], v[134:135]
	buffer_store_dword v130, off, s[0:3], 0 offset:492
	buffer_store_dword v129, off, s[0:3], 0 offset:488
.LBB63_16:
	s_or_b64 exec, exec, s[8:9]
	buffer_load_dword v129, off, s[0:3], 0 offset:480
	buffer_load_dword v130, off, s[0:3], 0 offset:484
	v_cmp_lt_u32_e64 s[4:5], 60, v0
	s_waitcnt vmcnt(0)
	ds_write_b64 v132, v[129:130]
	s_waitcnt lgkmcnt(0)
	; wave barrier
	s_and_saveexec_b64 s[8:9], s[4:5]
	s_cbranch_execz .LBB63_26
; %bb.17:
	s_andn2_b64 vcc, exec, s[10:11]
	s_cbranch_vccnz .LBB63_19
; %bb.18:
	buffer_load_dword v129, v133, s[0:3], 0 offen
	buffer_load_dword v130, v133, s[0:3], 0 offen offset:4
	ds_read_b64 v[134:135], v132
	s_waitcnt vmcnt(0) lgkmcnt(0)
	v_mul_f64 v[129:130], v[129:130], v[134:135]
	s_cbranch_execz .LBB63_20
	s_branch .LBB63_21
.LBB63_19:
                                        ; implicit-def: $vgpr129_vgpr130
.LBB63_20:
	ds_read_b64 v[129:130], v132
.LBB63_21:
	s_and_saveexec_b64 s[12:13], s[6:7]
	s_cbranch_execz .LBB63_25
; %bb.22:
	v_subrev_u32_e32 v134, 61, v0
	s_movk_i32 s76, 0x3e8
	s_mov_b64 s[6:7], 0
.LBB63_23:                              ; =>This Inner Loop Header: Depth=1
	v_mov_b32_e32 v136, s75
	buffer_load_dword v135, v136, s[0:3], 0 offen
	s_nop 0
	buffer_load_dword v136, v136, s[0:3], 0 offen offset:4
	v_mov_b32_e32 v137, s76
	ds_read_b64 v[137:138], v137
	v_add_u32_e32 v134, -1, v134
	s_add_i32 s76, s76, 8
	s_add_i32 s75, s75, 8
	v_cmp_eq_u32_e32 vcc, 0, v134
	s_or_b64 s[6:7], vcc, s[6:7]
	s_waitcnt vmcnt(0) lgkmcnt(0)
	v_fma_f64 v[129:130], v[135:136], v[137:138], v[129:130]
	s_andn2_b64 exec, exec, s[6:7]
	s_cbranch_execnz .LBB63_23
; %bb.24:
	s_or_b64 exec, exec, s[6:7]
.LBB63_25:
	s_or_b64 exec, exec, s[12:13]
	v_mov_b32_e32 v134, 0
	ds_read_b64 v[134:135], v134 offset:480
	s_waitcnt lgkmcnt(0)
	v_mul_f64 v[129:130], v[129:130], v[134:135]
	buffer_store_dword v130, off, s[0:3], 0 offset:484
	buffer_store_dword v129, off, s[0:3], 0 offset:480
.LBB63_26:
	s_or_b64 exec, exec, s[8:9]
	buffer_load_dword v129, off, s[0:3], 0 offset:472
	buffer_load_dword v130, off, s[0:3], 0 offset:476
	v_cmp_lt_u32_e64 s[6:7], 59, v0
	s_waitcnt vmcnt(0)
	ds_write_b64 v132, v[129:130]
	s_waitcnt lgkmcnt(0)
	; wave barrier
	s_and_saveexec_b64 s[8:9], s[6:7]
	s_cbranch_execz .LBB63_36
; %bb.27:
	s_andn2_b64 vcc, exec, s[10:11]
	s_cbranch_vccnz .LBB63_29
; %bb.28:
	buffer_load_dword v129, v133, s[0:3], 0 offen
	buffer_load_dword v130, v133, s[0:3], 0 offen offset:4
	ds_read_b64 v[134:135], v132
	s_waitcnt vmcnt(0) lgkmcnt(0)
	v_mul_f64 v[129:130], v[129:130], v[134:135]
	s_cbranch_execz .LBB63_30
	s_branch .LBB63_31
.LBB63_29:
                                        ; implicit-def: $vgpr129_vgpr130
.LBB63_30:
	ds_read_b64 v[129:130], v132
.LBB63_31:
	s_and_saveexec_b64 s[12:13], s[4:5]
	s_cbranch_execz .LBB63_35
; %bb.32:
	v_subrev_u32_e32 v134, 60, v0
	s_movk_i32 s75, 0x3e0
	s_mov_b64 s[4:5], 0
.LBB63_33:                              ; =>This Inner Loop Header: Depth=1
	v_mov_b32_e32 v136, s74
	buffer_load_dword v135, v136, s[0:3], 0 offen
	s_nop 0
	buffer_load_dword v136, v136, s[0:3], 0 offen offset:4
	v_mov_b32_e32 v137, s75
	ds_read_b64 v[137:138], v137
	v_add_u32_e32 v134, -1, v134
	s_add_i32 s75, s75, 8
	s_add_i32 s74, s74, 8
	v_cmp_eq_u32_e32 vcc, 0, v134
	s_or_b64 s[4:5], vcc, s[4:5]
	s_waitcnt vmcnt(0) lgkmcnt(0)
	v_fma_f64 v[129:130], v[135:136], v[137:138], v[129:130]
	s_andn2_b64 exec, exec, s[4:5]
	s_cbranch_execnz .LBB63_33
; %bb.34:
	s_or_b64 exec, exec, s[4:5]
.LBB63_35:
	s_or_b64 exec, exec, s[12:13]
	v_mov_b32_e32 v134, 0
	ds_read_b64 v[134:135], v134 offset:472
	s_waitcnt lgkmcnt(0)
	v_mul_f64 v[129:130], v[129:130], v[134:135]
	buffer_store_dword v130, off, s[0:3], 0 offset:476
	buffer_store_dword v129, off, s[0:3], 0 offset:472
.LBB63_36:
	;; [unrolled: 59-line block ×8, first 2 shown]
	s_or_b64 exec, exec, s[8:9]
	buffer_load_dword v129, off, s[0:3], 0 offset:416
	buffer_load_dword v130, off, s[0:3], 0 offset:420
	v_cmp_lt_u32_e64 s[4:5], 52, v0
	s_waitcnt vmcnt(0)
	ds_write_b64 v132, v[129:130]
	s_waitcnt lgkmcnt(0)
	; wave barrier
	s_and_saveexec_b64 s[8:9], s[4:5]
	s_cbranch_execz .LBB63_106
; %bb.97:
	s_andn2_b64 vcc, exec, s[10:11]
	s_cbranch_vccnz .LBB63_99
; %bb.98:
	buffer_load_dword v129, v133, s[0:3], 0 offen
	buffer_load_dword v130, v133, s[0:3], 0 offen offset:4
	ds_read_b64 v[134:135], v132
	s_waitcnt vmcnt(0) lgkmcnt(0)
	v_mul_f64 v[129:130], v[129:130], v[134:135]
	s_cbranch_execz .LBB63_100
	s_branch .LBB63_101
.LBB63_99:
                                        ; implicit-def: $vgpr129_vgpr130
.LBB63_100:
	ds_read_b64 v[129:130], v132
.LBB63_101:
	s_and_saveexec_b64 s[12:13], s[6:7]
	s_cbranch_execz .LBB63_105
; %bb.102:
	v_subrev_u32_e32 v134, 53, v0
	s_movk_i32 s68, 0x3a8
	s_mov_b64 s[6:7], 0
.LBB63_103:                             ; =>This Inner Loop Header: Depth=1
	v_mov_b32_e32 v136, s67
	buffer_load_dword v135, v136, s[0:3], 0 offen
	s_nop 0
	buffer_load_dword v136, v136, s[0:3], 0 offen offset:4
	v_mov_b32_e32 v137, s68
	ds_read_b64 v[137:138], v137
	v_add_u32_e32 v134, -1, v134
	s_add_i32 s68, s68, 8
	s_add_i32 s67, s67, 8
	v_cmp_eq_u32_e32 vcc, 0, v134
	s_or_b64 s[6:7], vcc, s[6:7]
	s_waitcnt vmcnt(0) lgkmcnt(0)
	v_fma_f64 v[129:130], v[135:136], v[137:138], v[129:130]
	s_andn2_b64 exec, exec, s[6:7]
	s_cbranch_execnz .LBB63_103
; %bb.104:
	s_or_b64 exec, exec, s[6:7]
.LBB63_105:
	s_or_b64 exec, exec, s[12:13]
	v_mov_b32_e32 v134, 0
	ds_read_b64 v[134:135], v134 offset:416
	s_waitcnt lgkmcnt(0)
	v_mul_f64 v[129:130], v[129:130], v[134:135]
	buffer_store_dword v130, off, s[0:3], 0 offset:420
	buffer_store_dword v129, off, s[0:3], 0 offset:416
.LBB63_106:
	s_or_b64 exec, exec, s[8:9]
	buffer_load_dword v129, off, s[0:3], 0 offset:408
	buffer_load_dword v130, off, s[0:3], 0 offset:412
	v_cmp_lt_u32_e64 s[6:7], 51, v0
	s_waitcnt vmcnt(0)
	ds_write_b64 v132, v[129:130]
	s_waitcnt lgkmcnt(0)
	; wave barrier
	s_and_saveexec_b64 s[8:9], s[6:7]
	s_cbranch_execz .LBB63_116
; %bb.107:
	s_andn2_b64 vcc, exec, s[10:11]
	s_cbranch_vccnz .LBB63_109
; %bb.108:
	buffer_load_dword v129, v133, s[0:3], 0 offen
	buffer_load_dword v130, v133, s[0:3], 0 offen offset:4
	ds_read_b64 v[134:135], v132
	s_waitcnt vmcnt(0) lgkmcnt(0)
	v_mul_f64 v[129:130], v[129:130], v[134:135]
	s_cbranch_execz .LBB63_110
	s_branch .LBB63_111
.LBB63_109:
                                        ; implicit-def: $vgpr129_vgpr130
.LBB63_110:
	ds_read_b64 v[129:130], v132
.LBB63_111:
	s_and_saveexec_b64 s[12:13], s[4:5]
	s_cbranch_execz .LBB63_115
; %bb.112:
	v_subrev_u32_e32 v134, 52, v0
	s_movk_i32 s67, 0x3a0
	s_mov_b64 s[4:5], 0
.LBB63_113:                             ; =>This Inner Loop Header: Depth=1
	v_mov_b32_e32 v136, s66
	buffer_load_dword v135, v136, s[0:3], 0 offen
	s_nop 0
	buffer_load_dword v136, v136, s[0:3], 0 offen offset:4
	v_mov_b32_e32 v137, s67
	ds_read_b64 v[137:138], v137
	v_add_u32_e32 v134, -1, v134
	s_add_i32 s67, s67, 8
	s_add_i32 s66, s66, 8
	v_cmp_eq_u32_e32 vcc, 0, v134
	s_or_b64 s[4:5], vcc, s[4:5]
	s_waitcnt vmcnt(0) lgkmcnt(0)
	v_fma_f64 v[129:130], v[135:136], v[137:138], v[129:130]
	s_andn2_b64 exec, exec, s[4:5]
	s_cbranch_execnz .LBB63_113
; %bb.114:
	s_or_b64 exec, exec, s[4:5]
.LBB63_115:
	s_or_b64 exec, exec, s[12:13]
	v_mov_b32_e32 v134, 0
	ds_read_b64 v[134:135], v134 offset:408
	s_waitcnt lgkmcnt(0)
	v_mul_f64 v[129:130], v[129:130], v[134:135]
	buffer_store_dword v130, off, s[0:3], 0 offset:412
	buffer_store_dword v129, off, s[0:3], 0 offset:408
.LBB63_116:
	;; [unrolled: 59-line block ×37, first 2 shown]
	s_or_b64 exec, exec, s[8:9]
	buffer_load_dword v129, off, s[0:3], 0 offset:120
	buffer_load_dword v130, off, s[0:3], 0 offset:124
	v_cmp_lt_u32_e64 s[6:7], 15, v0
	s_waitcnt vmcnt(0)
	ds_write_b64 v132, v[129:130]
	s_waitcnt lgkmcnt(0)
	; wave barrier
	s_and_saveexec_b64 s[8:9], s[6:7]
	s_cbranch_execz .LBB63_476
; %bb.467:
	s_andn2_b64 vcc, exec, s[10:11]
	s_cbranch_vccnz .LBB63_469
; %bb.468:
	buffer_load_dword v129, v133, s[0:3], 0 offen
	buffer_load_dword v130, v133, s[0:3], 0 offen offset:4
	ds_read_b64 v[134:135], v132
	s_waitcnt vmcnt(0) lgkmcnt(0)
	v_mul_f64 v[129:130], v[129:130], v[134:135]
	s_cbranch_execz .LBB63_470
	s_branch .LBB63_471
.LBB63_469:
                                        ; implicit-def: $vgpr129_vgpr130
.LBB63_470:
	ds_read_b64 v[129:130], v132
.LBB63_471:
	s_and_saveexec_b64 s[12:13], s[4:5]
	s_cbranch_execz .LBB63_475
; %bb.472:
	v_add_u32_e32 v134, -16, v0
	s_movk_i32 s30, 0x280
	s_mov_b64 s[4:5], 0
.LBB63_473:                             ; =>This Inner Loop Header: Depth=1
	v_mov_b32_e32 v136, s29
	buffer_load_dword v135, v136, s[0:3], 0 offen
	s_nop 0
	buffer_load_dword v136, v136, s[0:3], 0 offen offset:4
	v_mov_b32_e32 v137, s30
	ds_read_b64 v[137:138], v137
	v_add_u32_e32 v134, -1, v134
	s_add_i32 s30, s30, 8
	s_add_i32 s29, s29, 8
	v_cmp_eq_u32_e32 vcc, 0, v134
	s_or_b64 s[4:5], vcc, s[4:5]
	s_waitcnt vmcnt(0) lgkmcnt(0)
	v_fma_f64 v[129:130], v[135:136], v[137:138], v[129:130]
	s_andn2_b64 exec, exec, s[4:5]
	s_cbranch_execnz .LBB63_473
; %bb.474:
	s_or_b64 exec, exec, s[4:5]
.LBB63_475:
	s_or_b64 exec, exec, s[12:13]
	v_mov_b32_e32 v134, 0
	ds_read_b64 v[134:135], v134 offset:120
	s_waitcnt lgkmcnt(0)
	v_mul_f64 v[129:130], v[129:130], v[134:135]
	buffer_store_dword v130, off, s[0:3], 0 offset:124
	buffer_store_dword v129, off, s[0:3], 0 offset:120
.LBB63_476:
	s_or_b64 exec, exec, s[8:9]
	buffer_load_dword v129, off, s[0:3], 0 offset:112
	buffer_load_dword v130, off, s[0:3], 0 offset:116
	v_cmp_lt_u32_e64 s[4:5], 14, v0
	s_waitcnt vmcnt(0)
	ds_write_b64 v132, v[129:130]
	s_waitcnt lgkmcnt(0)
	; wave barrier
	s_and_saveexec_b64 s[8:9], s[4:5]
	s_cbranch_execz .LBB63_486
; %bb.477:
	s_andn2_b64 vcc, exec, s[10:11]
	s_cbranch_vccnz .LBB63_479
; %bb.478:
	buffer_load_dword v129, v133, s[0:3], 0 offen
	buffer_load_dword v130, v133, s[0:3], 0 offen offset:4
	ds_read_b64 v[134:135], v132
	s_waitcnt vmcnt(0) lgkmcnt(0)
	v_mul_f64 v[129:130], v[129:130], v[134:135]
	s_cbranch_execz .LBB63_480
	s_branch .LBB63_481
.LBB63_479:
                                        ; implicit-def: $vgpr129_vgpr130
.LBB63_480:
	ds_read_b64 v[129:130], v132
.LBB63_481:
	s_and_saveexec_b64 s[12:13], s[6:7]
	s_cbranch_execz .LBB63_485
; %bb.482:
	v_add_u32_e32 v134, -15, v0
	s_movk_i32 s29, 0x278
	s_mov_b64 s[6:7], 0
.LBB63_483:                             ; =>This Inner Loop Header: Depth=1
	v_mov_b32_e32 v136, s28
	buffer_load_dword v135, v136, s[0:3], 0 offen
	s_nop 0
	buffer_load_dword v136, v136, s[0:3], 0 offen offset:4
	v_mov_b32_e32 v137, s29
	ds_read_b64 v[137:138], v137
	v_add_u32_e32 v134, -1, v134
	s_add_i32 s29, s29, 8
	s_add_i32 s28, s28, 8
	v_cmp_eq_u32_e32 vcc, 0, v134
	s_or_b64 s[6:7], vcc, s[6:7]
	s_waitcnt vmcnt(0) lgkmcnt(0)
	v_fma_f64 v[129:130], v[135:136], v[137:138], v[129:130]
	s_andn2_b64 exec, exec, s[6:7]
	s_cbranch_execnz .LBB63_483
; %bb.484:
	s_or_b64 exec, exec, s[6:7]
.LBB63_485:
	s_or_b64 exec, exec, s[12:13]
	v_mov_b32_e32 v134, 0
	ds_read_b64 v[134:135], v134 offset:112
	s_waitcnt lgkmcnt(0)
	v_mul_f64 v[129:130], v[129:130], v[134:135]
	buffer_store_dword v130, off, s[0:3], 0 offset:116
	buffer_store_dword v129, off, s[0:3], 0 offset:112
.LBB63_486:
	s_or_b64 exec, exec, s[8:9]
	buffer_load_dword v129, off, s[0:3], 0 offset:104
	buffer_load_dword v130, off, s[0:3], 0 offset:108
	v_cmp_lt_u32_e64 s[6:7], 13, v0
	s_waitcnt vmcnt(0)
	ds_write_b64 v132, v[129:130]
	s_waitcnt lgkmcnt(0)
	; wave barrier
	s_and_saveexec_b64 s[8:9], s[6:7]
	s_cbranch_execz .LBB63_496
; %bb.487:
	s_andn2_b64 vcc, exec, s[10:11]
	s_cbranch_vccnz .LBB63_489
; %bb.488:
	buffer_load_dword v129, v133, s[0:3], 0 offen
	buffer_load_dword v130, v133, s[0:3], 0 offen offset:4
	ds_read_b64 v[134:135], v132
	s_waitcnt vmcnt(0) lgkmcnt(0)
	v_mul_f64 v[129:130], v[129:130], v[134:135]
	s_cbranch_execz .LBB63_490
	s_branch .LBB63_491
.LBB63_489:
                                        ; implicit-def: $vgpr129_vgpr130
.LBB63_490:
	ds_read_b64 v[129:130], v132
.LBB63_491:
	s_and_saveexec_b64 s[12:13], s[4:5]
	s_cbranch_execz .LBB63_495
; %bb.492:
	v_add_u32_e32 v134, -14, v0
	s_movk_i32 s28, 0x270
	s_mov_b64 s[4:5], 0
.LBB63_493:                             ; =>This Inner Loop Header: Depth=1
	v_mov_b32_e32 v136, s27
	buffer_load_dword v135, v136, s[0:3], 0 offen
	s_nop 0
	buffer_load_dword v136, v136, s[0:3], 0 offen offset:4
	v_mov_b32_e32 v137, s28
	ds_read_b64 v[137:138], v137
	v_add_u32_e32 v134, -1, v134
	s_add_i32 s28, s28, 8
	s_add_i32 s27, s27, 8
	v_cmp_eq_u32_e32 vcc, 0, v134
	s_or_b64 s[4:5], vcc, s[4:5]
	s_waitcnt vmcnt(0) lgkmcnt(0)
	v_fma_f64 v[129:130], v[135:136], v[137:138], v[129:130]
	s_andn2_b64 exec, exec, s[4:5]
	s_cbranch_execnz .LBB63_493
; %bb.494:
	s_or_b64 exec, exec, s[4:5]
.LBB63_495:
	s_or_b64 exec, exec, s[12:13]
	v_mov_b32_e32 v134, 0
	ds_read_b64 v[134:135], v134 offset:104
	s_waitcnt lgkmcnt(0)
	v_mul_f64 v[129:130], v[129:130], v[134:135]
	buffer_store_dword v130, off, s[0:3], 0 offset:108
	buffer_store_dword v129, off, s[0:3], 0 offset:104
.LBB63_496:
	s_or_b64 exec, exec, s[8:9]
	buffer_load_dword v129, off, s[0:3], 0 offset:96
	buffer_load_dword v130, off, s[0:3], 0 offset:100
	v_cmp_lt_u32_e64 s[4:5], 12, v0
	s_waitcnt vmcnt(0)
	ds_write_b64 v132, v[129:130]
	s_waitcnt lgkmcnt(0)
	; wave barrier
	s_and_saveexec_b64 s[8:9], s[4:5]
	s_cbranch_execz .LBB63_506
; %bb.497:
	s_andn2_b64 vcc, exec, s[10:11]
	s_cbranch_vccnz .LBB63_499
; %bb.498:
	buffer_load_dword v129, v133, s[0:3], 0 offen
	buffer_load_dword v130, v133, s[0:3], 0 offen offset:4
	ds_read_b64 v[134:135], v132
	s_waitcnt vmcnt(0) lgkmcnt(0)
	v_mul_f64 v[129:130], v[129:130], v[134:135]
	s_cbranch_execz .LBB63_500
	s_branch .LBB63_501
.LBB63_499:
                                        ; implicit-def: $vgpr129_vgpr130
.LBB63_500:
	ds_read_b64 v[129:130], v132
.LBB63_501:
	s_and_saveexec_b64 s[12:13], s[6:7]
	s_cbranch_execz .LBB63_505
; %bb.502:
	v_add_u32_e32 v134, -13, v0
	s_movk_i32 s27, 0x268
	s_mov_b64 s[6:7], 0
.LBB63_503:                             ; =>This Inner Loop Header: Depth=1
	v_mov_b32_e32 v136, s26
	buffer_load_dword v135, v136, s[0:3], 0 offen
	s_nop 0
	buffer_load_dword v136, v136, s[0:3], 0 offen offset:4
	v_mov_b32_e32 v137, s27
	ds_read_b64 v[137:138], v137
	v_add_u32_e32 v134, -1, v134
	s_add_i32 s27, s27, 8
	s_add_i32 s26, s26, 8
	v_cmp_eq_u32_e32 vcc, 0, v134
	s_or_b64 s[6:7], vcc, s[6:7]
	s_waitcnt vmcnt(0) lgkmcnt(0)
	v_fma_f64 v[129:130], v[135:136], v[137:138], v[129:130]
	s_andn2_b64 exec, exec, s[6:7]
	s_cbranch_execnz .LBB63_503
; %bb.504:
	s_or_b64 exec, exec, s[6:7]
.LBB63_505:
	s_or_b64 exec, exec, s[12:13]
	v_mov_b32_e32 v134, 0
	ds_read_b64 v[134:135], v134 offset:96
	s_waitcnt lgkmcnt(0)
	v_mul_f64 v[129:130], v[129:130], v[134:135]
	buffer_store_dword v130, off, s[0:3], 0 offset:100
	buffer_store_dword v129, off, s[0:3], 0 offset:96
.LBB63_506:
	s_or_b64 exec, exec, s[8:9]
	buffer_load_dword v129, off, s[0:3], 0 offset:88
	buffer_load_dword v130, off, s[0:3], 0 offset:92
	v_cmp_lt_u32_e64 s[6:7], 11, v0
	s_waitcnt vmcnt(0)
	ds_write_b64 v132, v[129:130]
	s_waitcnt lgkmcnt(0)
	; wave barrier
	s_and_saveexec_b64 s[8:9], s[6:7]
	s_cbranch_execz .LBB63_516
; %bb.507:
	s_andn2_b64 vcc, exec, s[10:11]
	s_cbranch_vccnz .LBB63_509
; %bb.508:
	buffer_load_dword v129, v133, s[0:3], 0 offen
	buffer_load_dword v130, v133, s[0:3], 0 offen offset:4
	ds_read_b64 v[134:135], v132
	s_waitcnt vmcnt(0) lgkmcnt(0)
	v_mul_f64 v[129:130], v[129:130], v[134:135]
	s_cbranch_execz .LBB63_510
	s_branch .LBB63_511
.LBB63_509:
                                        ; implicit-def: $vgpr129_vgpr130
.LBB63_510:
	ds_read_b64 v[129:130], v132
.LBB63_511:
	s_and_saveexec_b64 s[12:13], s[4:5]
	s_cbranch_execz .LBB63_515
; %bb.512:
	v_add_u32_e32 v134, -12, v0
	s_movk_i32 s26, 0x260
	s_mov_b64 s[4:5], 0
.LBB63_513:                             ; =>This Inner Loop Header: Depth=1
	v_mov_b32_e32 v136, s25
	buffer_load_dword v135, v136, s[0:3], 0 offen
	s_nop 0
	buffer_load_dword v136, v136, s[0:3], 0 offen offset:4
	v_mov_b32_e32 v137, s26
	ds_read_b64 v[137:138], v137
	v_add_u32_e32 v134, -1, v134
	s_add_i32 s26, s26, 8
	s_add_i32 s25, s25, 8
	v_cmp_eq_u32_e32 vcc, 0, v134
	s_or_b64 s[4:5], vcc, s[4:5]
	s_waitcnt vmcnt(0) lgkmcnt(0)
	v_fma_f64 v[129:130], v[135:136], v[137:138], v[129:130]
	s_andn2_b64 exec, exec, s[4:5]
	s_cbranch_execnz .LBB63_513
; %bb.514:
	s_or_b64 exec, exec, s[4:5]
.LBB63_515:
	s_or_b64 exec, exec, s[12:13]
	v_mov_b32_e32 v134, 0
	ds_read_b64 v[134:135], v134 offset:88
	s_waitcnt lgkmcnt(0)
	v_mul_f64 v[129:130], v[129:130], v[134:135]
	buffer_store_dword v130, off, s[0:3], 0 offset:92
	buffer_store_dword v129, off, s[0:3], 0 offset:88
.LBB63_516:
	s_or_b64 exec, exec, s[8:9]
	buffer_load_dword v129, off, s[0:3], 0 offset:80
	buffer_load_dword v130, off, s[0:3], 0 offset:84
	v_cmp_lt_u32_e64 s[4:5], 10, v0
	s_waitcnt vmcnt(0)
	ds_write_b64 v132, v[129:130]
	s_waitcnt lgkmcnt(0)
	; wave barrier
	s_and_saveexec_b64 s[8:9], s[4:5]
	s_cbranch_execz .LBB63_526
; %bb.517:
	s_andn2_b64 vcc, exec, s[10:11]
	s_cbranch_vccnz .LBB63_519
; %bb.518:
	buffer_load_dword v129, v133, s[0:3], 0 offen
	buffer_load_dword v130, v133, s[0:3], 0 offen offset:4
	ds_read_b64 v[134:135], v132
	s_waitcnt vmcnt(0) lgkmcnt(0)
	v_mul_f64 v[129:130], v[129:130], v[134:135]
	s_cbranch_execz .LBB63_520
	s_branch .LBB63_521
.LBB63_519:
                                        ; implicit-def: $vgpr129_vgpr130
.LBB63_520:
	ds_read_b64 v[129:130], v132
.LBB63_521:
	s_and_saveexec_b64 s[12:13], s[6:7]
	s_cbranch_execz .LBB63_525
; %bb.522:
	v_add_u32_e32 v134, -11, v0
	s_movk_i32 s25, 0x258
	s_mov_b64 s[6:7], 0
.LBB63_523:                             ; =>This Inner Loop Header: Depth=1
	v_mov_b32_e32 v136, s24
	buffer_load_dword v135, v136, s[0:3], 0 offen
	s_nop 0
	buffer_load_dword v136, v136, s[0:3], 0 offen offset:4
	v_mov_b32_e32 v137, s25
	ds_read_b64 v[137:138], v137
	v_add_u32_e32 v134, -1, v134
	s_add_i32 s25, s25, 8
	s_add_i32 s24, s24, 8
	v_cmp_eq_u32_e32 vcc, 0, v134
	s_or_b64 s[6:7], vcc, s[6:7]
	s_waitcnt vmcnt(0) lgkmcnt(0)
	v_fma_f64 v[129:130], v[135:136], v[137:138], v[129:130]
	s_andn2_b64 exec, exec, s[6:7]
	s_cbranch_execnz .LBB63_523
; %bb.524:
	s_or_b64 exec, exec, s[6:7]
.LBB63_525:
	s_or_b64 exec, exec, s[12:13]
	v_mov_b32_e32 v134, 0
	ds_read_b64 v[134:135], v134 offset:80
	s_waitcnt lgkmcnt(0)
	v_mul_f64 v[129:130], v[129:130], v[134:135]
	buffer_store_dword v130, off, s[0:3], 0 offset:84
	buffer_store_dword v129, off, s[0:3], 0 offset:80
.LBB63_526:
	s_or_b64 exec, exec, s[8:9]
	buffer_load_dword v129, off, s[0:3], 0 offset:72
	buffer_load_dword v130, off, s[0:3], 0 offset:76
	v_cmp_lt_u32_e64 s[6:7], 9, v0
	s_waitcnt vmcnt(0)
	ds_write_b64 v132, v[129:130]
	s_waitcnt lgkmcnt(0)
	; wave barrier
	s_and_saveexec_b64 s[8:9], s[6:7]
	s_cbranch_execz .LBB63_536
; %bb.527:
	s_andn2_b64 vcc, exec, s[10:11]
	s_cbranch_vccnz .LBB63_529
; %bb.528:
	buffer_load_dword v129, v133, s[0:3], 0 offen
	buffer_load_dword v130, v133, s[0:3], 0 offen offset:4
	ds_read_b64 v[134:135], v132
	s_waitcnt vmcnt(0) lgkmcnt(0)
	v_mul_f64 v[129:130], v[129:130], v[134:135]
	s_cbranch_execz .LBB63_530
	s_branch .LBB63_531
.LBB63_529:
                                        ; implicit-def: $vgpr129_vgpr130
.LBB63_530:
	ds_read_b64 v[129:130], v132
.LBB63_531:
	s_and_saveexec_b64 s[12:13], s[4:5]
	s_cbranch_execz .LBB63_535
; %bb.532:
	v_add_u32_e32 v134, -10, v0
	s_movk_i32 s24, 0x250
	s_mov_b64 s[4:5], 0
.LBB63_533:                             ; =>This Inner Loop Header: Depth=1
	v_mov_b32_e32 v136, s23
	buffer_load_dword v135, v136, s[0:3], 0 offen
	s_nop 0
	buffer_load_dword v136, v136, s[0:3], 0 offen offset:4
	v_mov_b32_e32 v137, s24
	ds_read_b64 v[137:138], v137
	v_add_u32_e32 v134, -1, v134
	s_add_i32 s24, s24, 8
	s_add_i32 s23, s23, 8
	v_cmp_eq_u32_e32 vcc, 0, v134
	s_or_b64 s[4:5], vcc, s[4:5]
	s_waitcnt vmcnt(0) lgkmcnt(0)
	v_fma_f64 v[129:130], v[135:136], v[137:138], v[129:130]
	s_andn2_b64 exec, exec, s[4:5]
	s_cbranch_execnz .LBB63_533
; %bb.534:
	s_or_b64 exec, exec, s[4:5]
.LBB63_535:
	s_or_b64 exec, exec, s[12:13]
	v_mov_b32_e32 v134, 0
	ds_read_b64 v[134:135], v134 offset:72
	s_waitcnt lgkmcnt(0)
	v_mul_f64 v[129:130], v[129:130], v[134:135]
	buffer_store_dword v130, off, s[0:3], 0 offset:76
	buffer_store_dword v129, off, s[0:3], 0 offset:72
.LBB63_536:
	s_or_b64 exec, exec, s[8:9]
	buffer_load_dword v129, off, s[0:3], 0 offset:64
	buffer_load_dword v130, off, s[0:3], 0 offset:68
	v_cmp_lt_u32_e64 s[4:5], 8, v0
	s_waitcnt vmcnt(0)
	ds_write_b64 v132, v[129:130]
	s_waitcnt lgkmcnt(0)
	; wave barrier
	s_and_saveexec_b64 s[8:9], s[4:5]
	s_cbranch_execz .LBB63_546
; %bb.537:
	s_andn2_b64 vcc, exec, s[10:11]
	s_cbranch_vccnz .LBB63_539
; %bb.538:
	buffer_load_dword v129, v133, s[0:3], 0 offen
	buffer_load_dword v130, v133, s[0:3], 0 offen offset:4
	ds_read_b64 v[134:135], v132
	s_waitcnt vmcnt(0) lgkmcnt(0)
	v_mul_f64 v[129:130], v[129:130], v[134:135]
	s_cbranch_execz .LBB63_540
	s_branch .LBB63_541
.LBB63_539:
                                        ; implicit-def: $vgpr129_vgpr130
.LBB63_540:
	ds_read_b64 v[129:130], v132
.LBB63_541:
	s_and_saveexec_b64 s[12:13], s[6:7]
	s_cbranch_execz .LBB63_545
; %bb.542:
	v_add_u32_e32 v134, -9, v0
	s_movk_i32 s23, 0x248
	s_mov_b64 s[6:7], 0
.LBB63_543:                             ; =>This Inner Loop Header: Depth=1
	v_mov_b32_e32 v136, s22
	buffer_load_dword v135, v136, s[0:3], 0 offen
	s_nop 0
	buffer_load_dword v136, v136, s[0:3], 0 offen offset:4
	v_mov_b32_e32 v137, s23
	ds_read_b64 v[137:138], v137
	v_add_u32_e32 v134, -1, v134
	s_add_i32 s23, s23, 8
	s_add_i32 s22, s22, 8
	v_cmp_eq_u32_e32 vcc, 0, v134
	s_or_b64 s[6:7], vcc, s[6:7]
	s_waitcnt vmcnt(0) lgkmcnt(0)
	v_fma_f64 v[129:130], v[135:136], v[137:138], v[129:130]
	s_andn2_b64 exec, exec, s[6:7]
	s_cbranch_execnz .LBB63_543
; %bb.544:
	s_or_b64 exec, exec, s[6:7]
.LBB63_545:
	s_or_b64 exec, exec, s[12:13]
	v_mov_b32_e32 v134, 0
	ds_read_b64 v[134:135], v134 offset:64
	s_waitcnt lgkmcnt(0)
	v_mul_f64 v[129:130], v[129:130], v[134:135]
	buffer_store_dword v130, off, s[0:3], 0 offset:68
	buffer_store_dword v129, off, s[0:3], 0 offset:64
.LBB63_546:
	s_or_b64 exec, exec, s[8:9]
	buffer_load_dword v129, off, s[0:3], 0 offset:56
	buffer_load_dword v130, off, s[0:3], 0 offset:60
	v_cmp_lt_u32_e64 s[6:7], 7, v0
	s_waitcnt vmcnt(0)
	ds_write_b64 v132, v[129:130]
	s_waitcnt lgkmcnt(0)
	; wave barrier
	s_and_saveexec_b64 s[8:9], s[6:7]
	s_cbranch_execz .LBB63_556
; %bb.547:
	s_andn2_b64 vcc, exec, s[10:11]
	s_cbranch_vccnz .LBB63_549
; %bb.548:
	buffer_load_dword v129, v133, s[0:3], 0 offen
	buffer_load_dword v130, v133, s[0:3], 0 offen offset:4
	ds_read_b64 v[134:135], v132
	s_waitcnt vmcnt(0) lgkmcnt(0)
	v_mul_f64 v[129:130], v[129:130], v[134:135]
	s_cbranch_execz .LBB63_550
	s_branch .LBB63_551
.LBB63_549:
                                        ; implicit-def: $vgpr129_vgpr130
.LBB63_550:
	ds_read_b64 v[129:130], v132
.LBB63_551:
	s_and_saveexec_b64 s[12:13], s[4:5]
	s_cbranch_execz .LBB63_555
; %bb.552:
	v_add_u32_e32 v134, -8, v0
	s_movk_i32 s22, 0x240
	s_mov_b64 s[4:5], 0
.LBB63_553:                             ; =>This Inner Loop Header: Depth=1
	v_mov_b32_e32 v136, s21
	buffer_load_dword v135, v136, s[0:3], 0 offen
	s_nop 0
	buffer_load_dword v136, v136, s[0:3], 0 offen offset:4
	v_mov_b32_e32 v137, s22
	ds_read_b64 v[137:138], v137
	v_add_u32_e32 v134, -1, v134
	s_add_i32 s22, s22, 8
	s_add_i32 s21, s21, 8
	v_cmp_eq_u32_e32 vcc, 0, v134
	s_or_b64 s[4:5], vcc, s[4:5]
	s_waitcnt vmcnt(0) lgkmcnt(0)
	v_fma_f64 v[129:130], v[135:136], v[137:138], v[129:130]
	s_andn2_b64 exec, exec, s[4:5]
	s_cbranch_execnz .LBB63_553
; %bb.554:
	s_or_b64 exec, exec, s[4:5]
.LBB63_555:
	s_or_b64 exec, exec, s[12:13]
	v_mov_b32_e32 v134, 0
	ds_read_b64 v[134:135], v134 offset:56
	s_waitcnt lgkmcnt(0)
	v_mul_f64 v[129:130], v[129:130], v[134:135]
	buffer_store_dword v130, off, s[0:3], 0 offset:60
	buffer_store_dword v129, off, s[0:3], 0 offset:56
.LBB63_556:
	s_or_b64 exec, exec, s[8:9]
	buffer_load_dword v129, off, s[0:3], 0 offset:48
	buffer_load_dword v130, off, s[0:3], 0 offset:52
	v_cmp_lt_u32_e64 s[4:5], 6, v0
	s_waitcnt vmcnt(0)
	ds_write_b64 v132, v[129:130]
	s_waitcnt lgkmcnt(0)
	; wave barrier
	s_and_saveexec_b64 s[8:9], s[4:5]
	s_cbranch_execz .LBB63_566
; %bb.557:
	s_andn2_b64 vcc, exec, s[10:11]
	s_cbranch_vccnz .LBB63_559
; %bb.558:
	buffer_load_dword v129, v133, s[0:3], 0 offen
	buffer_load_dword v130, v133, s[0:3], 0 offen offset:4
	ds_read_b64 v[134:135], v132
	s_waitcnt vmcnt(0) lgkmcnt(0)
	v_mul_f64 v[129:130], v[129:130], v[134:135]
	s_cbranch_execz .LBB63_560
	s_branch .LBB63_561
.LBB63_559:
                                        ; implicit-def: $vgpr129_vgpr130
.LBB63_560:
	ds_read_b64 v[129:130], v132
.LBB63_561:
	s_and_saveexec_b64 s[12:13], s[6:7]
	s_cbranch_execz .LBB63_565
; %bb.562:
	v_add_u32_e32 v134, -7, v0
	s_movk_i32 s21, 0x238
	s_mov_b64 s[6:7], 0
.LBB63_563:                             ; =>This Inner Loop Header: Depth=1
	v_mov_b32_e32 v136, s20
	buffer_load_dword v135, v136, s[0:3], 0 offen
	s_nop 0
	buffer_load_dword v136, v136, s[0:3], 0 offen offset:4
	v_mov_b32_e32 v137, s21
	ds_read_b64 v[137:138], v137
	v_add_u32_e32 v134, -1, v134
	s_add_i32 s21, s21, 8
	s_add_i32 s20, s20, 8
	v_cmp_eq_u32_e32 vcc, 0, v134
	s_or_b64 s[6:7], vcc, s[6:7]
	s_waitcnt vmcnt(0) lgkmcnt(0)
	v_fma_f64 v[129:130], v[135:136], v[137:138], v[129:130]
	s_andn2_b64 exec, exec, s[6:7]
	s_cbranch_execnz .LBB63_563
; %bb.564:
	s_or_b64 exec, exec, s[6:7]
.LBB63_565:
	s_or_b64 exec, exec, s[12:13]
	v_mov_b32_e32 v134, 0
	ds_read_b64 v[134:135], v134 offset:48
	s_waitcnt lgkmcnt(0)
	v_mul_f64 v[129:130], v[129:130], v[134:135]
	buffer_store_dword v130, off, s[0:3], 0 offset:52
	buffer_store_dword v129, off, s[0:3], 0 offset:48
.LBB63_566:
	s_or_b64 exec, exec, s[8:9]
	buffer_load_dword v129, off, s[0:3], 0 offset:40
	buffer_load_dword v130, off, s[0:3], 0 offset:44
	v_cmp_lt_u32_e64 s[6:7], 5, v0
	s_waitcnt vmcnt(0)
	ds_write_b64 v132, v[129:130]
	s_waitcnt lgkmcnt(0)
	; wave barrier
	s_and_saveexec_b64 s[8:9], s[6:7]
	s_cbranch_execz .LBB63_576
; %bb.567:
	s_andn2_b64 vcc, exec, s[10:11]
	s_cbranch_vccnz .LBB63_569
; %bb.568:
	buffer_load_dword v129, v133, s[0:3], 0 offen
	buffer_load_dword v130, v133, s[0:3], 0 offen offset:4
	ds_read_b64 v[134:135], v132
	s_waitcnt vmcnt(0) lgkmcnt(0)
	v_mul_f64 v[129:130], v[129:130], v[134:135]
	s_cbranch_execz .LBB63_570
	s_branch .LBB63_571
.LBB63_569:
                                        ; implicit-def: $vgpr129_vgpr130
.LBB63_570:
	ds_read_b64 v[129:130], v132
.LBB63_571:
	s_and_saveexec_b64 s[12:13], s[4:5]
	s_cbranch_execz .LBB63_575
; %bb.572:
	v_add_u32_e32 v134, -6, v0
	s_movk_i32 s20, 0x230
	s_mov_b64 s[4:5], 0
.LBB63_573:                             ; =>This Inner Loop Header: Depth=1
	v_mov_b32_e32 v136, s19
	buffer_load_dword v135, v136, s[0:3], 0 offen
	s_nop 0
	buffer_load_dword v136, v136, s[0:3], 0 offen offset:4
	v_mov_b32_e32 v137, s20
	ds_read_b64 v[137:138], v137
	v_add_u32_e32 v134, -1, v134
	s_add_i32 s20, s20, 8
	s_add_i32 s19, s19, 8
	v_cmp_eq_u32_e32 vcc, 0, v134
	s_or_b64 s[4:5], vcc, s[4:5]
	s_waitcnt vmcnt(0) lgkmcnt(0)
	v_fma_f64 v[129:130], v[135:136], v[137:138], v[129:130]
	s_andn2_b64 exec, exec, s[4:5]
	s_cbranch_execnz .LBB63_573
; %bb.574:
	s_or_b64 exec, exec, s[4:5]
.LBB63_575:
	s_or_b64 exec, exec, s[12:13]
	v_mov_b32_e32 v134, 0
	ds_read_b64 v[134:135], v134 offset:40
	s_waitcnt lgkmcnt(0)
	v_mul_f64 v[129:130], v[129:130], v[134:135]
	buffer_store_dword v130, off, s[0:3], 0 offset:44
	buffer_store_dword v129, off, s[0:3], 0 offset:40
.LBB63_576:
	s_or_b64 exec, exec, s[8:9]
	buffer_load_dword v129, off, s[0:3], 0 offset:32
	buffer_load_dword v130, off, s[0:3], 0 offset:36
	v_cmp_lt_u32_e64 s[4:5], 4, v0
	s_waitcnt vmcnt(0)
	ds_write_b64 v132, v[129:130]
	s_waitcnt lgkmcnt(0)
	; wave barrier
	s_and_saveexec_b64 s[8:9], s[4:5]
	s_cbranch_execz .LBB63_586
; %bb.577:
	s_andn2_b64 vcc, exec, s[10:11]
	s_cbranch_vccnz .LBB63_579
; %bb.578:
	buffer_load_dword v129, v133, s[0:3], 0 offen
	buffer_load_dword v130, v133, s[0:3], 0 offen offset:4
	ds_read_b64 v[134:135], v132
	s_waitcnt vmcnt(0) lgkmcnt(0)
	v_mul_f64 v[129:130], v[129:130], v[134:135]
	s_cbranch_execz .LBB63_580
	s_branch .LBB63_581
.LBB63_579:
                                        ; implicit-def: $vgpr129_vgpr130
.LBB63_580:
	ds_read_b64 v[129:130], v132
.LBB63_581:
	s_and_saveexec_b64 s[12:13], s[6:7]
	s_cbranch_execz .LBB63_585
; %bb.582:
	v_add_u32_e32 v134, -5, v0
	s_movk_i32 s19, 0x228
	s_mov_b64 s[6:7], 0
.LBB63_583:                             ; =>This Inner Loop Header: Depth=1
	v_mov_b32_e32 v136, s18
	buffer_load_dword v135, v136, s[0:3], 0 offen
	s_nop 0
	buffer_load_dword v136, v136, s[0:3], 0 offen offset:4
	v_mov_b32_e32 v137, s19
	ds_read_b64 v[137:138], v137
	v_add_u32_e32 v134, -1, v134
	s_add_i32 s19, s19, 8
	s_add_i32 s18, s18, 8
	v_cmp_eq_u32_e32 vcc, 0, v134
	s_or_b64 s[6:7], vcc, s[6:7]
	s_waitcnt vmcnt(0) lgkmcnt(0)
	v_fma_f64 v[129:130], v[135:136], v[137:138], v[129:130]
	s_andn2_b64 exec, exec, s[6:7]
	s_cbranch_execnz .LBB63_583
; %bb.584:
	s_or_b64 exec, exec, s[6:7]
.LBB63_585:
	s_or_b64 exec, exec, s[12:13]
	v_mov_b32_e32 v134, 0
	ds_read_b64 v[134:135], v134 offset:32
	s_waitcnt lgkmcnt(0)
	v_mul_f64 v[129:130], v[129:130], v[134:135]
	buffer_store_dword v130, off, s[0:3], 0 offset:36
	buffer_store_dword v129, off, s[0:3], 0 offset:32
.LBB63_586:
	s_or_b64 exec, exec, s[8:9]
	buffer_load_dword v129, off, s[0:3], 0 offset:24
	buffer_load_dword v130, off, s[0:3], 0 offset:28
	v_cmp_lt_u32_e64 s[6:7], 3, v0
	s_waitcnt vmcnt(0)
	ds_write_b64 v132, v[129:130]
	s_waitcnt lgkmcnt(0)
	; wave barrier
	s_and_saveexec_b64 s[8:9], s[6:7]
	s_cbranch_execz .LBB63_596
; %bb.587:
	s_andn2_b64 vcc, exec, s[10:11]
	s_cbranch_vccnz .LBB63_589
; %bb.588:
	buffer_load_dword v129, v133, s[0:3], 0 offen
	buffer_load_dword v130, v133, s[0:3], 0 offen offset:4
	ds_read_b64 v[134:135], v132
	s_waitcnt vmcnt(0) lgkmcnt(0)
	v_mul_f64 v[129:130], v[129:130], v[134:135]
	s_cbranch_execz .LBB63_590
	s_branch .LBB63_591
.LBB63_589:
                                        ; implicit-def: $vgpr129_vgpr130
.LBB63_590:
	ds_read_b64 v[129:130], v132
.LBB63_591:
	s_and_saveexec_b64 s[12:13], s[4:5]
	s_cbranch_execz .LBB63_595
; %bb.592:
	v_add_u32_e32 v134, -4, v0
	s_movk_i32 s18, 0x220
	s_mov_b64 s[4:5], 0
.LBB63_593:                             ; =>This Inner Loop Header: Depth=1
	v_mov_b32_e32 v136, s17
	buffer_load_dword v135, v136, s[0:3], 0 offen
	s_nop 0
	buffer_load_dword v136, v136, s[0:3], 0 offen offset:4
	v_mov_b32_e32 v137, s18
	ds_read_b64 v[137:138], v137
	v_add_u32_e32 v134, -1, v134
	s_add_i32 s18, s18, 8
	s_add_i32 s17, s17, 8
	v_cmp_eq_u32_e32 vcc, 0, v134
	s_or_b64 s[4:5], vcc, s[4:5]
	s_waitcnt vmcnt(0) lgkmcnt(0)
	v_fma_f64 v[129:130], v[135:136], v[137:138], v[129:130]
	s_andn2_b64 exec, exec, s[4:5]
	s_cbranch_execnz .LBB63_593
; %bb.594:
	s_or_b64 exec, exec, s[4:5]
.LBB63_595:
	s_or_b64 exec, exec, s[12:13]
	v_mov_b32_e32 v134, 0
	ds_read_b64 v[134:135], v134 offset:24
	s_waitcnt lgkmcnt(0)
	v_mul_f64 v[129:130], v[129:130], v[134:135]
	buffer_store_dword v130, off, s[0:3], 0 offset:28
	buffer_store_dword v129, off, s[0:3], 0 offset:24
.LBB63_596:
	s_or_b64 exec, exec, s[8:9]
	buffer_load_dword v129, off, s[0:3], 0 offset:16
	buffer_load_dword v130, off, s[0:3], 0 offset:20
	v_cmp_lt_u32_e64 s[4:5], 2, v0
	s_waitcnt vmcnt(0)
	ds_write_b64 v132, v[129:130]
	s_waitcnt lgkmcnt(0)
	; wave barrier
	s_and_saveexec_b64 s[8:9], s[4:5]
	s_cbranch_execz .LBB63_606
; %bb.597:
	s_andn2_b64 vcc, exec, s[10:11]
	s_cbranch_vccnz .LBB63_599
; %bb.598:
	buffer_load_dword v129, v133, s[0:3], 0 offen
	buffer_load_dword v130, v133, s[0:3], 0 offen offset:4
	ds_read_b64 v[134:135], v132
	s_waitcnt vmcnt(0) lgkmcnt(0)
	v_mul_f64 v[129:130], v[129:130], v[134:135]
	s_cbranch_execz .LBB63_600
	s_branch .LBB63_601
.LBB63_599:
                                        ; implicit-def: $vgpr129_vgpr130
.LBB63_600:
	ds_read_b64 v[129:130], v132
.LBB63_601:
	s_and_saveexec_b64 s[12:13], s[6:7]
	s_cbranch_execz .LBB63_605
; %bb.602:
	v_add_u32_e32 v134, -3, v0
	s_movk_i32 s17, 0x218
	s_mov_b64 s[6:7], 0
.LBB63_603:                             ; =>This Inner Loop Header: Depth=1
	v_mov_b32_e32 v136, s16
	buffer_load_dword v135, v136, s[0:3], 0 offen
	s_nop 0
	buffer_load_dword v136, v136, s[0:3], 0 offen offset:4
	v_mov_b32_e32 v137, s17
	ds_read_b64 v[137:138], v137
	v_add_u32_e32 v134, -1, v134
	s_add_i32 s17, s17, 8
	s_add_i32 s16, s16, 8
	v_cmp_eq_u32_e32 vcc, 0, v134
	s_or_b64 s[6:7], vcc, s[6:7]
	s_waitcnt vmcnt(0) lgkmcnt(0)
	v_fma_f64 v[129:130], v[135:136], v[137:138], v[129:130]
	s_andn2_b64 exec, exec, s[6:7]
	s_cbranch_execnz .LBB63_603
; %bb.604:
	s_or_b64 exec, exec, s[6:7]
.LBB63_605:
	s_or_b64 exec, exec, s[12:13]
	v_mov_b32_e32 v134, 0
	ds_read_b64 v[134:135], v134 offset:16
	s_waitcnt lgkmcnt(0)
	v_mul_f64 v[129:130], v[129:130], v[134:135]
	buffer_store_dword v130, off, s[0:3], 0 offset:20
	buffer_store_dword v129, off, s[0:3], 0 offset:16
.LBB63_606:
	s_or_b64 exec, exec, s[8:9]
	buffer_load_dword v129, off, s[0:3], 0 offset:8
	buffer_load_dword v130, off, s[0:3], 0 offset:12
	v_cmp_lt_u32_e64 s[6:7], 1, v0
	s_waitcnt vmcnt(0)
	ds_write_b64 v132, v[129:130]
	s_waitcnt lgkmcnt(0)
	; wave barrier
	s_and_saveexec_b64 s[8:9], s[6:7]
	s_cbranch_execz .LBB63_616
; %bb.607:
	s_andn2_b64 vcc, exec, s[10:11]
	s_cbranch_vccnz .LBB63_609
; %bb.608:
	buffer_load_dword v129, v133, s[0:3], 0 offen
	buffer_load_dword v130, v133, s[0:3], 0 offen offset:4
	ds_read_b64 v[134:135], v132
	s_waitcnt vmcnt(0) lgkmcnt(0)
	v_mul_f64 v[129:130], v[129:130], v[134:135]
	s_cbranch_execz .LBB63_610
	s_branch .LBB63_611
.LBB63_609:
                                        ; implicit-def: $vgpr129_vgpr130
.LBB63_610:
	ds_read_b64 v[129:130], v132
.LBB63_611:
	s_and_saveexec_b64 s[12:13], s[4:5]
	s_cbranch_execz .LBB63_615
; %bb.612:
	v_add_u32_e32 v134, -2, v0
	s_movk_i32 s16, 0x210
	s_mov_b64 s[4:5], 0
.LBB63_613:                             ; =>This Inner Loop Header: Depth=1
	v_mov_b32_e32 v136, s15
	buffer_load_dword v135, v136, s[0:3], 0 offen
	s_nop 0
	buffer_load_dword v136, v136, s[0:3], 0 offen offset:4
	v_mov_b32_e32 v137, s16
	ds_read_b64 v[137:138], v137
	v_add_u32_e32 v134, -1, v134
	s_add_i32 s16, s16, 8
	s_add_i32 s15, s15, 8
	v_cmp_eq_u32_e32 vcc, 0, v134
	s_or_b64 s[4:5], vcc, s[4:5]
	s_waitcnt vmcnt(0) lgkmcnt(0)
	v_fma_f64 v[129:130], v[135:136], v[137:138], v[129:130]
	s_andn2_b64 exec, exec, s[4:5]
	s_cbranch_execnz .LBB63_613
; %bb.614:
	s_or_b64 exec, exec, s[4:5]
.LBB63_615:
	s_or_b64 exec, exec, s[12:13]
	v_mov_b32_e32 v134, 0
	ds_read_b64 v[134:135], v134 offset:8
	s_waitcnt lgkmcnt(0)
	v_mul_f64 v[129:130], v[129:130], v[134:135]
	buffer_store_dword v130, off, s[0:3], 0 offset:12
	buffer_store_dword v129, off, s[0:3], 0 offset:8
.LBB63_616:
	s_or_b64 exec, exec, s[8:9]
	buffer_load_dword v129, off, s[0:3], 0
	buffer_load_dword v130, off, s[0:3], 0 offset:4
	v_cmp_ne_u32_e32 vcc, 0, v0
	s_waitcnt vmcnt(0)
	ds_write_b64 v132, v[129:130]
	s_waitcnt lgkmcnt(0)
	; wave barrier
	s_and_saveexec_b64 s[4:5], vcc
	s_cbranch_execz .LBB63_626
; %bb.617:
	s_andn2_b64 vcc, exec, s[10:11]
	s_cbranch_vccnz .LBB63_619
; %bb.618:
	buffer_load_dword v129, v133, s[0:3], 0 offen
	buffer_load_dword v130, v133, s[0:3], 0 offen offset:4
	ds_read_b64 v[134:135], v132
	s_waitcnt vmcnt(0) lgkmcnt(0)
	v_mul_f64 v[129:130], v[129:130], v[134:135]
	s_cbranch_execz .LBB63_620
	s_branch .LBB63_621
.LBB63_619:
                                        ; implicit-def: $vgpr129_vgpr130
.LBB63_620:
	ds_read_b64 v[129:130], v132
.LBB63_621:
	s_and_saveexec_b64 s[8:9], s[6:7]
	s_cbranch_execz .LBB63_625
; %bb.622:
	v_add_u32_e32 v134, -1, v0
	s_movk_i32 s12, 0x208
	s_mov_b64 s[6:7], 0
.LBB63_623:                             ; =>This Inner Loop Header: Depth=1
	v_mov_b32_e32 v136, s14
	buffer_load_dword v135, v136, s[0:3], 0 offen
	s_nop 0
	buffer_load_dword v136, v136, s[0:3], 0 offen offset:4
	v_mov_b32_e32 v137, s12
	ds_read_b64 v[137:138], v137
	v_add_u32_e32 v134, -1, v134
	s_add_i32 s12, s12, 8
	s_add_i32 s14, s14, 8
	v_cmp_eq_u32_e32 vcc, 0, v134
	s_or_b64 s[6:7], vcc, s[6:7]
	s_waitcnt vmcnt(0) lgkmcnt(0)
	v_fma_f64 v[129:130], v[135:136], v[137:138], v[129:130]
	s_andn2_b64 exec, exec, s[6:7]
	s_cbranch_execnz .LBB63_623
; %bb.624:
	s_or_b64 exec, exec, s[6:7]
.LBB63_625:
	s_or_b64 exec, exec, s[8:9]
	v_mov_b32_e32 v134, 0
	ds_read_b64 v[134:135], v134
	s_waitcnt lgkmcnt(0)
	v_mul_f64 v[129:130], v[129:130], v[134:135]
	buffer_store_dword v130, off, s[0:3], 0 offset:4
	buffer_store_dword v129, off, s[0:3], 0
.LBB63_626:
	s_or_b64 exec, exec, s[4:5]
	s_mov_b64 s[4:5], 0
.LBB63_627:
	s_and_b64 vcc, exec, s[4:5]
	s_cbranch_vccz .LBB63_1249
; %bb.628:
	buffer_load_dword v129, off, s[0:3], 0 offset:8
	buffer_load_dword v130, off, s[0:3], 0 offset:12
	v_cmp_eq_u32_e64 s[6:7], 0, v0
	s_waitcnt vmcnt(0)
	ds_write_b64 v132, v[129:130]
	s_waitcnt lgkmcnt(0)
	; wave barrier
	s_and_saveexec_b64 s[4:5], s[6:7]
	s_cbranch_execz .LBB63_634
; %bb.629:
	s_and_b64 vcc, exec, s[10:11]
	s_cbranch_vccz .LBB63_631
; %bb.630:
	buffer_load_dword v129, v133, s[0:3], 0 offen
	buffer_load_dword v130, v133, s[0:3], 0 offen offset:4
	ds_read_b64 v[134:135], v132
	s_waitcnt vmcnt(0) lgkmcnt(0)
	v_mul_f64 v[129:130], v[129:130], v[134:135]
	s_cbranch_execz .LBB63_632
	s_branch .LBB63_633
.LBB63_631:
                                        ; implicit-def: $vgpr129_vgpr130
.LBB63_632:
	ds_read_b64 v[129:130], v132
.LBB63_633:
	v_mov_b32_e32 v134, 0
	ds_read_b64 v[134:135], v134 offset:8
	s_waitcnt lgkmcnt(0)
	v_mul_f64 v[129:130], v[129:130], v[134:135]
	buffer_store_dword v130, off, s[0:3], 0 offset:12
	buffer_store_dword v129, off, s[0:3], 0 offset:8
.LBB63_634:
	s_or_b64 exec, exec, s[4:5]
	buffer_load_dword v129, off, s[0:3], 0 offset:16
	buffer_load_dword v130, off, s[0:3], 0 offset:20
	v_cndmask_b32_e64 v134, 0, 1, s[10:11]
	v_cmp_gt_u32_e32 vcc, 2, v0
	v_cmp_ne_u32_e64 s[4:5], 1, v134
	s_waitcnt vmcnt(0)
	ds_write_b64 v132, v[129:130]
	s_waitcnt lgkmcnt(0)
	; wave barrier
	s_and_saveexec_b64 s[8:9], vcc
	s_cbranch_execz .LBB63_640
; %bb.635:
	s_and_b64 vcc, exec, s[4:5]
	s_cbranch_vccnz .LBB63_637
; %bb.636:
	buffer_load_dword v129, v133, s[0:3], 0 offen
	buffer_load_dword v130, v133, s[0:3], 0 offen offset:4
	ds_read_b64 v[134:135], v132
	s_waitcnt vmcnt(0) lgkmcnt(0)
	v_mul_f64 v[129:130], v[129:130], v[134:135]
	s_cbranch_execz .LBB63_638
	s_branch .LBB63_639
.LBB63_637:
                                        ; implicit-def: $vgpr129_vgpr130
.LBB63_638:
	ds_read_b64 v[129:130], v132
.LBB63_639:
	buffer_load_dword v138, off, s[0:3], 0 offset:8
	buffer_load_dword v139, off, s[0:3], 0 offset:12
	v_mov_b32_e32 v134, 0
	ds_read2_b64 v[134:137], v134 offset0:2 offset1:65
	s_waitcnt vmcnt(0) lgkmcnt(0)
	v_fma_f64 v[136:137], v[138:139], v[136:137], v[129:130]
	v_cndmask_b32_e64 v130, v130, v137, s[6:7]
	v_cndmask_b32_e64 v129, v129, v136, s[6:7]
	v_mul_f64 v[129:130], v[129:130], v[134:135]
	buffer_store_dword v130, off, s[0:3], 0 offset:20
	buffer_store_dword v129, off, s[0:3], 0 offset:16
.LBB63_640:
	s_or_b64 exec, exec, s[8:9]
	buffer_load_dword v129, off, s[0:3], 0 offset:24
	buffer_load_dword v130, off, s[0:3], 0 offset:28
	v_cmp_gt_u32_e32 vcc, 3, v0
	s_waitcnt vmcnt(0)
	ds_write_b64 v132, v[129:130]
	s_waitcnt lgkmcnt(0)
	; wave barrier
	s_and_saveexec_b64 s[8:9], vcc
	s_cbranch_execz .LBB63_648
; %bb.641:
	s_and_b64 vcc, exec, s[4:5]
	s_cbranch_vccnz .LBB63_643
; %bb.642:
	buffer_load_dword v129, v133, s[0:3], 0 offen
	buffer_load_dword v130, v133, s[0:3], 0 offen offset:4
	ds_read_b64 v[134:135], v132
	s_waitcnt vmcnt(0) lgkmcnt(0)
	v_mul_f64 v[129:130], v[129:130], v[134:135]
	s_cbranch_execz .LBB63_644
	s_branch .LBB63_645
.LBB63_643:
                                        ; implicit-def: $vgpr129_vgpr130
.LBB63_644:
	ds_read_b64 v[129:130], v132
.LBB63_645:
	v_cmp_ne_u32_e32 vcc, 2, v0
	s_and_saveexec_b64 s[10:11], vcc
	s_cbranch_execz .LBB63_647
; %bb.646:
	buffer_load_dword v134, v133, s[0:3], 0 offen offset:8
	buffer_load_dword v135, v133, s[0:3], 0 offen offset:12
	buffer_load_dword v136, off, s[0:3], 0 offset:16
	buffer_load_dword v137, off, s[0:3], 0 offset:20
	ds_read_b64 v[138:139], v132 offset:8
	v_mov_b32_e32 v140, 0
	ds_read_b64 v[140:141], v140 offset:528
	s_waitcnt vmcnt(2) lgkmcnt(1)
	v_fma_f64 v[129:130], v[134:135], v[138:139], v[129:130]
	s_waitcnt vmcnt(0) lgkmcnt(0)
	v_fma_f64 v[134:135], v[136:137], v[140:141], v[129:130]
	v_cndmask_b32_e64 v130, v130, v135, s[6:7]
	v_cndmask_b32_e64 v129, v129, v134, s[6:7]
.LBB63_647:
	s_or_b64 exec, exec, s[10:11]
	v_mov_b32_e32 v134, 0
	ds_read_b64 v[134:135], v134 offset:24
	s_waitcnt lgkmcnt(0)
	v_mul_f64 v[129:130], v[129:130], v[134:135]
	buffer_store_dword v130, off, s[0:3], 0 offset:28
	buffer_store_dword v129, off, s[0:3], 0 offset:24
.LBB63_648:
	s_or_b64 exec, exec, s[8:9]
	buffer_load_dword v129, off, s[0:3], 0 offset:32
	buffer_load_dword v130, off, s[0:3], 0 offset:36
	v_cmp_gt_u32_e32 vcc, 4, v0
	s_waitcnt vmcnt(0)
	ds_write_b64 v132, v[129:130]
	s_waitcnt lgkmcnt(0)
	; wave barrier
	s_and_saveexec_b64 s[6:7], vcc
	s_cbranch_execz .LBB63_658
; %bb.649:
	s_and_b64 vcc, exec, s[4:5]
	s_cbranch_vccnz .LBB63_651
; %bb.650:
	buffer_load_dword v129, v133, s[0:3], 0 offen
	buffer_load_dword v130, v133, s[0:3], 0 offen offset:4
	ds_read_b64 v[134:135], v132
	s_waitcnt vmcnt(0) lgkmcnt(0)
	v_mul_f64 v[129:130], v[129:130], v[134:135]
	s_cbranch_execz .LBB63_652
	s_branch .LBB63_653
.LBB63_651:
                                        ; implicit-def: $vgpr129_vgpr130
.LBB63_652:
	ds_read_b64 v[129:130], v132
.LBB63_653:
	v_cmp_ne_u32_e32 vcc, 3, v0
	s_and_saveexec_b64 s[8:9], vcc
	s_cbranch_execz .LBB63_657
; %bb.654:
	s_mov_b32 s10, 0
	v_add_u32_e32 v134, 0x208, v131
	v_add3_u32 v135, v131, s10, 8
	s_mov_b64 s[10:11], 0
	v_mov_b32_e32 v136, v0
.LBB63_655:                             ; =>This Inner Loop Header: Depth=1
	buffer_load_dword v137, v135, s[0:3], 0 offen
	buffer_load_dword v138, v135, s[0:3], 0 offen offset:4
	ds_read_b64 v[139:140], v134
	v_add_u32_e32 v136, 1, v136
	v_cmp_lt_u32_e32 vcc, 2, v136
	v_add_u32_e32 v134, 8, v134
	s_or_b64 s[10:11], vcc, s[10:11]
	v_add_u32_e32 v135, 8, v135
	s_waitcnt vmcnt(0) lgkmcnt(0)
	v_fma_f64 v[129:130], v[137:138], v[139:140], v[129:130]
	s_andn2_b64 exec, exec, s[10:11]
	s_cbranch_execnz .LBB63_655
; %bb.656:
	s_or_b64 exec, exec, s[10:11]
.LBB63_657:
	s_or_b64 exec, exec, s[8:9]
	v_mov_b32_e32 v134, 0
	ds_read_b64 v[134:135], v134 offset:32
	s_waitcnt lgkmcnt(0)
	v_mul_f64 v[129:130], v[129:130], v[134:135]
	buffer_store_dword v130, off, s[0:3], 0 offset:36
	buffer_store_dword v129, off, s[0:3], 0 offset:32
.LBB63_658:
	s_or_b64 exec, exec, s[6:7]
	buffer_load_dword v129, off, s[0:3], 0 offset:40
	buffer_load_dword v130, off, s[0:3], 0 offset:44
	v_cmp_gt_u32_e32 vcc, 5, v0
	s_waitcnt vmcnt(0)
	ds_write_b64 v132, v[129:130]
	s_waitcnt lgkmcnt(0)
	; wave barrier
	s_and_saveexec_b64 s[6:7], vcc
	s_cbranch_execz .LBB63_668
; %bb.659:
	s_and_b64 vcc, exec, s[4:5]
	s_cbranch_vccnz .LBB63_661
; %bb.660:
	buffer_load_dword v129, v133, s[0:3], 0 offen
	buffer_load_dword v130, v133, s[0:3], 0 offen offset:4
	ds_read_b64 v[134:135], v132
	s_waitcnt vmcnt(0) lgkmcnt(0)
	v_mul_f64 v[129:130], v[129:130], v[134:135]
	s_cbranch_execz .LBB63_662
	s_branch .LBB63_663
.LBB63_661:
                                        ; implicit-def: $vgpr129_vgpr130
.LBB63_662:
	ds_read_b64 v[129:130], v132
.LBB63_663:
	v_cmp_ne_u32_e32 vcc, 4, v0
	s_and_saveexec_b64 s[8:9], vcc
	s_cbranch_execz .LBB63_667
; %bb.664:
	s_mov_b32 s10, 0
	v_add_u32_e32 v134, 0x208, v131
	v_add3_u32 v135, v131, s10, 8
	s_mov_b64 s[10:11], 0
	v_mov_b32_e32 v136, v0
.LBB63_665:                             ; =>This Inner Loop Header: Depth=1
	buffer_load_dword v137, v135, s[0:3], 0 offen
	buffer_load_dword v138, v135, s[0:3], 0 offen offset:4
	ds_read_b64 v[139:140], v134
	v_add_u32_e32 v136, 1, v136
	v_cmp_lt_u32_e32 vcc, 3, v136
	v_add_u32_e32 v134, 8, v134
	s_or_b64 s[10:11], vcc, s[10:11]
	v_add_u32_e32 v135, 8, v135
	s_waitcnt vmcnt(0) lgkmcnt(0)
	v_fma_f64 v[129:130], v[137:138], v[139:140], v[129:130]
	s_andn2_b64 exec, exec, s[10:11]
	s_cbranch_execnz .LBB63_665
; %bb.666:
	s_or_b64 exec, exec, s[10:11]
.LBB63_667:
	s_or_b64 exec, exec, s[8:9]
	v_mov_b32_e32 v134, 0
	ds_read_b64 v[134:135], v134 offset:40
	s_waitcnt lgkmcnt(0)
	v_mul_f64 v[129:130], v[129:130], v[134:135]
	buffer_store_dword v130, off, s[0:3], 0 offset:44
	buffer_store_dword v129, off, s[0:3], 0 offset:40
.LBB63_668:
	s_or_b64 exec, exec, s[6:7]
	buffer_load_dword v129, off, s[0:3], 0 offset:48
	buffer_load_dword v130, off, s[0:3], 0 offset:52
	v_cmp_gt_u32_e32 vcc, 6, v0
	s_waitcnt vmcnt(0)
	ds_write_b64 v132, v[129:130]
	s_waitcnt lgkmcnt(0)
	; wave barrier
	s_and_saveexec_b64 s[6:7], vcc
	s_cbranch_execz .LBB63_678
; %bb.669:
	s_and_b64 vcc, exec, s[4:5]
	s_cbranch_vccnz .LBB63_671
; %bb.670:
	buffer_load_dword v129, v133, s[0:3], 0 offen
	buffer_load_dword v130, v133, s[0:3], 0 offen offset:4
	ds_read_b64 v[134:135], v132
	s_waitcnt vmcnt(0) lgkmcnt(0)
	v_mul_f64 v[129:130], v[129:130], v[134:135]
	s_cbranch_execz .LBB63_672
	s_branch .LBB63_673
.LBB63_671:
                                        ; implicit-def: $vgpr129_vgpr130
.LBB63_672:
	ds_read_b64 v[129:130], v132
.LBB63_673:
	v_cmp_ne_u32_e32 vcc, 5, v0
	s_and_saveexec_b64 s[8:9], vcc
	s_cbranch_execz .LBB63_677
; %bb.674:
	s_mov_b32 s10, 0
	v_add_u32_e32 v134, 0x208, v131
	v_add3_u32 v135, v131, s10, 8
	s_mov_b64 s[10:11], 0
	v_mov_b32_e32 v136, v0
.LBB63_675:                             ; =>This Inner Loop Header: Depth=1
	buffer_load_dword v137, v135, s[0:3], 0 offen
	buffer_load_dword v138, v135, s[0:3], 0 offen offset:4
	ds_read_b64 v[139:140], v134
	v_add_u32_e32 v136, 1, v136
	v_cmp_lt_u32_e32 vcc, 4, v136
	v_add_u32_e32 v134, 8, v134
	s_or_b64 s[10:11], vcc, s[10:11]
	v_add_u32_e32 v135, 8, v135
	s_waitcnt vmcnt(0) lgkmcnt(0)
	v_fma_f64 v[129:130], v[137:138], v[139:140], v[129:130]
	s_andn2_b64 exec, exec, s[10:11]
	s_cbranch_execnz .LBB63_675
; %bb.676:
	s_or_b64 exec, exec, s[10:11]
.LBB63_677:
	s_or_b64 exec, exec, s[8:9]
	v_mov_b32_e32 v134, 0
	ds_read_b64 v[134:135], v134 offset:48
	s_waitcnt lgkmcnt(0)
	v_mul_f64 v[129:130], v[129:130], v[134:135]
	buffer_store_dword v130, off, s[0:3], 0 offset:52
	buffer_store_dword v129, off, s[0:3], 0 offset:48
.LBB63_678:
	s_or_b64 exec, exec, s[6:7]
	buffer_load_dword v129, off, s[0:3], 0 offset:56
	buffer_load_dword v130, off, s[0:3], 0 offset:60
	v_cmp_gt_u32_e32 vcc, 7, v0
	s_waitcnt vmcnt(0)
	ds_write_b64 v132, v[129:130]
	s_waitcnt lgkmcnt(0)
	; wave barrier
	s_and_saveexec_b64 s[6:7], vcc
	s_cbranch_execz .LBB63_688
; %bb.679:
	s_and_b64 vcc, exec, s[4:5]
	s_cbranch_vccnz .LBB63_681
; %bb.680:
	buffer_load_dword v129, v133, s[0:3], 0 offen
	buffer_load_dword v130, v133, s[0:3], 0 offen offset:4
	ds_read_b64 v[134:135], v132
	s_waitcnt vmcnt(0) lgkmcnt(0)
	v_mul_f64 v[129:130], v[129:130], v[134:135]
	s_cbranch_execz .LBB63_682
	s_branch .LBB63_683
.LBB63_681:
                                        ; implicit-def: $vgpr129_vgpr130
.LBB63_682:
	ds_read_b64 v[129:130], v132
.LBB63_683:
	v_cmp_ne_u32_e32 vcc, 6, v0
	s_and_saveexec_b64 s[8:9], vcc
	s_cbranch_execz .LBB63_687
; %bb.684:
	s_mov_b32 s10, 0
	v_add_u32_e32 v134, 0x208, v131
	v_add3_u32 v135, v131, s10, 8
	s_mov_b64 s[10:11], 0
	v_mov_b32_e32 v136, v0
.LBB63_685:                             ; =>This Inner Loop Header: Depth=1
	buffer_load_dword v137, v135, s[0:3], 0 offen
	buffer_load_dword v138, v135, s[0:3], 0 offen offset:4
	ds_read_b64 v[139:140], v134
	v_add_u32_e32 v136, 1, v136
	v_cmp_lt_u32_e32 vcc, 5, v136
	v_add_u32_e32 v134, 8, v134
	s_or_b64 s[10:11], vcc, s[10:11]
	v_add_u32_e32 v135, 8, v135
	s_waitcnt vmcnt(0) lgkmcnt(0)
	v_fma_f64 v[129:130], v[137:138], v[139:140], v[129:130]
	s_andn2_b64 exec, exec, s[10:11]
	s_cbranch_execnz .LBB63_685
; %bb.686:
	s_or_b64 exec, exec, s[10:11]
.LBB63_687:
	s_or_b64 exec, exec, s[8:9]
	v_mov_b32_e32 v134, 0
	ds_read_b64 v[134:135], v134 offset:56
	s_waitcnt lgkmcnt(0)
	v_mul_f64 v[129:130], v[129:130], v[134:135]
	buffer_store_dword v130, off, s[0:3], 0 offset:60
	buffer_store_dword v129, off, s[0:3], 0 offset:56
.LBB63_688:
	s_or_b64 exec, exec, s[6:7]
	buffer_load_dword v129, off, s[0:3], 0 offset:64
	buffer_load_dword v130, off, s[0:3], 0 offset:68
	v_cmp_gt_u32_e32 vcc, 8, v0
	s_waitcnt vmcnt(0)
	ds_write_b64 v132, v[129:130]
	s_waitcnt lgkmcnt(0)
	; wave barrier
	s_and_saveexec_b64 s[6:7], vcc
	s_cbranch_execz .LBB63_698
; %bb.689:
	s_and_b64 vcc, exec, s[4:5]
	s_cbranch_vccnz .LBB63_691
; %bb.690:
	buffer_load_dword v129, v133, s[0:3], 0 offen
	buffer_load_dword v130, v133, s[0:3], 0 offen offset:4
	ds_read_b64 v[134:135], v132
	s_waitcnt vmcnt(0) lgkmcnt(0)
	v_mul_f64 v[129:130], v[129:130], v[134:135]
	s_cbranch_execz .LBB63_692
	s_branch .LBB63_693
.LBB63_691:
                                        ; implicit-def: $vgpr129_vgpr130
.LBB63_692:
	ds_read_b64 v[129:130], v132
.LBB63_693:
	v_cmp_ne_u32_e32 vcc, 7, v0
	s_and_saveexec_b64 s[8:9], vcc
	s_cbranch_execz .LBB63_697
; %bb.694:
	s_mov_b32 s10, 0
	v_add_u32_e32 v134, 0x208, v131
	v_add3_u32 v135, v131, s10, 8
	s_mov_b64 s[10:11], 0
	v_mov_b32_e32 v136, v0
.LBB63_695:                             ; =>This Inner Loop Header: Depth=1
	buffer_load_dword v137, v135, s[0:3], 0 offen
	buffer_load_dword v138, v135, s[0:3], 0 offen offset:4
	ds_read_b64 v[139:140], v134
	v_add_u32_e32 v136, 1, v136
	v_cmp_lt_u32_e32 vcc, 6, v136
	v_add_u32_e32 v134, 8, v134
	s_or_b64 s[10:11], vcc, s[10:11]
	v_add_u32_e32 v135, 8, v135
	s_waitcnt vmcnt(0) lgkmcnt(0)
	v_fma_f64 v[129:130], v[137:138], v[139:140], v[129:130]
	s_andn2_b64 exec, exec, s[10:11]
	s_cbranch_execnz .LBB63_695
; %bb.696:
	s_or_b64 exec, exec, s[10:11]
.LBB63_697:
	s_or_b64 exec, exec, s[8:9]
	v_mov_b32_e32 v134, 0
	ds_read_b64 v[134:135], v134 offset:64
	s_waitcnt lgkmcnt(0)
	v_mul_f64 v[129:130], v[129:130], v[134:135]
	buffer_store_dword v130, off, s[0:3], 0 offset:68
	buffer_store_dword v129, off, s[0:3], 0 offset:64
.LBB63_698:
	s_or_b64 exec, exec, s[6:7]
	buffer_load_dword v129, off, s[0:3], 0 offset:72
	buffer_load_dword v130, off, s[0:3], 0 offset:76
	v_cmp_gt_u32_e32 vcc, 9, v0
	s_waitcnt vmcnt(0)
	ds_write_b64 v132, v[129:130]
	s_waitcnt lgkmcnt(0)
	; wave barrier
	s_and_saveexec_b64 s[6:7], vcc
	s_cbranch_execz .LBB63_708
; %bb.699:
	s_and_b64 vcc, exec, s[4:5]
	s_cbranch_vccnz .LBB63_701
; %bb.700:
	buffer_load_dword v129, v133, s[0:3], 0 offen
	buffer_load_dword v130, v133, s[0:3], 0 offen offset:4
	ds_read_b64 v[134:135], v132
	s_waitcnt vmcnt(0) lgkmcnt(0)
	v_mul_f64 v[129:130], v[129:130], v[134:135]
	s_cbranch_execz .LBB63_702
	s_branch .LBB63_703
.LBB63_701:
                                        ; implicit-def: $vgpr129_vgpr130
.LBB63_702:
	ds_read_b64 v[129:130], v132
.LBB63_703:
	v_cmp_ne_u32_e32 vcc, 8, v0
	s_and_saveexec_b64 s[8:9], vcc
	s_cbranch_execz .LBB63_707
; %bb.704:
	s_mov_b32 s10, 0
	v_add_u32_e32 v134, 0x208, v131
	v_add3_u32 v135, v131, s10, 8
	s_mov_b64 s[10:11], 0
	v_mov_b32_e32 v136, v0
.LBB63_705:                             ; =>This Inner Loop Header: Depth=1
	buffer_load_dword v137, v135, s[0:3], 0 offen
	buffer_load_dword v138, v135, s[0:3], 0 offen offset:4
	ds_read_b64 v[139:140], v134
	v_add_u32_e32 v136, 1, v136
	v_cmp_lt_u32_e32 vcc, 7, v136
	v_add_u32_e32 v134, 8, v134
	s_or_b64 s[10:11], vcc, s[10:11]
	v_add_u32_e32 v135, 8, v135
	s_waitcnt vmcnt(0) lgkmcnt(0)
	v_fma_f64 v[129:130], v[137:138], v[139:140], v[129:130]
	s_andn2_b64 exec, exec, s[10:11]
	s_cbranch_execnz .LBB63_705
; %bb.706:
	s_or_b64 exec, exec, s[10:11]
.LBB63_707:
	s_or_b64 exec, exec, s[8:9]
	v_mov_b32_e32 v134, 0
	ds_read_b64 v[134:135], v134 offset:72
	s_waitcnt lgkmcnt(0)
	v_mul_f64 v[129:130], v[129:130], v[134:135]
	buffer_store_dword v130, off, s[0:3], 0 offset:76
	buffer_store_dword v129, off, s[0:3], 0 offset:72
.LBB63_708:
	s_or_b64 exec, exec, s[6:7]
	buffer_load_dword v129, off, s[0:3], 0 offset:80
	buffer_load_dword v130, off, s[0:3], 0 offset:84
	v_cmp_gt_u32_e32 vcc, 10, v0
	s_waitcnt vmcnt(0)
	ds_write_b64 v132, v[129:130]
	s_waitcnt lgkmcnt(0)
	; wave barrier
	s_and_saveexec_b64 s[6:7], vcc
	s_cbranch_execz .LBB63_718
; %bb.709:
	s_and_b64 vcc, exec, s[4:5]
	s_cbranch_vccnz .LBB63_711
; %bb.710:
	buffer_load_dword v129, v133, s[0:3], 0 offen
	buffer_load_dword v130, v133, s[0:3], 0 offen offset:4
	ds_read_b64 v[134:135], v132
	s_waitcnt vmcnt(0) lgkmcnt(0)
	v_mul_f64 v[129:130], v[129:130], v[134:135]
	s_cbranch_execz .LBB63_712
	s_branch .LBB63_713
.LBB63_711:
                                        ; implicit-def: $vgpr129_vgpr130
.LBB63_712:
	ds_read_b64 v[129:130], v132
.LBB63_713:
	v_cmp_ne_u32_e32 vcc, 9, v0
	s_and_saveexec_b64 s[8:9], vcc
	s_cbranch_execz .LBB63_717
; %bb.714:
	s_mov_b32 s10, 0
	v_add_u32_e32 v134, 0x208, v131
	v_add3_u32 v135, v131, s10, 8
	s_mov_b64 s[10:11], 0
	v_mov_b32_e32 v136, v0
.LBB63_715:                             ; =>This Inner Loop Header: Depth=1
	buffer_load_dword v137, v135, s[0:3], 0 offen
	buffer_load_dword v138, v135, s[0:3], 0 offen offset:4
	ds_read_b64 v[139:140], v134
	v_add_u32_e32 v136, 1, v136
	v_cmp_lt_u32_e32 vcc, 8, v136
	v_add_u32_e32 v134, 8, v134
	s_or_b64 s[10:11], vcc, s[10:11]
	v_add_u32_e32 v135, 8, v135
	s_waitcnt vmcnt(0) lgkmcnt(0)
	v_fma_f64 v[129:130], v[137:138], v[139:140], v[129:130]
	s_andn2_b64 exec, exec, s[10:11]
	s_cbranch_execnz .LBB63_715
; %bb.716:
	s_or_b64 exec, exec, s[10:11]
.LBB63_717:
	s_or_b64 exec, exec, s[8:9]
	v_mov_b32_e32 v134, 0
	ds_read_b64 v[134:135], v134 offset:80
	s_waitcnt lgkmcnt(0)
	v_mul_f64 v[129:130], v[129:130], v[134:135]
	buffer_store_dword v130, off, s[0:3], 0 offset:84
	buffer_store_dword v129, off, s[0:3], 0 offset:80
.LBB63_718:
	s_or_b64 exec, exec, s[6:7]
	buffer_load_dword v129, off, s[0:3], 0 offset:88
	buffer_load_dword v130, off, s[0:3], 0 offset:92
	v_cmp_gt_u32_e32 vcc, 11, v0
	s_waitcnt vmcnt(0)
	ds_write_b64 v132, v[129:130]
	s_waitcnt lgkmcnt(0)
	; wave barrier
	s_and_saveexec_b64 s[6:7], vcc
	s_cbranch_execz .LBB63_728
; %bb.719:
	s_and_b64 vcc, exec, s[4:5]
	s_cbranch_vccnz .LBB63_721
; %bb.720:
	buffer_load_dword v129, v133, s[0:3], 0 offen
	buffer_load_dword v130, v133, s[0:3], 0 offen offset:4
	ds_read_b64 v[134:135], v132
	s_waitcnt vmcnt(0) lgkmcnt(0)
	v_mul_f64 v[129:130], v[129:130], v[134:135]
	s_cbranch_execz .LBB63_722
	s_branch .LBB63_723
.LBB63_721:
                                        ; implicit-def: $vgpr129_vgpr130
.LBB63_722:
	ds_read_b64 v[129:130], v132
.LBB63_723:
	v_cmp_ne_u32_e32 vcc, 10, v0
	s_and_saveexec_b64 s[8:9], vcc
	s_cbranch_execz .LBB63_727
; %bb.724:
	s_mov_b32 s10, 0
	v_add_u32_e32 v134, 0x208, v131
	v_add3_u32 v135, v131, s10, 8
	s_mov_b64 s[10:11], 0
	v_mov_b32_e32 v136, v0
.LBB63_725:                             ; =>This Inner Loop Header: Depth=1
	buffer_load_dword v137, v135, s[0:3], 0 offen
	buffer_load_dword v138, v135, s[0:3], 0 offen offset:4
	ds_read_b64 v[139:140], v134
	v_add_u32_e32 v136, 1, v136
	v_cmp_lt_u32_e32 vcc, 9, v136
	v_add_u32_e32 v134, 8, v134
	s_or_b64 s[10:11], vcc, s[10:11]
	v_add_u32_e32 v135, 8, v135
	s_waitcnt vmcnt(0) lgkmcnt(0)
	v_fma_f64 v[129:130], v[137:138], v[139:140], v[129:130]
	s_andn2_b64 exec, exec, s[10:11]
	s_cbranch_execnz .LBB63_725
; %bb.726:
	s_or_b64 exec, exec, s[10:11]
.LBB63_727:
	s_or_b64 exec, exec, s[8:9]
	v_mov_b32_e32 v134, 0
	ds_read_b64 v[134:135], v134 offset:88
	s_waitcnt lgkmcnt(0)
	v_mul_f64 v[129:130], v[129:130], v[134:135]
	buffer_store_dword v130, off, s[0:3], 0 offset:92
	buffer_store_dword v129, off, s[0:3], 0 offset:88
.LBB63_728:
	s_or_b64 exec, exec, s[6:7]
	buffer_load_dword v129, off, s[0:3], 0 offset:96
	buffer_load_dword v130, off, s[0:3], 0 offset:100
	v_cmp_gt_u32_e32 vcc, 12, v0
	s_waitcnt vmcnt(0)
	ds_write_b64 v132, v[129:130]
	s_waitcnt lgkmcnt(0)
	; wave barrier
	s_and_saveexec_b64 s[6:7], vcc
	s_cbranch_execz .LBB63_738
; %bb.729:
	s_and_b64 vcc, exec, s[4:5]
	s_cbranch_vccnz .LBB63_731
; %bb.730:
	buffer_load_dword v129, v133, s[0:3], 0 offen
	buffer_load_dword v130, v133, s[0:3], 0 offen offset:4
	ds_read_b64 v[134:135], v132
	s_waitcnt vmcnt(0) lgkmcnt(0)
	v_mul_f64 v[129:130], v[129:130], v[134:135]
	s_cbranch_execz .LBB63_732
	s_branch .LBB63_733
.LBB63_731:
                                        ; implicit-def: $vgpr129_vgpr130
.LBB63_732:
	ds_read_b64 v[129:130], v132
.LBB63_733:
	v_cmp_ne_u32_e32 vcc, 11, v0
	s_and_saveexec_b64 s[8:9], vcc
	s_cbranch_execz .LBB63_737
; %bb.734:
	s_mov_b32 s10, 0
	v_add_u32_e32 v134, 0x208, v131
	v_add3_u32 v135, v131, s10, 8
	s_mov_b64 s[10:11], 0
	v_mov_b32_e32 v136, v0
.LBB63_735:                             ; =>This Inner Loop Header: Depth=1
	buffer_load_dword v137, v135, s[0:3], 0 offen
	buffer_load_dword v138, v135, s[0:3], 0 offen offset:4
	ds_read_b64 v[139:140], v134
	v_add_u32_e32 v136, 1, v136
	v_cmp_lt_u32_e32 vcc, 10, v136
	v_add_u32_e32 v134, 8, v134
	s_or_b64 s[10:11], vcc, s[10:11]
	v_add_u32_e32 v135, 8, v135
	s_waitcnt vmcnt(0) lgkmcnt(0)
	v_fma_f64 v[129:130], v[137:138], v[139:140], v[129:130]
	s_andn2_b64 exec, exec, s[10:11]
	s_cbranch_execnz .LBB63_735
; %bb.736:
	s_or_b64 exec, exec, s[10:11]
.LBB63_737:
	s_or_b64 exec, exec, s[8:9]
	v_mov_b32_e32 v134, 0
	ds_read_b64 v[134:135], v134 offset:96
	s_waitcnt lgkmcnt(0)
	v_mul_f64 v[129:130], v[129:130], v[134:135]
	buffer_store_dword v130, off, s[0:3], 0 offset:100
	buffer_store_dword v129, off, s[0:3], 0 offset:96
.LBB63_738:
	s_or_b64 exec, exec, s[6:7]
	buffer_load_dword v129, off, s[0:3], 0 offset:104
	buffer_load_dword v130, off, s[0:3], 0 offset:108
	v_cmp_gt_u32_e32 vcc, 13, v0
	s_waitcnt vmcnt(0)
	ds_write_b64 v132, v[129:130]
	s_waitcnt lgkmcnt(0)
	; wave barrier
	s_and_saveexec_b64 s[6:7], vcc
	s_cbranch_execz .LBB63_748
; %bb.739:
	s_and_b64 vcc, exec, s[4:5]
	s_cbranch_vccnz .LBB63_741
; %bb.740:
	buffer_load_dword v129, v133, s[0:3], 0 offen
	buffer_load_dword v130, v133, s[0:3], 0 offen offset:4
	ds_read_b64 v[134:135], v132
	s_waitcnt vmcnt(0) lgkmcnt(0)
	v_mul_f64 v[129:130], v[129:130], v[134:135]
	s_cbranch_execz .LBB63_742
	s_branch .LBB63_743
.LBB63_741:
                                        ; implicit-def: $vgpr129_vgpr130
.LBB63_742:
	ds_read_b64 v[129:130], v132
.LBB63_743:
	v_cmp_ne_u32_e32 vcc, 12, v0
	s_and_saveexec_b64 s[8:9], vcc
	s_cbranch_execz .LBB63_747
; %bb.744:
	s_mov_b32 s10, 0
	v_add_u32_e32 v134, 0x208, v131
	v_add3_u32 v135, v131, s10, 8
	s_mov_b64 s[10:11], 0
	v_mov_b32_e32 v136, v0
.LBB63_745:                             ; =>This Inner Loop Header: Depth=1
	buffer_load_dword v137, v135, s[0:3], 0 offen
	buffer_load_dword v138, v135, s[0:3], 0 offen offset:4
	ds_read_b64 v[139:140], v134
	v_add_u32_e32 v136, 1, v136
	v_cmp_lt_u32_e32 vcc, 11, v136
	v_add_u32_e32 v134, 8, v134
	s_or_b64 s[10:11], vcc, s[10:11]
	v_add_u32_e32 v135, 8, v135
	s_waitcnt vmcnt(0) lgkmcnt(0)
	v_fma_f64 v[129:130], v[137:138], v[139:140], v[129:130]
	s_andn2_b64 exec, exec, s[10:11]
	s_cbranch_execnz .LBB63_745
; %bb.746:
	s_or_b64 exec, exec, s[10:11]
.LBB63_747:
	s_or_b64 exec, exec, s[8:9]
	v_mov_b32_e32 v134, 0
	ds_read_b64 v[134:135], v134 offset:104
	s_waitcnt lgkmcnt(0)
	v_mul_f64 v[129:130], v[129:130], v[134:135]
	buffer_store_dword v130, off, s[0:3], 0 offset:108
	buffer_store_dword v129, off, s[0:3], 0 offset:104
.LBB63_748:
	s_or_b64 exec, exec, s[6:7]
	buffer_load_dword v129, off, s[0:3], 0 offset:112
	buffer_load_dword v130, off, s[0:3], 0 offset:116
	v_cmp_gt_u32_e32 vcc, 14, v0
	s_waitcnt vmcnt(0)
	ds_write_b64 v132, v[129:130]
	s_waitcnt lgkmcnt(0)
	; wave barrier
	s_and_saveexec_b64 s[6:7], vcc
	s_cbranch_execz .LBB63_758
; %bb.749:
	s_and_b64 vcc, exec, s[4:5]
	s_cbranch_vccnz .LBB63_751
; %bb.750:
	buffer_load_dword v129, v133, s[0:3], 0 offen
	buffer_load_dword v130, v133, s[0:3], 0 offen offset:4
	ds_read_b64 v[134:135], v132
	s_waitcnt vmcnt(0) lgkmcnt(0)
	v_mul_f64 v[129:130], v[129:130], v[134:135]
	s_cbranch_execz .LBB63_752
	s_branch .LBB63_753
.LBB63_751:
                                        ; implicit-def: $vgpr129_vgpr130
.LBB63_752:
	ds_read_b64 v[129:130], v132
.LBB63_753:
	v_cmp_ne_u32_e32 vcc, 13, v0
	s_and_saveexec_b64 s[8:9], vcc
	s_cbranch_execz .LBB63_757
; %bb.754:
	s_mov_b32 s10, 0
	v_add_u32_e32 v134, 0x208, v131
	v_add3_u32 v135, v131, s10, 8
	s_mov_b64 s[10:11], 0
	v_mov_b32_e32 v136, v0
.LBB63_755:                             ; =>This Inner Loop Header: Depth=1
	buffer_load_dword v137, v135, s[0:3], 0 offen
	buffer_load_dword v138, v135, s[0:3], 0 offen offset:4
	ds_read_b64 v[139:140], v134
	v_add_u32_e32 v136, 1, v136
	v_cmp_lt_u32_e32 vcc, 12, v136
	v_add_u32_e32 v134, 8, v134
	s_or_b64 s[10:11], vcc, s[10:11]
	v_add_u32_e32 v135, 8, v135
	s_waitcnt vmcnt(0) lgkmcnt(0)
	v_fma_f64 v[129:130], v[137:138], v[139:140], v[129:130]
	s_andn2_b64 exec, exec, s[10:11]
	s_cbranch_execnz .LBB63_755
; %bb.756:
	s_or_b64 exec, exec, s[10:11]
.LBB63_757:
	s_or_b64 exec, exec, s[8:9]
	v_mov_b32_e32 v134, 0
	ds_read_b64 v[134:135], v134 offset:112
	s_waitcnt lgkmcnt(0)
	v_mul_f64 v[129:130], v[129:130], v[134:135]
	buffer_store_dword v130, off, s[0:3], 0 offset:116
	buffer_store_dword v129, off, s[0:3], 0 offset:112
.LBB63_758:
	s_or_b64 exec, exec, s[6:7]
	buffer_load_dword v129, off, s[0:3], 0 offset:120
	buffer_load_dword v130, off, s[0:3], 0 offset:124
	v_cmp_gt_u32_e32 vcc, 15, v0
	s_waitcnt vmcnt(0)
	ds_write_b64 v132, v[129:130]
	s_waitcnt lgkmcnt(0)
	; wave barrier
	s_and_saveexec_b64 s[6:7], vcc
	s_cbranch_execz .LBB63_768
; %bb.759:
	s_and_b64 vcc, exec, s[4:5]
	s_cbranch_vccnz .LBB63_761
; %bb.760:
	buffer_load_dword v129, v133, s[0:3], 0 offen
	buffer_load_dword v130, v133, s[0:3], 0 offen offset:4
	ds_read_b64 v[134:135], v132
	s_waitcnt vmcnt(0) lgkmcnt(0)
	v_mul_f64 v[129:130], v[129:130], v[134:135]
	s_cbranch_execz .LBB63_762
	s_branch .LBB63_763
.LBB63_761:
                                        ; implicit-def: $vgpr129_vgpr130
.LBB63_762:
	ds_read_b64 v[129:130], v132
.LBB63_763:
	v_cmp_ne_u32_e32 vcc, 14, v0
	s_and_saveexec_b64 s[8:9], vcc
	s_cbranch_execz .LBB63_767
; %bb.764:
	s_mov_b32 s10, 0
	v_add_u32_e32 v134, 0x208, v131
	v_add3_u32 v135, v131, s10, 8
	s_mov_b64 s[10:11], 0
	v_mov_b32_e32 v136, v0
.LBB63_765:                             ; =>This Inner Loop Header: Depth=1
	buffer_load_dword v137, v135, s[0:3], 0 offen
	buffer_load_dword v138, v135, s[0:3], 0 offen offset:4
	ds_read_b64 v[139:140], v134
	v_add_u32_e32 v136, 1, v136
	v_cmp_lt_u32_e32 vcc, 13, v136
	v_add_u32_e32 v134, 8, v134
	s_or_b64 s[10:11], vcc, s[10:11]
	v_add_u32_e32 v135, 8, v135
	s_waitcnt vmcnt(0) lgkmcnt(0)
	v_fma_f64 v[129:130], v[137:138], v[139:140], v[129:130]
	s_andn2_b64 exec, exec, s[10:11]
	s_cbranch_execnz .LBB63_765
; %bb.766:
	s_or_b64 exec, exec, s[10:11]
.LBB63_767:
	s_or_b64 exec, exec, s[8:9]
	v_mov_b32_e32 v134, 0
	ds_read_b64 v[134:135], v134 offset:120
	s_waitcnt lgkmcnt(0)
	v_mul_f64 v[129:130], v[129:130], v[134:135]
	buffer_store_dword v130, off, s[0:3], 0 offset:124
	buffer_store_dword v129, off, s[0:3], 0 offset:120
.LBB63_768:
	s_or_b64 exec, exec, s[6:7]
	buffer_load_dword v129, off, s[0:3], 0 offset:128
	buffer_load_dword v130, off, s[0:3], 0 offset:132
	v_cmp_gt_u32_e32 vcc, 16, v0
	s_waitcnt vmcnt(0)
	ds_write_b64 v132, v[129:130]
	s_waitcnt lgkmcnt(0)
	; wave barrier
	s_and_saveexec_b64 s[6:7], vcc
	s_cbranch_execz .LBB63_778
; %bb.769:
	s_and_b64 vcc, exec, s[4:5]
	s_cbranch_vccnz .LBB63_771
; %bb.770:
	buffer_load_dword v129, v133, s[0:3], 0 offen
	buffer_load_dword v130, v133, s[0:3], 0 offen offset:4
	ds_read_b64 v[134:135], v132
	s_waitcnt vmcnt(0) lgkmcnt(0)
	v_mul_f64 v[129:130], v[129:130], v[134:135]
	s_cbranch_execz .LBB63_772
	s_branch .LBB63_773
.LBB63_771:
                                        ; implicit-def: $vgpr129_vgpr130
.LBB63_772:
	ds_read_b64 v[129:130], v132
.LBB63_773:
	v_cmp_ne_u32_e32 vcc, 15, v0
	s_and_saveexec_b64 s[8:9], vcc
	s_cbranch_execz .LBB63_777
; %bb.774:
	s_mov_b32 s10, 0
	v_add_u32_e32 v134, 0x208, v131
	v_add3_u32 v135, v131, s10, 8
	s_mov_b64 s[10:11], 0
	v_mov_b32_e32 v136, v0
.LBB63_775:                             ; =>This Inner Loop Header: Depth=1
	buffer_load_dword v137, v135, s[0:3], 0 offen
	buffer_load_dword v138, v135, s[0:3], 0 offen offset:4
	ds_read_b64 v[139:140], v134
	v_add_u32_e32 v136, 1, v136
	v_cmp_lt_u32_e32 vcc, 14, v136
	v_add_u32_e32 v134, 8, v134
	s_or_b64 s[10:11], vcc, s[10:11]
	v_add_u32_e32 v135, 8, v135
	s_waitcnt vmcnt(0) lgkmcnt(0)
	v_fma_f64 v[129:130], v[137:138], v[139:140], v[129:130]
	s_andn2_b64 exec, exec, s[10:11]
	s_cbranch_execnz .LBB63_775
; %bb.776:
	s_or_b64 exec, exec, s[10:11]
.LBB63_777:
	s_or_b64 exec, exec, s[8:9]
	v_mov_b32_e32 v134, 0
	ds_read_b64 v[134:135], v134 offset:128
	s_waitcnt lgkmcnt(0)
	v_mul_f64 v[129:130], v[129:130], v[134:135]
	buffer_store_dword v130, off, s[0:3], 0 offset:132
	buffer_store_dword v129, off, s[0:3], 0 offset:128
.LBB63_778:
	s_or_b64 exec, exec, s[6:7]
	buffer_load_dword v129, off, s[0:3], 0 offset:136
	buffer_load_dword v130, off, s[0:3], 0 offset:140
	v_cmp_gt_u32_e32 vcc, 17, v0
	s_waitcnt vmcnt(0)
	ds_write_b64 v132, v[129:130]
	s_waitcnt lgkmcnt(0)
	; wave barrier
	s_and_saveexec_b64 s[6:7], vcc
	s_cbranch_execz .LBB63_788
; %bb.779:
	s_and_b64 vcc, exec, s[4:5]
	s_cbranch_vccnz .LBB63_781
; %bb.780:
	buffer_load_dword v129, v133, s[0:3], 0 offen
	buffer_load_dword v130, v133, s[0:3], 0 offen offset:4
	ds_read_b64 v[134:135], v132
	s_waitcnt vmcnt(0) lgkmcnt(0)
	v_mul_f64 v[129:130], v[129:130], v[134:135]
	s_cbranch_execz .LBB63_782
	s_branch .LBB63_783
.LBB63_781:
                                        ; implicit-def: $vgpr129_vgpr130
.LBB63_782:
	ds_read_b64 v[129:130], v132
.LBB63_783:
	v_cmp_ne_u32_e32 vcc, 16, v0
	s_and_saveexec_b64 s[8:9], vcc
	s_cbranch_execz .LBB63_787
; %bb.784:
	s_mov_b32 s10, 0
	v_add_u32_e32 v134, 0x208, v131
	v_add3_u32 v135, v131, s10, 8
	s_mov_b64 s[10:11], 0
	v_mov_b32_e32 v136, v0
.LBB63_785:                             ; =>This Inner Loop Header: Depth=1
	buffer_load_dword v137, v135, s[0:3], 0 offen
	buffer_load_dword v138, v135, s[0:3], 0 offen offset:4
	ds_read_b64 v[139:140], v134
	v_add_u32_e32 v136, 1, v136
	v_cmp_lt_u32_e32 vcc, 15, v136
	v_add_u32_e32 v134, 8, v134
	s_or_b64 s[10:11], vcc, s[10:11]
	v_add_u32_e32 v135, 8, v135
	s_waitcnt vmcnt(0) lgkmcnt(0)
	v_fma_f64 v[129:130], v[137:138], v[139:140], v[129:130]
	s_andn2_b64 exec, exec, s[10:11]
	s_cbranch_execnz .LBB63_785
; %bb.786:
	s_or_b64 exec, exec, s[10:11]
.LBB63_787:
	s_or_b64 exec, exec, s[8:9]
	v_mov_b32_e32 v134, 0
	ds_read_b64 v[134:135], v134 offset:136
	s_waitcnt lgkmcnt(0)
	v_mul_f64 v[129:130], v[129:130], v[134:135]
	buffer_store_dword v130, off, s[0:3], 0 offset:140
	buffer_store_dword v129, off, s[0:3], 0 offset:136
.LBB63_788:
	s_or_b64 exec, exec, s[6:7]
	buffer_load_dword v129, off, s[0:3], 0 offset:144
	buffer_load_dword v130, off, s[0:3], 0 offset:148
	v_cmp_gt_u32_e32 vcc, 18, v0
	s_waitcnt vmcnt(0)
	ds_write_b64 v132, v[129:130]
	s_waitcnt lgkmcnt(0)
	; wave barrier
	s_and_saveexec_b64 s[6:7], vcc
	s_cbranch_execz .LBB63_798
; %bb.789:
	s_and_b64 vcc, exec, s[4:5]
	s_cbranch_vccnz .LBB63_791
; %bb.790:
	buffer_load_dword v129, v133, s[0:3], 0 offen
	buffer_load_dword v130, v133, s[0:3], 0 offen offset:4
	ds_read_b64 v[134:135], v132
	s_waitcnt vmcnt(0) lgkmcnt(0)
	v_mul_f64 v[129:130], v[129:130], v[134:135]
	s_cbranch_execz .LBB63_792
	s_branch .LBB63_793
.LBB63_791:
                                        ; implicit-def: $vgpr129_vgpr130
.LBB63_792:
	ds_read_b64 v[129:130], v132
.LBB63_793:
	v_cmp_ne_u32_e32 vcc, 17, v0
	s_and_saveexec_b64 s[8:9], vcc
	s_cbranch_execz .LBB63_797
; %bb.794:
	s_mov_b32 s10, 0
	v_add_u32_e32 v134, 0x208, v131
	v_add3_u32 v135, v131, s10, 8
	s_mov_b64 s[10:11], 0
	v_mov_b32_e32 v136, v0
.LBB63_795:                             ; =>This Inner Loop Header: Depth=1
	buffer_load_dword v137, v135, s[0:3], 0 offen
	buffer_load_dword v138, v135, s[0:3], 0 offen offset:4
	ds_read_b64 v[139:140], v134
	v_add_u32_e32 v136, 1, v136
	v_cmp_lt_u32_e32 vcc, 16, v136
	v_add_u32_e32 v134, 8, v134
	s_or_b64 s[10:11], vcc, s[10:11]
	v_add_u32_e32 v135, 8, v135
	s_waitcnt vmcnt(0) lgkmcnt(0)
	v_fma_f64 v[129:130], v[137:138], v[139:140], v[129:130]
	s_andn2_b64 exec, exec, s[10:11]
	s_cbranch_execnz .LBB63_795
; %bb.796:
	s_or_b64 exec, exec, s[10:11]
.LBB63_797:
	s_or_b64 exec, exec, s[8:9]
	v_mov_b32_e32 v134, 0
	ds_read_b64 v[134:135], v134 offset:144
	s_waitcnt lgkmcnt(0)
	v_mul_f64 v[129:130], v[129:130], v[134:135]
	buffer_store_dword v130, off, s[0:3], 0 offset:148
	buffer_store_dword v129, off, s[0:3], 0 offset:144
.LBB63_798:
	s_or_b64 exec, exec, s[6:7]
	buffer_load_dword v129, off, s[0:3], 0 offset:152
	buffer_load_dword v130, off, s[0:3], 0 offset:156
	v_cmp_gt_u32_e32 vcc, 19, v0
	s_waitcnt vmcnt(0)
	ds_write_b64 v132, v[129:130]
	s_waitcnt lgkmcnt(0)
	; wave barrier
	s_and_saveexec_b64 s[6:7], vcc
	s_cbranch_execz .LBB63_808
; %bb.799:
	s_and_b64 vcc, exec, s[4:5]
	s_cbranch_vccnz .LBB63_801
; %bb.800:
	buffer_load_dword v129, v133, s[0:3], 0 offen
	buffer_load_dword v130, v133, s[0:3], 0 offen offset:4
	ds_read_b64 v[134:135], v132
	s_waitcnt vmcnt(0) lgkmcnt(0)
	v_mul_f64 v[129:130], v[129:130], v[134:135]
	s_cbranch_execz .LBB63_802
	s_branch .LBB63_803
.LBB63_801:
                                        ; implicit-def: $vgpr129_vgpr130
.LBB63_802:
	ds_read_b64 v[129:130], v132
.LBB63_803:
	v_cmp_ne_u32_e32 vcc, 18, v0
	s_and_saveexec_b64 s[8:9], vcc
	s_cbranch_execz .LBB63_807
; %bb.804:
	s_mov_b32 s10, 0
	v_add_u32_e32 v134, 0x208, v131
	v_add3_u32 v135, v131, s10, 8
	s_mov_b64 s[10:11], 0
	v_mov_b32_e32 v136, v0
.LBB63_805:                             ; =>This Inner Loop Header: Depth=1
	buffer_load_dword v137, v135, s[0:3], 0 offen
	buffer_load_dword v138, v135, s[0:3], 0 offen offset:4
	ds_read_b64 v[139:140], v134
	v_add_u32_e32 v136, 1, v136
	v_cmp_lt_u32_e32 vcc, 17, v136
	v_add_u32_e32 v134, 8, v134
	s_or_b64 s[10:11], vcc, s[10:11]
	v_add_u32_e32 v135, 8, v135
	s_waitcnt vmcnt(0) lgkmcnt(0)
	v_fma_f64 v[129:130], v[137:138], v[139:140], v[129:130]
	s_andn2_b64 exec, exec, s[10:11]
	s_cbranch_execnz .LBB63_805
; %bb.806:
	s_or_b64 exec, exec, s[10:11]
.LBB63_807:
	s_or_b64 exec, exec, s[8:9]
	v_mov_b32_e32 v134, 0
	ds_read_b64 v[134:135], v134 offset:152
	s_waitcnt lgkmcnt(0)
	v_mul_f64 v[129:130], v[129:130], v[134:135]
	buffer_store_dword v130, off, s[0:3], 0 offset:156
	buffer_store_dword v129, off, s[0:3], 0 offset:152
.LBB63_808:
	s_or_b64 exec, exec, s[6:7]
	buffer_load_dword v129, off, s[0:3], 0 offset:160
	buffer_load_dword v130, off, s[0:3], 0 offset:164
	v_cmp_gt_u32_e32 vcc, 20, v0
	s_waitcnt vmcnt(0)
	ds_write_b64 v132, v[129:130]
	s_waitcnt lgkmcnt(0)
	; wave barrier
	s_and_saveexec_b64 s[6:7], vcc
	s_cbranch_execz .LBB63_818
; %bb.809:
	s_and_b64 vcc, exec, s[4:5]
	s_cbranch_vccnz .LBB63_811
; %bb.810:
	buffer_load_dword v129, v133, s[0:3], 0 offen
	buffer_load_dword v130, v133, s[0:3], 0 offen offset:4
	ds_read_b64 v[134:135], v132
	s_waitcnt vmcnt(0) lgkmcnt(0)
	v_mul_f64 v[129:130], v[129:130], v[134:135]
	s_cbranch_execz .LBB63_812
	s_branch .LBB63_813
.LBB63_811:
                                        ; implicit-def: $vgpr129_vgpr130
.LBB63_812:
	ds_read_b64 v[129:130], v132
.LBB63_813:
	v_cmp_ne_u32_e32 vcc, 19, v0
	s_and_saveexec_b64 s[8:9], vcc
	s_cbranch_execz .LBB63_817
; %bb.814:
	s_mov_b32 s10, 0
	v_add_u32_e32 v134, 0x208, v131
	v_add3_u32 v135, v131, s10, 8
	s_mov_b64 s[10:11], 0
	v_mov_b32_e32 v136, v0
.LBB63_815:                             ; =>This Inner Loop Header: Depth=1
	buffer_load_dword v137, v135, s[0:3], 0 offen
	buffer_load_dword v138, v135, s[0:3], 0 offen offset:4
	ds_read_b64 v[139:140], v134
	v_add_u32_e32 v136, 1, v136
	v_cmp_lt_u32_e32 vcc, 18, v136
	v_add_u32_e32 v134, 8, v134
	s_or_b64 s[10:11], vcc, s[10:11]
	v_add_u32_e32 v135, 8, v135
	s_waitcnt vmcnt(0) lgkmcnt(0)
	v_fma_f64 v[129:130], v[137:138], v[139:140], v[129:130]
	s_andn2_b64 exec, exec, s[10:11]
	s_cbranch_execnz .LBB63_815
; %bb.816:
	s_or_b64 exec, exec, s[10:11]
.LBB63_817:
	s_or_b64 exec, exec, s[8:9]
	v_mov_b32_e32 v134, 0
	ds_read_b64 v[134:135], v134 offset:160
	s_waitcnt lgkmcnt(0)
	v_mul_f64 v[129:130], v[129:130], v[134:135]
	buffer_store_dword v130, off, s[0:3], 0 offset:164
	buffer_store_dword v129, off, s[0:3], 0 offset:160
.LBB63_818:
	s_or_b64 exec, exec, s[6:7]
	buffer_load_dword v129, off, s[0:3], 0 offset:168
	buffer_load_dword v130, off, s[0:3], 0 offset:172
	v_cmp_gt_u32_e32 vcc, 21, v0
	s_waitcnt vmcnt(0)
	ds_write_b64 v132, v[129:130]
	s_waitcnt lgkmcnt(0)
	; wave barrier
	s_and_saveexec_b64 s[6:7], vcc
	s_cbranch_execz .LBB63_828
; %bb.819:
	s_and_b64 vcc, exec, s[4:5]
	s_cbranch_vccnz .LBB63_821
; %bb.820:
	buffer_load_dword v129, v133, s[0:3], 0 offen
	buffer_load_dword v130, v133, s[0:3], 0 offen offset:4
	ds_read_b64 v[134:135], v132
	s_waitcnt vmcnt(0) lgkmcnt(0)
	v_mul_f64 v[129:130], v[129:130], v[134:135]
	s_cbranch_execz .LBB63_822
	s_branch .LBB63_823
.LBB63_821:
                                        ; implicit-def: $vgpr129_vgpr130
.LBB63_822:
	ds_read_b64 v[129:130], v132
.LBB63_823:
	v_cmp_ne_u32_e32 vcc, 20, v0
	s_and_saveexec_b64 s[8:9], vcc
	s_cbranch_execz .LBB63_827
; %bb.824:
	s_mov_b32 s10, 0
	v_add_u32_e32 v134, 0x208, v131
	v_add3_u32 v135, v131, s10, 8
	s_mov_b64 s[10:11], 0
	v_mov_b32_e32 v136, v0
.LBB63_825:                             ; =>This Inner Loop Header: Depth=1
	buffer_load_dword v137, v135, s[0:3], 0 offen
	buffer_load_dword v138, v135, s[0:3], 0 offen offset:4
	ds_read_b64 v[139:140], v134
	v_add_u32_e32 v136, 1, v136
	v_cmp_lt_u32_e32 vcc, 19, v136
	v_add_u32_e32 v134, 8, v134
	s_or_b64 s[10:11], vcc, s[10:11]
	v_add_u32_e32 v135, 8, v135
	s_waitcnt vmcnt(0) lgkmcnt(0)
	v_fma_f64 v[129:130], v[137:138], v[139:140], v[129:130]
	s_andn2_b64 exec, exec, s[10:11]
	s_cbranch_execnz .LBB63_825
; %bb.826:
	s_or_b64 exec, exec, s[10:11]
.LBB63_827:
	s_or_b64 exec, exec, s[8:9]
	v_mov_b32_e32 v134, 0
	ds_read_b64 v[134:135], v134 offset:168
	s_waitcnt lgkmcnt(0)
	v_mul_f64 v[129:130], v[129:130], v[134:135]
	buffer_store_dword v130, off, s[0:3], 0 offset:172
	buffer_store_dword v129, off, s[0:3], 0 offset:168
.LBB63_828:
	s_or_b64 exec, exec, s[6:7]
	buffer_load_dword v129, off, s[0:3], 0 offset:176
	buffer_load_dword v130, off, s[0:3], 0 offset:180
	v_cmp_gt_u32_e32 vcc, 22, v0
	s_waitcnt vmcnt(0)
	ds_write_b64 v132, v[129:130]
	s_waitcnt lgkmcnt(0)
	; wave barrier
	s_and_saveexec_b64 s[6:7], vcc
	s_cbranch_execz .LBB63_838
; %bb.829:
	s_and_b64 vcc, exec, s[4:5]
	s_cbranch_vccnz .LBB63_831
; %bb.830:
	buffer_load_dword v129, v133, s[0:3], 0 offen
	buffer_load_dword v130, v133, s[0:3], 0 offen offset:4
	ds_read_b64 v[134:135], v132
	s_waitcnt vmcnt(0) lgkmcnt(0)
	v_mul_f64 v[129:130], v[129:130], v[134:135]
	s_cbranch_execz .LBB63_832
	s_branch .LBB63_833
.LBB63_831:
                                        ; implicit-def: $vgpr129_vgpr130
.LBB63_832:
	ds_read_b64 v[129:130], v132
.LBB63_833:
	v_cmp_ne_u32_e32 vcc, 21, v0
	s_and_saveexec_b64 s[8:9], vcc
	s_cbranch_execz .LBB63_837
; %bb.834:
	s_mov_b32 s10, 0
	v_add_u32_e32 v134, 0x208, v131
	v_add3_u32 v135, v131, s10, 8
	s_mov_b64 s[10:11], 0
	v_mov_b32_e32 v136, v0
.LBB63_835:                             ; =>This Inner Loop Header: Depth=1
	buffer_load_dword v137, v135, s[0:3], 0 offen
	buffer_load_dword v138, v135, s[0:3], 0 offen offset:4
	ds_read_b64 v[139:140], v134
	v_add_u32_e32 v136, 1, v136
	v_cmp_lt_u32_e32 vcc, 20, v136
	v_add_u32_e32 v134, 8, v134
	s_or_b64 s[10:11], vcc, s[10:11]
	v_add_u32_e32 v135, 8, v135
	s_waitcnt vmcnt(0) lgkmcnt(0)
	v_fma_f64 v[129:130], v[137:138], v[139:140], v[129:130]
	s_andn2_b64 exec, exec, s[10:11]
	s_cbranch_execnz .LBB63_835
; %bb.836:
	s_or_b64 exec, exec, s[10:11]
.LBB63_837:
	s_or_b64 exec, exec, s[8:9]
	v_mov_b32_e32 v134, 0
	ds_read_b64 v[134:135], v134 offset:176
	s_waitcnt lgkmcnt(0)
	v_mul_f64 v[129:130], v[129:130], v[134:135]
	buffer_store_dword v130, off, s[0:3], 0 offset:180
	buffer_store_dword v129, off, s[0:3], 0 offset:176
.LBB63_838:
	s_or_b64 exec, exec, s[6:7]
	buffer_load_dword v129, off, s[0:3], 0 offset:184
	buffer_load_dword v130, off, s[0:3], 0 offset:188
	v_cmp_gt_u32_e32 vcc, 23, v0
	s_waitcnt vmcnt(0)
	ds_write_b64 v132, v[129:130]
	s_waitcnt lgkmcnt(0)
	; wave barrier
	s_and_saveexec_b64 s[6:7], vcc
	s_cbranch_execz .LBB63_848
; %bb.839:
	s_and_b64 vcc, exec, s[4:5]
	s_cbranch_vccnz .LBB63_841
; %bb.840:
	buffer_load_dword v129, v133, s[0:3], 0 offen
	buffer_load_dword v130, v133, s[0:3], 0 offen offset:4
	ds_read_b64 v[134:135], v132
	s_waitcnt vmcnt(0) lgkmcnt(0)
	v_mul_f64 v[129:130], v[129:130], v[134:135]
	s_cbranch_execz .LBB63_842
	s_branch .LBB63_843
.LBB63_841:
                                        ; implicit-def: $vgpr129_vgpr130
.LBB63_842:
	ds_read_b64 v[129:130], v132
.LBB63_843:
	v_cmp_ne_u32_e32 vcc, 22, v0
	s_and_saveexec_b64 s[8:9], vcc
	s_cbranch_execz .LBB63_847
; %bb.844:
	s_mov_b32 s10, 0
	v_add_u32_e32 v134, 0x208, v131
	v_add3_u32 v135, v131, s10, 8
	s_mov_b64 s[10:11], 0
	v_mov_b32_e32 v136, v0
.LBB63_845:                             ; =>This Inner Loop Header: Depth=1
	buffer_load_dword v137, v135, s[0:3], 0 offen
	buffer_load_dword v138, v135, s[0:3], 0 offen offset:4
	ds_read_b64 v[139:140], v134
	v_add_u32_e32 v136, 1, v136
	v_cmp_lt_u32_e32 vcc, 21, v136
	v_add_u32_e32 v134, 8, v134
	s_or_b64 s[10:11], vcc, s[10:11]
	v_add_u32_e32 v135, 8, v135
	s_waitcnt vmcnt(0) lgkmcnt(0)
	v_fma_f64 v[129:130], v[137:138], v[139:140], v[129:130]
	s_andn2_b64 exec, exec, s[10:11]
	s_cbranch_execnz .LBB63_845
; %bb.846:
	s_or_b64 exec, exec, s[10:11]
.LBB63_847:
	s_or_b64 exec, exec, s[8:9]
	v_mov_b32_e32 v134, 0
	ds_read_b64 v[134:135], v134 offset:184
	s_waitcnt lgkmcnt(0)
	v_mul_f64 v[129:130], v[129:130], v[134:135]
	buffer_store_dword v130, off, s[0:3], 0 offset:188
	buffer_store_dword v129, off, s[0:3], 0 offset:184
.LBB63_848:
	s_or_b64 exec, exec, s[6:7]
	buffer_load_dword v129, off, s[0:3], 0 offset:192
	buffer_load_dword v130, off, s[0:3], 0 offset:196
	v_cmp_gt_u32_e32 vcc, 24, v0
	s_waitcnt vmcnt(0)
	ds_write_b64 v132, v[129:130]
	s_waitcnt lgkmcnt(0)
	; wave barrier
	s_and_saveexec_b64 s[6:7], vcc
	s_cbranch_execz .LBB63_858
; %bb.849:
	s_and_b64 vcc, exec, s[4:5]
	s_cbranch_vccnz .LBB63_851
; %bb.850:
	buffer_load_dword v129, v133, s[0:3], 0 offen
	buffer_load_dword v130, v133, s[0:3], 0 offen offset:4
	ds_read_b64 v[134:135], v132
	s_waitcnt vmcnt(0) lgkmcnt(0)
	v_mul_f64 v[129:130], v[129:130], v[134:135]
	s_cbranch_execz .LBB63_852
	s_branch .LBB63_853
.LBB63_851:
                                        ; implicit-def: $vgpr129_vgpr130
.LBB63_852:
	ds_read_b64 v[129:130], v132
.LBB63_853:
	v_cmp_ne_u32_e32 vcc, 23, v0
	s_and_saveexec_b64 s[8:9], vcc
	s_cbranch_execz .LBB63_857
; %bb.854:
	s_mov_b32 s10, 0
	v_add_u32_e32 v134, 0x208, v131
	v_add3_u32 v135, v131, s10, 8
	s_mov_b64 s[10:11], 0
	v_mov_b32_e32 v136, v0
.LBB63_855:                             ; =>This Inner Loop Header: Depth=1
	buffer_load_dword v137, v135, s[0:3], 0 offen
	buffer_load_dword v138, v135, s[0:3], 0 offen offset:4
	ds_read_b64 v[139:140], v134
	v_add_u32_e32 v136, 1, v136
	v_cmp_lt_u32_e32 vcc, 22, v136
	v_add_u32_e32 v134, 8, v134
	s_or_b64 s[10:11], vcc, s[10:11]
	v_add_u32_e32 v135, 8, v135
	s_waitcnt vmcnt(0) lgkmcnt(0)
	v_fma_f64 v[129:130], v[137:138], v[139:140], v[129:130]
	s_andn2_b64 exec, exec, s[10:11]
	s_cbranch_execnz .LBB63_855
; %bb.856:
	s_or_b64 exec, exec, s[10:11]
.LBB63_857:
	s_or_b64 exec, exec, s[8:9]
	v_mov_b32_e32 v134, 0
	ds_read_b64 v[134:135], v134 offset:192
	s_waitcnt lgkmcnt(0)
	v_mul_f64 v[129:130], v[129:130], v[134:135]
	buffer_store_dword v130, off, s[0:3], 0 offset:196
	buffer_store_dword v129, off, s[0:3], 0 offset:192
.LBB63_858:
	s_or_b64 exec, exec, s[6:7]
	buffer_load_dword v129, off, s[0:3], 0 offset:200
	buffer_load_dword v130, off, s[0:3], 0 offset:204
	v_cmp_gt_u32_e32 vcc, 25, v0
	s_waitcnt vmcnt(0)
	ds_write_b64 v132, v[129:130]
	s_waitcnt lgkmcnt(0)
	; wave barrier
	s_and_saveexec_b64 s[6:7], vcc
	s_cbranch_execz .LBB63_868
; %bb.859:
	s_and_b64 vcc, exec, s[4:5]
	s_cbranch_vccnz .LBB63_861
; %bb.860:
	buffer_load_dword v129, v133, s[0:3], 0 offen
	buffer_load_dword v130, v133, s[0:3], 0 offen offset:4
	ds_read_b64 v[134:135], v132
	s_waitcnt vmcnt(0) lgkmcnt(0)
	v_mul_f64 v[129:130], v[129:130], v[134:135]
	s_cbranch_execz .LBB63_862
	s_branch .LBB63_863
.LBB63_861:
                                        ; implicit-def: $vgpr129_vgpr130
.LBB63_862:
	ds_read_b64 v[129:130], v132
.LBB63_863:
	v_cmp_ne_u32_e32 vcc, 24, v0
	s_and_saveexec_b64 s[8:9], vcc
	s_cbranch_execz .LBB63_867
; %bb.864:
	s_mov_b32 s10, 0
	v_add_u32_e32 v134, 0x208, v131
	v_add3_u32 v135, v131, s10, 8
	s_mov_b64 s[10:11], 0
	v_mov_b32_e32 v136, v0
.LBB63_865:                             ; =>This Inner Loop Header: Depth=1
	buffer_load_dword v137, v135, s[0:3], 0 offen
	buffer_load_dword v138, v135, s[0:3], 0 offen offset:4
	ds_read_b64 v[139:140], v134
	v_add_u32_e32 v136, 1, v136
	v_cmp_lt_u32_e32 vcc, 23, v136
	v_add_u32_e32 v134, 8, v134
	s_or_b64 s[10:11], vcc, s[10:11]
	v_add_u32_e32 v135, 8, v135
	s_waitcnt vmcnt(0) lgkmcnt(0)
	v_fma_f64 v[129:130], v[137:138], v[139:140], v[129:130]
	s_andn2_b64 exec, exec, s[10:11]
	s_cbranch_execnz .LBB63_865
; %bb.866:
	s_or_b64 exec, exec, s[10:11]
.LBB63_867:
	s_or_b64 exec, exec, s[8:9]
	v_mov_b32_e32 v134, 0
	ds_read_b64 v[134:135], v134 offset:200
	s_waitcnt lgkmcnt(0)
	v_mul_f64 v[129:130], v[129:130], v[134:135]
	buffer_store_dword v130, off, s[0:3], 0 offset:204
	buffer_store_dword v129, off, s[0:3], 0 offset:200
.LBB63_868:
	s_or_b64 exec, exec, s[6:7]
	buffer_load_dword v129, off, s[0:3], 0 offset:208
	buffer_load_dword v130, off, s[0:3], 0 offset:212
	v_cmp_gt_u32_e32 vcc, 26, v0
	s_waitcnt vmcnt(0)
	ds_write_b64 v132, v[129:130]
	s_waitcnt lgkmcnt(0)
	; wave barrier
	s_and_saveexec_b64 s[6:7], vcc
	s_cbranch_execz .LBB63_878
; %bb.869:
	s_and_b64 vcc, exec, s[4:5]
	s_cbranch_vccnz .LBB63_871
; %bb.870:
	buffer_load_dword v129, v133, s[0:3], 0 offen
	buffer_load_dword v130, v133, s[0:3], 0 offen offset:4
	ds_read_b64 v[134:135], v132
	s_waitcnt vmcnt(0) lgkmcnt(0)
	v_mul_f64 v[129:130], v[129:130], v[134:135]
	s_cbranch_execz .LBB63_872
	s_branch .LBB63_873
.LBB63_871:
                                        ; implicit-def: $vgpr129_vgpr130
.LBB63_872:
	ds_read_b64 v[129:130], v132
.LBB63_873:
	v_cmp_ne_u32_e32 vcc, 25, v0
	s_and_saveexec_b64 s[8:9], vcc
	s_cbranch_execz .LBB63_877
; %bb.874:
	s_mov_b32 s10, 0
	v_add_u32_e32 v134, 0x208, v131
	v_add3_u32 v135, v131, s10, 8
	s_mov_b64 s[10:11], 0
	v_mov_b32_e32 v136, v0
.LBB63_875:                             ; =>This Inner Loop Header: Depth=1
	buffer_load_dword v137, v135, s[0:3], 0 offen
	buffer_load_dword v138, v135, s[0:3], 0 offen offset:4
	ds_read_b64 v[139:140], v134
	v_add_u32_e32 v136, 1, v136
	v_cmp_lt_u32_e32 vcc, 24, v136
	v_add_u32_e32 v134, 8, v134
	s_or_b64 s[10:11], vcc, s[10:11]
	v_add_u32_e32 v135, 8, v135
	s_waitcnt vmcnt(0) lgkmcnt(0)
	v_fma_f64 v[129:130], v[137:138], v[139:140], v[129:130]
	s_andn2_b64 exec, exec, s[10:11]
	s_cbranch_execnz .LBB63_875
; %bb.876:
	s_or_b64 exec, exec, s[10:11]
.LBB63_877:
	s_or_b64 exec, exec, s[8:9]
	v_mov_b32_e32 v134, 0
	ds_read_b64 v[134:135], v134 offset:208
	s_waitcnt lgkmcnt(0)
	v_mul_f64 v[129:130], v[129:130], v[134:135]
	buffer_store_dword v130, off, s[0:3], 0 offset:212
	buffer_store_dword v129, off, s[0:3], 0 offset:208
.LBB63_878:
	s_or_b64 exec, exec, s[6:7]
	buffer_load_dword v129, off, s[0:3], 0 offset:216
	buffer_load_dword v130, off, s[0:3], 0 offset:220
	v_cmp_gt_u32_e32 vcc, 27, v0
	s_waitcnt vmcnt(0)
	ds_write_b64 v132, v[129:130]
	s_waitcnt lgkmcnt(0)
	; wave barrier
	s_and_saveexec_b64 s[6:7], vcc
	s_cbranch_execz .LBB63_888
; %bb.879:
	s_and_b64 vcc, exec, s[4:5]
	s_cbranch_vccnz .LBB63_881
; %bb.880:
	buffer_load_dword v129, v133, s[0:3], 0 offen
	buffer_load_dword v130, v133, s[0:3], 0 offen offset:4
	ds_read_b64 v[134:135], v132
	s_waitcnt vmcnt(0) lgkmcnt(0)
	v_mul_f64 v[129:130], v[129:130], v[134:135]
	s_cbranch_execz .LBB63_882
	s_branch .LBB63_883
.LBB63_881:
                                        ; implicit-def: $vgpr129_vgpr130
.LBB63_882:
	ds_read_b64 v[129:130], v132
.LBB63_883:
	v_cmp_ne_u32_e32 vcc, 26, v0
	s_and_saveexec_b64 s[8:9], vcc
	s_cbranch_execz .LBB63_887
; %bb.884:
	s_mov_b32 s10, 0
	v_add_u32_e32 v134, 0x208, v131
	v_add3_u32 v135, v131, s10, 8
	s_mov_b64 s[10:11], 0
	v_mov_b32_e32 v136, v0
.LBB63_885:                             ; =>This Inner Loop Header: Depth=1
	buffer_load_dword v137, v135, s[0:3], 0 offen
	buffer_load_dword v138, v135, s[0:3], 0 offen offset:4
	ds_read_b64 v[139:140], v134
	v_add_u32_e32 v136, 1, v136
	v_cmp_lt_u32_e32 vcc, 25, v136
	v_add_u32_e32 v134, 8, v134
	s_or_b64 s[10:11], vcc, s[10:11]
	v_add_u32_e32 v135, 8, v135
	s_waitcnt vmcnt(0) lgkmcnt(0)
	v_fma_f64 v[129:130], v[137:138], v[139:140], v[129:130]
	s_andn2_b64 exec, exec, s[10:11]
	s_cbranch_execnz .LBB63_885
; %bb.886:
	s_or_b64 exec, exec, s[10:11]
.LBB63_887:
	s_or_b64 exec, exec, s[8:9]
	v_mov_b32_e32 v134, 0
	ds_read_b64 v[134:135], v134 offset:216
	s_waitcnt lgkmcnt(0)
	v_mul_f64 v[129:130], v[129:130], v[134:135]
	buffer_store_dword v130, off, s[0:3], 0 offset:220
	buffer_store_dword v129, off, s[0:3], 0 offset:216
.LBB63_888:
	s_or_b64 exec, exec, s[6:7]
	buffer_load_dword v129, off, s[0:3], 0 offset:224
	buffer_load_dword v130, off, s[0:3], 0 offset:228
	v_cmp_gt_u32_e32 vcc, 28, v0
	s_waitcnt vmcnt(0)
	ds_write_b64 v132, v[129:130]
	s_waitcnt lgkmcnt(0)
	; wave barrier
	s_and_saveexec_b64 s[6:7], vcc
	s_cbranch_execz .LBB63_898
; %bb.889:
	s_and_b64 vcc, exec, s[4:5]
	s_cbranch_vccnz .LBB63_891
; %bb.890:
	buffer_load_dword v129, v133, s[0:3], 0 offen
	buffer_load_dword v130, v133, s[0:3], 0 offen offset:4
	ds_read_b64 v[134:135], v132
	s_waitcnt vmcnt(0) lgkmcnt(0)
	v_mul_f64 v[129:130], v[129:130], v[134:135]
	s_cbranch_execz .LBB63_892
	s_branch .LBB63_893
.LBB63_891:
                                        ; implicit-def: $vgpr129_vgpr130
.LBB63_892:
	ds_read_b64 v[129:130], v132
.LBB63_893:
	v_cmp_ne_u32_e32 vcc, 27, v0
	s_and_saveexec_b64 s[8:9], vcc
	s_cbranch_execz .LBB63_897
; %bb.894:
	s_mov_b32 s10, 0
	v_add_u32_e32 v134, 0x208, v131
	v_add3_u32 v135, v131, s10, 8
	s_mov_b64 s[10:11], 0
	v_mov_b32_e32 v136, v0
.LBB63_895:                             ; =>This Inner Loop Header: Depth=1
	buffer_load_dword v137, v135, s[0:3], 0 offen
	buffer_load_dword v138, v135, s[0:3], 0 offen offset:4
	ds_read_b64 v[139:140], v134
	v_add_u32_e32 v136, 1, v136
	v_cmp_lt_u32_e32 vcc, 26, v136
	v_add_u32_e32 v134, 8, v134
	s_or_b64 s[10:11], vcc, s[10:11]
	v_add_u32_e32 v135, 8, v135
	s_waitcnt vmcnt(0) lgkmcnt(0)
	v_fma_f64 v[129:130], v[137:138], v[139:140], v[129:130]
	s_andn2_b64 exec, exec, s[10:11]
	s_cbranch_execnz .LBB63_895
; %bb.896:
	s_or_b64 exec, exec, s[10:11]
.LBB63_897:
	s_or_b64 exec, exec, s[8:9]
	v_mov_b32_e32 v134, 0
	ds_read_b64 v[134:135], v134 offset:224
	s_waitcnt lgkmcnt(0)
	v_mul_f64 v[129:130], v[129:130], v[134:135]
	buffer_store_dword v130, off, s[0:3], 0 offset:228
	buffer_store_dword v129, off, s[0:3], 0 offset:224
.LBB63_898:
	s_or_b64 exec, exec, s[6:7]
	buffer_load_dword v129, off, s[0:3], 0 offset:232
	buffer_load_dword v130, off, s[0:3], 0 offset:236
	v_cmp_gt_u32_e32 vcc, 29, v0
	s_waitcnt vmcnt(0)
	ds_write_b64 v132, v[129:130]
	s_waitcnt lgkmcnt(0)
	; wave barrier
	s_and_saveexec_b64 s[6:7], vcc
	s_cbranch_execz .LBB63_908
; %bb.899:
	s_and_b64 vcc, exec, s[4:5]
	s_cbranch_vccnz .LBB63_901
; %bb.900:
	buffer_load_dword v129, v133, s[0:3], 0 offen
	buffer_load_dword v130, v133, s[0:3], 0 offen offset:4
	ds_read_b64 v[134:135], v132
	s_waitcnt vmcnt(0) lgkmcnt(0)
	v_mul_f64 v[129:130], v[129:130], v[134:135]
	s_cbranch_execz .LBB63_902
	s_branch .LBB63_903
.LBB63_901:
                                        ; implicit-def: $vgpr129_vgpr130
.LBB63_902:
	ds_read_b64 v[129:130], v132
.LBB63_903:
	v_cmp_ne_u32_e32 vcc, 28, v0
	s_and_saveexec_b64 s[8:9], vcc
	s_cbranch_execz .LBB63_907
; %bb.904:
	s_mov_b32 s10, 0
	v_add_u32_e32 v134, 0x208, v131
	v_add3_u32 v135, v131, s10, 8
	s_mov_b64 s[10:11], 0
	v_mov_b32_e32 v136, v0
.LBB63_905:                             ; =>This Inner Loop Header: Depth=1
	buffer_load_dword v137, v135, s[0:3], 0 offen
	buffer_load_dword v138, v135, s[0:3], 0 offen offset:4
	ds_read_b64 v[139:140], v134
	v_add_u32_e32 v136, 1, v136
	v_cmp_lt_u32_e32 vcc, 27, v136
	v_add_u32_e32 v134, 8, v134
	s_or_b64 s[10:11], vcc, s[10:11]
	v_add_u32_e32 v135, 8, v135
	s_waitcnt vmcnt(0) lgkmcnt(0)
	v_fma_f64 v[129:130], v[137:138], v[139:140], v[129:130]
	s_andn2_b64 exec, exec, s[10:11]
	s_cbranch_execnz .LBB63_905
; %bb.906:
	s_or_b64 exec, exec, s[10:11]
.LBB63_907:
	s_or_b64 exec, exec, s[8:9]
	v_mov_b32_e32 v134, 0
	ds_read_b64 v[134:135], v134 offset:232
	s_waitcnt lgkmcnt(0)
	v_mul_f64 v[129:130], v[129:130], v[134:135]
	buffer_store_dword v130, off, s[0:3], 0 offset:236
	buffer_store_dword v129, off, s[0:3], 0 offset:232
.LBB63_908:
	s_or_b64 exec, exec, s[6:7]
	buffer_load_dword v129, off, s[0:3], 0 offset:240
	buffer_load_dword v130, off, s[0:3], 0 offset:244
	v_cmp_gt_u32_e32 vcc, 30, v0
	s_waitcnt vmcnt(0)
	ds_write_b64 v132, v[129:130]
	s_waitcnt lgkmcnt(0)
	; wave barrier
	s_and_saveexec_b64 s[6:7], vcc
	s_cbranch_execz .LBB63_918
; %bb.909:
	s_and_b64 vcc, exec, s[4:5]
	s_cbranch_vccnz .LBB63_911
; %bb.910:
	buffer_load_dword v129, v133, s[0:3], 0 offen
	buffer_load_dword v130, v133, s[0:3], 0 offen offset:4
	ds_read_b64 v[134:135], v132
	s_waitcnt vmcnt(0) lgkmcnt(0)
	v_mul_f64 v[129:130], v[129:130], v[134:135]
	s_cbranch_execz .LBB63_912
	s_branch .LBB63_913
.LBB63_911:
                                        ; implicit-def: $vgpr129_vgpr130
.LBB63_912:
	ds_read_b64 v[129:130], v132
.LBB63_913:
	v_cmp_ne_u32_e32 vcc, 29, v0
	s_and_saveexec_b64 s[8:9], vcc
	s_cbranch_execz .LBB63_917
; %bb.914:
	s_mov_b32 s10, 0
	v_add_u32_e32 v134, 0x208, v131
	v_add3_u32 v135, v131, s10, 8
	s_mov_b64 s[10:11], 0
	v_mov_b32_e32 v136, v0
.LBB63_915:                             ; =>This Inner Loop Header: Depth=1
	buffer_load_dword v137, v135, s[0:3], 0 offen
	buffer_load_dword v138, v135, s[0:3], 0 offen offset:4
	ds_read_b64 v[139:140], v134
	v_add_u32_e32 v136, 1, v136
	v_cmp_lt_u32_e32 vcc, 28, v136
	v_add_u32_e32 v134, 8, v134
	s_or_b64 s[10:11], vcc, s[10:11]
	v_add_u32_e32 v135, 8, v135
	s_waitcnt vmcnt(0) lgkmcnt(0)
	v_fma_f64 v[129:130], v[137:138], v[139:140], v[129:130]
	s_andn2_b64 exec, exec, s[10:11]
	s_cbranch_execnz .LBB63_915
; %bb.916:
	s_or_b64 exec, exec, s[10:11]
.LBB63_917:
	s_or_b64 exec, exec, s[8:9]
	v_mov_b32_e32 v134, 0
	ds_read_b64 v[134:135], v134 offset:240
	s_waitcnt lgkmcnt(0)
	v_mul_f64 v[129:130], v[129:130], v[134:135]
	buffer_store_dword v130, off, s[0:3], 0 offset:244
	buffer_store_dword v129, off, s[0:3], 0 offset:240
.LBB63_918:
	s_or_b64 exec, exec, s[6:7]
	buffer_load_dword v129, off, s[0:3], 0 offset:248
	buffer_load_dword v130, off, s[0:3], 0 offset:252
	v_cmp_gt_u32_e32 vcc, 31, v0
	s_waitcnt vmcnt(0)
	ds_write_b64 v132, v[129:130]
	s_waitcnt lgkmcnt(0)
	; wave barrier
	s_and_saveexec_b64 s[6:7], vcc
	s_cbranch_execz .LBB63_928
; %bb.919:
	s_and_b64 vcc, exec, s[4:5]
	s_cbranch_vccnz .LBB63_921
; %bb.920:
	buffer_load_dword v129, v133, s[0:3], 0 offen
	buffer_load_dword v130, v133, s[0:3], 0 offen offset:4
	ds_read_b64 v[134:135], v132
	s_waitcnt vmcnt(0) lgkmcnt(0)
	v_mul_f64 v[129:130], v[129:130], v[134:135]
	s_cbranch_execz .LBB63_922
	s_branch .LBB63_923
.LBB63_921:
                                        ; implicit-def: $vgpr129_vgpr130
.LBB63_922:
	ds_read_b64 v[129:130], v132
.LBB63_923:
	v_cmp_ne_u32_e32 vcc, 30, v0
	s_and_saveexec_b64 s[8:9], vcc
	s_cbranch_execz .LBB63_927
; %bb.924:
	s_mov_b32 s10, 0
	v_add_u32_e32 v134, 0x208, v131
	v_add3_u32 v135, v131, s10, 8
	s_mov_b64 s[10:11], 0
	v_mov_b32_e32 v136, v0
.LBB63_925:                             ; =>This Inner Loop Header: Depth=1
	buffer_load_dword v137, v135, s[0:3], 0 offen
	buffer_load_dword v138, v135, s[0:3], 0 offen offset:4
	ds_read_b64 v[139:140], v134
	v_add_u32_e32 v136, 1, v136
	v_cmp_lt_u32_e32 vcc, 29, v136
	v_add_u32_e32 v134, 8, v134
	s_or_b64 s[10:11], vcc, s[10:11]
	v_add_u32_e32 v135, 8, v135
	s_waitcnt vmcnt(0) lgkmcnt(0)
	v_fma_f64 v[129:130], v[137:138], v[139:140], v[129:130]
	s_andn2_b64 exec, exec, s[10:11]
	s_cbranch_execnz .LBB63_925
; %bb.926:
	s_or_b64 exec, exec, s[10:11]
.LBB63_927:
	s_or_b64 exec, exec, s[8:9]
	v_mov_b32_e32 v134, 0
	ds_read_b64 v[134:135], v134 offset:248
	s_waitcnt lgkmcnt(0)
	v_mul_f64 v[129:130], v[129:130], v[134:135]
	buffer_store_dword v130, off, s[0:3], 0 offset:252
	buffer_store_dword v129, off, s[0:3], 0 offset:248
.LBB63_928:
	s_or_b64 exec, exec, s[6:7]
	buffer_load_dword v129, off, s[0:3], 0 offset:256
	buffer_load_dword v130, off, s[0:3], 0 offset:260
	v_cmp_gt_u32_e32 vcc, 32, v0
	s_waitcnt vmcnt(0)
	ds_write_b64 v132, v[129:130]
	s_waitcnt lgkmcnt(0)
	; wave barrier
	s_and_saveexec_b64 s[6:7], vcc
	s_cbranch_execz .LBB63_938
; %bb.929:
	s_and_b64 vcc, exec, s[4:5]
	s_cbranch_vccnz .LBB63_931
; %bb.930:
	buffer_load_dword v129, v133, s[0:3], 0 offen
	buffer_load_dword v130, v133, s[0:3], 0 offen offset:4
	ds_read_b64 v[134:135], v132
	s_waitcnt vmcnt(0) lgkmcnt(0)
	v_mul_f64 v[129:130], v[129:130], v[134:135]
	s_cbranch_execz .LBB63_932
	s_branch .LBB63_933
.LBB63_931:
                                        ; implicit-def: $vgpr129_vgpr130
.LBB63_932:
	ds_read_b64 v[129:130], v132
.LBB63_933:
	v_cmp_ne_u32_e32 vcc, 31, v0
	s_and_saveexec_b64 s[8:9], vcc
	s_cbranch_execz .LBB63_937
; %bb.934:
	s_mov_b32 s10, 0
	v_add_u32_e32 v134, 0x208, v131
	v_add3_u32 v135, v131, s10, 8
	s_mov_b64 s[10:11], 0
	v_mov_b32_e32 v136, v0
.LBB63_935:                             ; =>This Inner Loop Header: Depth=1
	buffer_load_dword v137, v135, s[0:3], 0 offen
	buffer_load_dword v138, v135, s[0:3], 0 offen offset:4
	ds_read_b64 v[139:140], v134
	v_add_u32_e32 v136, 1, v136
	v_cmp_lt_u32_e32 vcc, 30, v136
	v_add_u32_e32 v134, 8, v134
	s_or_b64 s[10:11], vcc, s[10:11]
	v_add_u32_e32 v135, 8, v135
	s_waitcnt vmcnt(0) lgkmcnt(0)
	v_fma_f64 v[129:130], v[137:138], v[139:140], v[129:130]
	s_andn2_b64 exec, exec, s[10:11]
	s_cbranch_execnz .LBB63_935
; %bb.936:
	s_or_b64 exec, exec, s[10:11]
.LBB63_937:
	s_or_b64 exec, exec, s[8:9]
	v_mov_b32_e32 v134, 0
	ds_read_b64 v[134:135], v134 offset:256
	s_waitcnt lgkmcnt(0)
	v_mul_f64 v[129:130], v[129:130], v[134:135]
	buffer_store_dword v130, off, s[0:3], 0 offset:260
	buffer_store_dword v129, off, s[0:3], 0 offset:256
.LBB63_938:
	s_or_b64 exec, exec, s[6:7]
	buffer_load_dword v129, off, s[0:3], 0 offset:264
	buffer_load_dword v130, off, s[0:3], 0 offset:268
	v_cmp_gt_u32_e32 vcc, 33, v0
	s_waitcnt vmcnt(0)
	ds_write_b64 v132, v[129:130]
	s_waitcnt lgkmcnt(0)
	; wave barrier
	s_and_saveexec_b64 s[6:7], vcc
	s_cbranch_execz .LBB63_948
; %bb.939:
	s_and_b64 vcc, exec, s[4:5]
	s_cbranch_vccnz .LBB63_941
; %bb.940:
	buffer_load_dword v129, v133, s[0:3], 0 offen
	buffer_load_dword v130, v133, s[0:3], 0 offen offset:4
	ds_read_b64 v[134:135], v132
	s_waitcnt vmcnt(0) lgkmcnt(0)
	v_mul_f64 v[129:130], v[129:130], v[134:135]
	s_cbranch_execz .LBB63_942
	s_branch .LBB63_943
.LBB63_941:
                                        ; implicit-def: $vgpr129_vgpr130
.LBB63_942:
	ds_read_b64 v[129:130], v132
.LBB63_943:
	v_cmp_ne_u32_e32 vcc, 32, v0
	s_and_saveexec_b64 s[8:9], vcc
	s_cbranch_execz .LBB63_947
; %bb.944:
	s_mov_b32 s10, 0
	v_add_u32_e32 v134, 0x208, v131
	v_add3_u32 v135, v131, s10, 8
	s_mov_b64 s[10:11], 0
	v_mov_b32_e32 v136, v0
.LBB63_945:                             ; =>This Inner Loop Header: Depth=1
	buffer_load_dword v137, v135, s[0:3], 0 offen
	buffer_load_dword v138, v135, s[0:3], 0 offen offset:4
	ds_read_b64 v[139:140], v134
	v_add_u32_e32 v136, 1, v136
	v_cmp_lt_u32_e32 vcc, 31, v136
	v_add_u32_e32 v134, 8, v134
	s_or_b64 s[10:11], vcc, s[10:11]
	v_add_u32_e32 v135, 8, v135
	s_waitcnt vmcnt(0) lgkmcnt(0)
	v_fma_f64 v[129:130], v[137:138], v[139:140], v[129:130]
	s_andn2_b64 exec, exec, s[10:11]
	s_cbranch_execnz .LBB63_945
; %bb.946:
	s_or_b64 exec, exec, s[10:11]
.LBB63_947:
	s_or_b64 exec, exec, s[8:9]
	v_mov_b32_e32 v134, 0
	ds_read_b64 v[134:135], v134 offset:264
	s_waitcnt lgkmcnt(0)
	v_mul_f64 v[129:130], v[129:130], v[134:135]
	buffer_store_dword v130, off, s[0:3], 0 offset:268
	buffer_store_dword v129, off, s[0:3], 0 offset:264
.LBB63_948:
	s_or_b64 exec, exec, s[6:7]
	buffer_load_dword v129, off, s[0:3], 0 offset:272
	buffer_load_dword v130, off, s[0:3], 0 offset:276
	v_cmp_gt_u32_e32 vcc, 34, v0
	s_waitcnt vmcnt(0)
	ds_write_b64 v132, v[129:130]
	s_waitcnt lgkmcnt(0)
	; wave barrier
	s_and_saveexec_b64 s[6:7], vcc
	s_cbranch_execz .LBB63_958
; %bb.949:
	s_and_b64 vcc, exec, s[4:5]
	s_cbranch_vccnz .LBB63_951
; %bb.950:
	buffer_load_dword v129, v133, s[0:3], 0 offen
	buffer_load_dword v130, v133, s[0:3], 0 offen offset:4
	ds_read_b64 v[134:135], v132
	s_waitcnt vmcnt(0) lgkmcnt(0)
	v_mul_f64 v[129:130], v[129:130], v[134:135]
	s_cbranch_execz .LBB63_952
	s_branch .LBB63_953
.LBB63_951:
                                        ; implicit-def: $vgpr129_vgpr130
.LBB63_952:
	ds_read_b64 v[129:130], v132
.LBB63_953:
	v_cmp_ne_u32_e32 vcc, 33, v0
	s_and_saveexec_b64 s[8:9], vcc
	s_cbranch_execz .LBB63_957
; %bb.954:
	s_mov_b32 s10, 0
	v_add_u32_e32 v134, 0x208, v131
	v_add3_u32 v135, v131, s10, 8
	s_mov_b64 s[10:11], 0
	v_mov_b32_e32 v136, v0
.LBB63_955:                             ; =>This Inner Loop Header: Depth=1
	buffer_load_dword v137, v135, s[0:3], 0 offen
	buffer_load_dword v138, v135, s[0:3], 0 offen offset:4
	ds_read_b64 v[139:140], v134
	v_add_u32_e32 v136, 1, v136
	v_cmp_lt_u32_e32 vcc, 32, v136
	v_add_u32_e32 v134, 8, v134
	s_or_b64 s[10:11], vcc, s[10:11]
	v_add_u32_e32 v135, 8, v135
	s_waitcnt vmcnt(0) lgkmcnt(0)
	v_fma_f64 v[129:130], v[137:138], v[139:140], v[129:130]
	s_andn2_b64 exec, exec, s[10:11]
	s_cbranch_execnz .LBB63_955
; %bb.956:
	s_or_b64 exec, exec, s[10:11]
.LBB63_957:
	s_or_b64 exec, exec, s[8:9]
	v_mov_b32_e32 v134, 0
	ds_read_b64 v[134:135], v134 offset:272
	s_waitcnt lgkmcnt(0)
	v_mul_f64 v[129:130], v[129:130], v[134:135]
	buffer_store_dword v130, off, s[0:3], 0 offset:276
	buffer_store_dword v129, off, s[0:3], 0 offset:272
.LBB63_958:
	s_or_b64 exec, exec, s[6:7]
	buffer_load_dword v129, off, s[0:3], 0 offset:280
	buffer_load_dword v130, off, s[0:3], 0 offset:284
	v_cmp_gt_u32_e32 vcc, 35, v0
	s_waitcnt vmcnt(0)
	ds_write_b64 v132, v[129:130]
	s_waitcnt lgkmcnt(0)
	; wave barrier
	s_and_saveexec_b64 s[6:7], vcc
	s_cbranch_execz .LBB63_968
; %bb.959:
	s_and_b64 vcc, exec, s[4:5]
	s_cbranch_vccnz .LBB63_961
; %bb.960:
	buffer_load_dword v129, v133, s[0:3], 0 offen
	buffer_load_dword v130, v133, s[0:3], 0 offen offset:4
	ds_read_b64 v[134:135], v132
	s_waitcnt vmcnt(0) lgkmcnt(0)
	v_mul_f64 v[129:130], v[129:130], v[134:135]
	s_cbranch_execz .LBB63_962
	s_branch .LBB63_963
.LBB63_961:
                                        ; implicit-def: $vgpr129_vgpr130
.LBB63_962:
	ds_read_b64 v[129:130], v132
.LBB63_963:
	v_cmp_ne_u32_e32 vcc, 34, v0
	s_and_saveexec_b64 s[8:9], vcc
	s_cbranch_execz .LBB63_967
; %bb.964:
	s_mov_b32 s10, 0
	v_add_u32_e32 v134, 0x208, v131
	v_add3_u32 v135, v131, s10, 8
	s_mov_b64 s[10:11], 0
	v_mov_b32_e32 v136, v0
.LBB63_965:                             ; =>This Inner Loop Header: Depth=1
	buffer_load_dword v137, v135, s[0:3], 0 offen
	buffer_load_dword v138, v135, s[0:3], 0 offen offset:4
	ds_read_b64 v[139:140], v134
	v_add_u32_e32 v136, 1, v136
	v_cmp_lt_u32_e32 vcc, 33, v136
	v_add_u32_e32 v134, 8, v134
	s_or_b64 s[10:11], vcc, s[10:11]
	v_add_u32_e32 v135, 8, v135
	s_waitcnt vmcnt(0) lgkmcnt(0)
	v_fma_f64 v[129:130], v[137:138], v[139:140], v[129:130]
	s_andn2_b64 exec, exec, s[10:11]
	s_cbranch_execnz .LBB63_965
; %bb.966:
	s_or_b64 exec, exec, s[10:11]
.LBB63_967:
	s_or_b64 exec, exec, s[8:9]
	v_mov_b32_e32 v134, 0
	ds_read_b64 v[134:135], v134 offset:280
	s_waitcnt lgkmcnt(0)
	v_mul_f64 v[129:130], v[129:130], v[134:135]
	buffer_store_dword v130, off, s[0:3], 0 offset:284
	buffer_store_dword v129, off, s[0:3], 0 offset:280
.LBB63_968:
	s_or_b64 exec, exec, s[6:7]
	buffer_load_dword v129, off, s[0:3], 0 offset:288
	buffer_load_dword v130, off, s[0:3], 0 offset:292
	v_cmp_gt_u32_e32 vcc, 36, v0
	s_waitcnt vmcnt(0)
	ds_write_b64 v132, v[129:130]
	s_waitcnt lgkmcnt(0)
	; wave barrier
	s_and_saveexec_b64 s[6:7], vcc
	s_cbranch_execz .LBB63_978
; %bb.969:
	s_and_b64 vcc, exec, s[4:5]
	s_cbranch_vccnz .LBB63_971
; %bb.970:
	buffer_load_dword v129, v133, s[0:3], 0 offen
	buffer_load_dword v130, v133, s[0:3], 0 offen offset:4
	ds_read_b64 v[134:135], v132
	s_waitcnt vmcnt(0) lgkmcnt(0)
	v_mul_f64 v[129:130], v[129:130], v[134:135]
	s_cbranch_execz .LBB63_972
	s_branch .LBB63_973
.LBB63_971:
                                        ; implicit-def: $vgpr129_vgpr130
.LBB63_972:
	ds_read_b64 v[129:130], v132
.LBB63_973:
	v_cmp_ne_u32_e32 vcc, 35, v0
	s_and_saveexec_b64 s[8:9], vcc
	s_cbranch_execz .LBB63_977
; %bb.974:
	s_mov_b32 s10, 0
	v_add_u32_e32 v134, 0x208, v131
	v_add3_u32 v135, v131, s10, 8
	s_mov_b64 s[10:11], 0
	v_mov_b32_e32 v136, v0
.LBB63_975:                             ; =>This Inner Loop Header: Depth=1
	buffer_load_dword v137, v135, s[0:3], 0 offen
	buffer_load_dword v138, v135, s[0:3], 0 offen offset:4
	ds_read_b64 v[139:140], v134
	v_add_u32_e32 v136, 1, v136
	v_cmp_lt_u32_e32 vcc, 34, v136
	v_add_u32_e32 v134, 8, v134
	s_or_b64 s[10:11], vcc, s[10:11]
	v_add_u32_e32 v135, 8, v135
	s_waitcnt vmcnt(0) lgkmcnt(0)
	v_fma_f64 v[129:130], v[137:138], v[139:140], v[129:130]
	s_andn2_b64 exec, exec, s[10:11]
	s_cbranch_execnz .LBB63_975
; %bb.976:
	s_or_b64 exec, exec, s[10:11]
.LBB63_977:
	s_or_b64 exec, exec, s[8:9]
	v_mov_b32_e32 v134, 0
	ds_read_b64 v[134:135], v134 offset:288
	s_waitcnt lgkmcnt(0)
	v_mul_f64 v[129:130], v[129:130], v[134:135]
	buffer_store_dword v130, off, s[0:3], 0 offset:292
	buffer_store_dword v129, off, s[0:3], 0 offset:288
.LBB63_978:
	s_or_b64 exec, exec, s[6:7]
	buffer_load_dword v129, off, s[0:3], 0 offset:296
	buffer_load_dword v130, off, s[0:3], 0 offset:300
	v_cmp_gt_u32_e32 vcc, 37, v0
	s_waitcnt vmcnt(0)
	ds_write_b64 v132, v[129:130]
	s_waitcnt lgkmcnt(0)
	; wave barrier
	s_and_saveexec_b64 s[6:7], vcc
	s_cbranch_execz .LBB63_988
; %bb.979:
	s_and_b64 vcc, exec, s[4:5]
	s_cbranch_vccnz .LBB63_981
; %bb.980:
	buffer_load_dword v129, v133, s[0:3], 0 offen
	buffer_load_dword v130, v133, s[0:3], 0 offen offset:4
	ds_read_b64 v[134:135], v132
	s_waitcnt vmcnt(0) lgkmcnt(0)
	v_mul_f64 v[129:130], v[129:130], v[134:135]
	s_cbranch_execz .LBB63_982
	s_branch .LBB63_983
.LBB63_981:
                                        ; implicit-def: $vgpr129_vgpr130
.LBB63_982:
	ds_read_b64 v[129:130], v132
.LBB63_983:
	v_cmp_ne_u32_e32 vcc, 36, v0
	s_and_saveexec_b64 s[8:9], vcc
	s_cbranch_execz .LBB63_987
; %bb.984:
	s_mov_b32 s10, 0
	v_add_u32_e32 v134, 0x208, v131
	v_add3_u32 v135, v131, s10, 8
	s_mov_b64 s[10:11], 0
	v_mov_b32_e32 v136, v0
.LBB63_985:                             ; =>This Inner Loop Header: Depth=1
	buffer_load_dword v137, v135, s[0:3], 0 offen
	buffer_load_dword v138, v135, s[0:3], 0 offen offset:4
	ds_read_b64 v[139:140], v134
	v_add_u32_e32 v136, 1, v136
	v_cmp_lt_u32_e32 vcc, 35, v136
	v_add_u32_e32 v134, 8, v134
	s_or_b64 s[10:11], vcc, s[10:11]
	v_add_u32_e32 v135, 8, v135
	s_waitcnt vmcnt(0) lgkmcnt(0)
	v_fma_f64 v[129:130], v[137:138], v[139:140], v[129:130]
	s_andn2_b64 exec, exec, s[10:11]
	s_cbranch_execnz .LBB63_985
; %bb.986:
	s_or_b64 exec, exec, s[10:11]
.LBB63_987:
	s_or_b64 exec, exec, s[8:9]
	v_mov_b32_e32 v134, 0
	ds_read_b64 v[134:135], v134 offset:296
	s_waitcnt lgkmcnt(0)
	v_mul_f64 v[129:130], v[129:130], v[134:135]
	buffer_store_dword v130, off, s[0:3], 0 offset:300
	buffer_store_dword v129, off, s[0:3], 0 offset:296
.LBB63_988:
	s_or_b64 exec, exec, s[6:7]
	buffer_load_dword v129, off, s[0:3], 0 offset:304
	buffer_load_dword v130, off, s[0:3], 0 offset:308
	v_cmp_gt_u32_e32 vcc, 38, v0
	s_waitcnt vmcnt(0)
	ds_write_b64 v132, v[129:130]
	s_waitcnt lgkmcnt(0)
	; wave barrier
	s_and_saveexec_b64 s[6:7], vcc
	s_cbranch_execz .LBB63_998
; %bb.989:
	s_and_b64 vcc, exec, s[4:5]
	s_cbranch_vccnz .LBB63_991
; %bb.990:
	buffer_load_dword v129, v133, s[0:3], 0 offen
	buffer_load_dword v130, v133, s[0:3], 0 offen offset:4
	ds_read_b64 v[134:135], v132
	s_waitcnt vmcnt(0) lgkmcnt(0)
	v_mul_f64 v[129:130], v[129:130], v[134:135]
	s_cbranch_execz .LBB63_992
	s_branch .LBB63_993
.LBB63_991:
                                        ; implicit-def: $vgpr129_vgpr130
.LBB63_992:
	ds_read_b64 v[129:130], v132
.LBB63_993:
	v_cmp_ne_u32_e32 vcc, 37, v0
	s_and_saveexec_b64 s[8:9], vcc
	s_cbranch_execz .LBB63_997
; %bb.994:
	s_mov_b32 s10, 0
	v_add_u32_e32 v134, 0x208, v131
	v_add3_u32 v135, v131, s10, 8
	s_mov_b64 s[10:11], 0
	v_mov_b32_e32 v136, v0
.LBB63_995:                             ; =>This Inner Loop Header: Depth=1
	buffer_load_dword v137, v135, s[0:3], 0 offen
	buffer_load_dword v138, v135, s[0:3], 0 offen offset:4
	ds_read_b64 v[139:140], v134
	v_add_u32_e32 v136, 1, v136
	v_cmp_lt_u32_e32 vcc, 36, v136
	v_add_u32_e32 v134, 8, v134
	s_or_b64 s[10:11], vcc, s[10:11]
	v_add_u32_e32 v135, 8, v135
	s_waitcnt vmcnt(0) lgkmcnt(0)
	v_fma_f64 v[129:130], v[137:138], v[139:140], v[129:130]
	s_andn2_b64 exec, exec, s[10:11]
	s_cbranch_execnz .LBB63_995
; %bb.996:
	s_or_b64 exec, exec, s[10:11]
.LBB63_997:
	s_or_b64 exec, exec, s[8:9]
	v_mov_b32_e32 v134, 0
	ds_read_b64 v[134:135], v134 offset:304
	s_waitcnt lgkmcnt(0)
	v_mul_f64 v[129:130], v[129:130], v[134:135]
	buffer_store_dword v130, off, s[0:3], 0 offset:308
	buffer_store_dword v129, off, s[0:3], 0 offset:304
.LBB63_998:
	s_or_b64 exec, exec, s[6:7]
	buffer_load_dword v129, off, s[0:3], 0 offset:312
	buffer_load_dword v130, off, s[0:3], 0 offset:316
	v_cmp_gt_u32_e32 vcc, 39, v0
	s_waitcnt vmcnt(0)
	ds_write_b64 v132, v[129:130]
	s_waitcnt lgkmcnt(0)
	; wave barrier
	s_and_saveexec_b64 s[6:7], vcc
	s_cbranch_execz .LBB63_1008
; %bb.999:
	s_and_b64 vcc, exec, s[4:5]
	s_cbranch_vccnz .LBB63_1001
; %bb.1000:
	buffer_load_dword v129, v133, s[0:3], 0 offen
	buffer_load_dword v130, v133, s[0:3], 0 offen offset:4
	ds_read_b64 v[134:135], v132
	s_waitcnt vmcnt(0) lgkmcnt(0)
	v_mul_f64 v[129:130], v[129:130], v[134:135]
	s_cbranch_execz .LBB63_1002
	s_branch .LBB63_1003
.LBB63_1001:
                                        ; implicit-def: $vgpr129_vgpr130
.LBB63_1002:
	ds_read_b64 v[129:130], v132
.LBB63_1003:
	v_cmp_ne_u32_e32 vcc, 38, v0
	s_and_saveexec_b64 s[8:9], vcc
	s_cbranch_execz .LBB63_1007
; %bb.1004:
	s_mov_b32 s10, 0
	v_add_u32_e32 v134, 0x208, v131
	v_add3_u32 v135, v131, s10, 8
	s_mov_b64 s[10:11], 0
	v_mov_b32_e32 v136, v0
.LBB63_1005:                            ; =>This Inner Loop Header: Depth=1
	buffer_load_dword v137, v135, s[0:3], 0 offen
	buffer_load_dword v138, v135, s[0:3], 0 offen offset:4
	ds_read_b64 v[139:140], v134
	v_add_u32_e32 v136, 1, v136
	v_cmp_lt_u32_e32 vcc, 37, v136
	v_add_u32_e32 v134, 8, v134
	s_or_b64 s[10:11], vcc, s[10:11]
	v_add_u32_e32 v135, 8, v135
	s_waitcnt vmcnt(0) lgkmcnt(0)
	v_fma_f64 v[129:130], v[137:138], v[139:140], v[129:130]
	s_andn2_b64 exec, exec, s[10:11]
	s_cbranch_execnz .LBB63_1005
; %bb.1006:
	s_or_b64 exec, exec, s[10:11]
.LBB63_1007:
	s_or_b64 exec, exec, s[8:9]
	v_mov_b32_e32 v134, 0
	ds_read_b64 v[134:135], v134 offset:312
	s_waitcnt lgkmcnt(0)
	v_mul_f64 v[129:130], v[129:130], v[134:135]
	buffer_store_dword v130, off, s[0:3], 0 offset:316
	buffer_store_dword v129, off, s[0:3], 0 offset:312
.LBB63_1008:
	s_or_b64 exec, exec, s[6:7]
	buffer_load_dword v129, off, s[0:3], 0 offset:320
	buffer_load_dword v130, off, s[0:3], 0 offset:324
	v_cmp_gt_u32_e32 vcc, 40, v0
	s_waitcnt vmcnt(0)
	ds_write_b64 v132, v[129:130]
	s_waitcnt lgkmcnt(0)
	; wave barrier
	s_and_saveexec_b64 s[6:7], vcc
	s_cbranch_execz .LBB63_1018
; %bb.1009:
	s_and_b64 vcc, exec, s[4:5]
	s_cbranch_vccnz .LBB63_1011
; %bb.1010:
	buffer_load_dword v129, v133, s[0:3], 0 offen
	buffer_load_dword v130, v133, s[0:3], 0 offen offset:4
	ds_read_b64 v[134:135], v132
	s_waitcnt vmcnt(0) lgkmcnt(0)
	v_mul_f64 v[129:130], v[129:130], v[134:135]
	s_cbranch_execz .LBB63_1012
	s_branch .LBB63_1013
.LBB63_1011:
                                        ; implicit-def: $vgpr129_vgpr130
.LBB63_1012:
	ds_read_b64 v[129:130], v132
.LBB63_1013:
	v_cmp_ne_u32_e32 vcc, 39, v0
	s_and_saveexec_b64 s[8:9], vcc
	s_cbranch_execz .LBB63_1017
; %bb.1014:
	s_mov_b32 s10, 0
	v_add_u32_e32 v134, 0x208, v131
	v_add3_u32 v135, v131, s10, 8
	s_mov_b64 s[10:11], 0
	v_mov_b32_e32 v136, v0
.LBB63_1015:                            ; =>This Inner Loop Header: Depth=1
	buffer_load_dword v137, v135, s[0:3], 0 offen
	buffer_load_dword v138, v135, s[0:3], 0 offen offset:4
	ds_read_b64 v[139:140], v134
	v_add_u32_e32 v136, 1, v136
	v_cmp_lt_u32_e32 vcc, 38, v136
	v_add_u32_e32 v134, 8, v134
	s_or_b64 s[10:11], vcc, s[10:11]
	v_add_u32_e32 v135, 8, v135
	s_waitcnt vmcnt(0) lgkmcnt(0)
	v_fma_f64 v[129:130], v[137:138], v[139:140], v[129:130]
	s_andn2_b64 exec, exec, s[10:11]
	s_cbranch_execnz .LBB63_1015
; %bb.1016:
	s_or_b64 exec, exec, s[10:11]
.LBB63_1017:
	s_or_b64 exec, exec, s[8:9]
	v_mov_b32_e32 v134, 0
	ds_read_b64 v[134:135], v134 offset:320
	s_waitcnt lgkmcnt(0)
	v_mul_f64 v[129:130], v[129:130], v[134:135]
	buffer_store_dword v130, off, s[0:3], 0 offset:324
	buffer_store_dword v129, off, s[0:3], 0 offset:320
.LBB63_1018:
	;; [unrolled: 59-line block ×23, first 2 shown]
	s_or_b64 exec, exec, s[6:7]
	buffer_load_dword v129, off, s[0:3], 0 offset:496
	buffer_load_dword v130, off, s[0:3], 0 offset:500
	v_cmp_gt_u32_e64 s[6:7], 62, v0
	s_waitcnt vmcnt(0)
	ds_write_b64 v132, v[129:130]
	s_waitcnt lgkmcnt(0)
	; wave barrier
	s_and_saveexec_b64 s[8:9], s[6:7]
	s_cbranch_execz .LBB63_1238
; %bb.1229:
	s_and_b64 vcc, exec, s[4:5]
	s_cbranch_vccnz .LBB63_1231
; %bb.1230:
	buffer_load_dword v129, v133, s[0:3], 0 offen
	buffer_load_dword v130, v133, s[0:3], 0 offen offset:4
	ds_read_b64 v[134:135], v132
	s_waitcnt vmcnt(0) lgkmcnt(0)
	v_mul_f64 v[129:130], v[129:130], v[134:135]
	s_cbranch_execz .LBB63_1232
	s_branch .LBB63_1233
.LBB63_1231:
                                        ; implicit-def: $vgpr129_vgpr130
.LBB63_1232:
	ds_read_b64 v[129:130], v132
.LBB63_1233:
	v_cmp_ne_u32_e32 vcc, 61, v0
	s_and_saveexec_b64 s[10:11], vcc
	s_cbranch_execz .LBB63_1237
; %bb.1234:
	s_mov_b32 s12, 0
	v_add_u32_e32 v134, 0x208, v131
	v_add3_u32 v135, v131, s12, 8
	s_mov_b64 s[12:13], 0
	v_mov_b32_e32 v136, v0
.LBB63_1235:                            ; =>This Inner Loop Header: Depth=1
	buffer_load_dword v137, v135, s[0:3], 0 offen
	buffer_load_dword v138, v135, s[0:3], 0 offen offset:4
	ds_read_b64 v[139:140], v134
	v_add_u32_e32 v136, 1, v136
	v_cmp_lt_u32_e32 vcc, 60, v136
	v_add_u32_e32 v134, 8, v134
	s_or_b64 s[12:13], vcc, s[12:13]
	v_add_u32_e32 v135, 8, v135
	s_waitcnt vmcnt(0) lgkmcnt(0)
	v_fma_f64 v[129:130], v[137:138], v[139:140], v[129:130]
	s_andn2_b64 exec, exec, s[12:13]
	s_cbranch_execnz .LBB63_1235
; %bb.1236:
	s_or_b64 exec, exec, s[12:13]
.LBB63_1237:
	s_or_b64 exec, exec, s[10:11]
	v_mov_b32_e32 v134, 0
	ds_read_b64 v[134:135], v134 offset:496
	s_waitcnt lgkmcnt(0)
	v_mul_f64 v[129:130], v[129:130], v[134:135]
	buffer_store_dword v130, off, s[0:3], 0 offset:500
	buffer_store_dword v129, off, s[0:3], 0 offset:496
.LBB63_1238:
	s_or_b64 exec, exec, s[8:9]
	buffer_load_dword v129, off, s[0:3], 0 offset:504
	buffer_load_dword v130, off, s[0:3], 0 offset:508
	v_cmp_ne_u32_e32 vcc, 63, v0
	s_waitcnt vmcnt(0)
	ds_write_b64 v132, v[129:130]
	s_waitcnt lgkmcnt(0)
	; wave barrier
	s_and_saveexec_b64 s[8:9], vcc
	s_cbranch_execz .LBB63_1248
; %bb.1239:
	s_and_b64 vcc, exec, s[4:5]
	s_cbranch_vccnz .LBB63_1241
; %bb.1240:
	buffer_load_dword v129, v133, s[0:3], 0 offen
	buffer_load_dword v130, v133, s[0:3], 0 offen offset:4
	ds_read_b64 v[133:134], v132
	s_waitcnt vmcnt(0) lgkmcnt(0)
	v_mul_f64 v[129:130], v[129:130], v[133:134]
	s_cbranch_execz .LBB63_1242
	s_branch .LBB63_1243
.LBB63_1241:
                                        ; implicit-def: $vgpr129_vgpr130
.LBB63_1242:
	ds_read_b64 v[129:130], v132
.LBB63_1243:
	s_and_saveexec_b64 s[4:5], s[6:7]
	s_cbranch_execz .LBB63_1247
; %bb.1244:
	s_mov_b32 s6, 0
	v_add_u32_e32 v132, 0x208, v131
	v_add3_u32 v131, v131, s6, 8
	s_mov_b64 s[6:7], 0
.LBB63_1245:                            ; =>This Inner Loop Header: Depth=1
	buffer_load_dword v133, v131, s[0:3], 0 offen
	buffer_load_dword v134, v131, s[0:3], 0 offen offset:4
	ds_read_b64 v[135:136], v132
	v_add_u32_e32 v0, 1, v0
	v_cmp_lt_u32_e32 vcc, 61, v0
	v_add_u32_e32 v132, 8, v132
	s_or_b64 s[6:7], vcc, s[6:7]
	v_add_u32_e32 v131, 8, v131
	s_waitcnt vmcnt(0) lgkmcnt(0)
	v_fma_f64 v[129:130], v[133:134], v[135:136], v[129:130]
	s_andn2_b64 exec, exec, s[6:7]
	s_cbranch_execnz .LBB63_1245
; %bb.1246:
	s_or_b64 exec, exec, s[6:7]
.LBB63_1247:
	s_or_b64 exec, exec, s[4:5]
	v_mov_b32_e32 v0, 0
	ds_read_b64 v[131:132], v0 offset:504
	s_waitcnt lgkmcnt(0)
	v_mul_f64 v[129:130], v[129:130], v[131:132]
	buffer_store_dword v130, off, s[0:3], 0 offset:508
	buffer_store_dword v129, off, s[0:3], 0 offset:504
.LBB63_1248:
	s_or_b64 exec, exec, s[8:9]
.LBB63_1249:
	buffer_load_dword v129, off, s[0:3], 0
	buffer_load_dword v130, off, s[0:3], 0 offset:4
	buffer_load_dword v131, off, s[0:3], 0 offset:8
	;; [unrolled: 1-line block ×79, first 2 shown]
	s_waitcnt vmcnt(62)
	global_store_dwordx2 v[127:128], v[129:130], off
	buffer_load_dword v127, off, s[0:3], 0 offset:320
	s_nop 0
	buffer_load_dword v128, off, s[0:3], 0 offset:324
	buffer_load_dword v129, off, s[0:3], 0 offset:328
	;; [unrolled: 1-line block ×47, first 2 shown]
	s_nop 0
	global_store_dwordx2 v[117:118], v[131:132], off
	global_store_dwordx2 v[1:2], v[133:134], off
	;; [unrolled: 1-line block ×7, first 2 shown]
	s_waitcnt vmcnt(62)
	global_store_dwordx2 v[13:14], v[145:146], off
	global_store_dwordx2 v[15:16], v[147:148], off
	;; [unrolled: 1-line block ×29, first 2 shown]
	s_waitcnt vmcnt(62)
	global_store_dwordx2 v[71:72], v[203:204], off
	global_store_dwordx2 v[73:74], v[205:206], off
	;; [unrolled: 1-line block ×14, first 2 shown]
	s_waitcnt vmcnt(62)
	global_store_dwordx2 v[99:100], v[227:228], off
	global_store_dwordx2 v[101:102], v[229:230], off
	;; [unrolled: 1-line block ×7, first 2 shown]
	s_waitcnt vmcnt(62)
	global_store_dwordx2 v[113:114], v[241:242], off
	global_store_dwordx2 v[115:116], v[243:244], off
	;; [unrolled: 1-line block ×3, first 2 shown]
	s_waitcnt vmcnt(62)
	global_store_dwordx2 v[121:122], v[247:248], off
	global_store_dwordx2 v[123:124], v[249:250], off
	s_waitcnt vmcnt(62)
	global_store_dwordx2 v[125:126], v[251:252], off
.LBB63_1250:
	s_endpgm
	.section	.rodata,"a",@progbits
	.p2align	6, 0x0
	.amdhsa_kernel _ZN9rocsolver6v33100L18trti2_kernel_smallILi64EdPdEEv13rocblas_fill_17rocblas_diagonal_T1_iil
		.amdhsa_group_segment_fixed_size 1024
		.amdhsa_private_segment_fixed_size 528
		.amdhsa_kernarg_size 32
		.amdhsa_user_sgpr_count 6
		.amdhsa_user_sgpr_private_segment_buffer 1
		.amdhsa_user_sgpr_dispatch_ptr 0
		.amdhsa_user_sgpr_queue_ptr 0
		.amdhsa_user_sgpr_kernarg_segment_ptr 1
		.amdhsa_user_sgpr_dispatch_id 0
		.amdhsa_user_sgpr_flat_scratch_init 0
		.amdhsa_user_sgpr_private_segment_size 0
		.amdhsa_uses_dynamic_stack 0
		.amdhsa_system_sgpr_private_segment_wavefront_offset 1
		.amdhsa_system_sgpr_workgroup_id_x 1
		.amdhsa_system_sgpr_workgroup_id_y 0
		.amdhsa_system_sgpr_workgroup_id_z 0
		.amdhsa_system_sgpr_workgroup_info 0
		.amdhsa_system_vgpr_workitem_id 0
		.amdhsa_next_free_vgpr 253
		.amdhsa_next_free_sgpr 77
		.amdhsa_reserve_vcc 1
		.amdhsa_reserve_flat_scratch 0
		.amdhsa_float_round_mode_32 0
		.amdhsa_float_round_mode_16_64 0
		.amdhsa_float_denorm_mode_32 3
		.amdhsa_float_denorm_mode_16_64 3
		.amdhsa_dx10_clamp 1
		.amdhsa_ieee_mode 1
		.amdhsa_fp16_overflow 0
		.amdhsa_exception_fp_ieee_invalid_op 0
		.amdhsa_exception_fp_denorm_src 0
		.amdhsa_exception_fp_ieee_div_zero 0
		.amdhsa_exception_fp_ieee_overflow 0
		.amdhsa_exception_fp_ieee_underflow 0
		.amdhsa_exception_fp_ieee_inexact 0
		.amdhsa_exception_int_div_zero 0
	.end_amdhsa_kernel
	.section	.text._ZN9rocsolver6v33100L18trti2_kernel_smallILi64EdPdEEv13rocblas_fill_17rocblas_diagonal_T1_iil,"axG",@progbits,_ZN9rocsolver6v33100L18trti2_kernel_smallILi64EdPdEEv13rocblas_fill_17rocblas_diagonal_T1_iil,comdat
.Lfunc_end63:
	.size	_ZN9rocsolver6v33100L18trti2_kernel_smallILi64EdPdEEv13rocblas_fill_17rocblas_diagonal_T1_iil, .Lfunc_end63-_ZN9rocsolver6v33100L18trti2_kernel_smallILi64EdPdEEv13rocblas_fill_17rocblas_diagonal_T1_iil
                                        ; -- End function
	.set _ZN9rocsolver6v33100L18trti2_kernel_smallILi64EdPdEEv13rocblas_fill_17rocblas_diagonal_T1_iil.num_vgpr, 253
	.set _ZN9rocsolver6v33100L18trti2_kernel_smallILi64EdPdEEv13rocblas_fill_17rocblas_diagonal_T1_iil.num_agpr, 0
	.set _ZN9rocsolver6v33100L18trti2_kernel_smallILi64EdPdEEv13rocblas_fill_17rocblas_diagonal_T1_iil.numbered_sgpr, 77
	.set _ZN9rocsolver6v33100L18trti2_kernel_smallILi64EdPdEEv13rocblas_fill_17rocblas_diagonal_T1_iil.num_named_barrier, 0
	.set _ZN9rocsolver6v33100L18trti2_kernel_smallILi64EdPdEEv13rocblas_fill_17rocblas_diagonal_T1_iil.private_seg_size, 528
	.set _ZN9rocsolver6v33100L18trti2_kernel_smallILi64EdPdEEv13rocblas_fill_17rocblas_diagonal_T1_iil.uses_vcc, 1
	.set _ZN9rocsolver6v33100L18trti2_kernel_smallILi64EdPdEEv13rocblas_fill_17rocblas_diagonal_T1_iil.uses_flat_scratch, 0
	.set _ZN9rocsolver6v33100L18trti2_kernel_smallILi64EdPdEEv13rocblas_fill_17rocblas_diagonal_T1_iil.has_dyn_sized_stack, 0
	.set _ZN9rocsolver6v33100L18trti2_kernel_smallILi64EdPdEEv13rocblas_fill_17rocblas_diagonal_T1_iil.has_recursion, 0
	.set _ZN9rocsolver6v33100L18trti2_kernel_smallILi64EdPdEEv13rocblas_fill_17rocblas_diagonal_T1_iil.has_indirect_call, 0
	.section	.AMDGPU.csdata,"",@progbits
; Kernel info:
; codeLenInByte = 37744
; TotalNumSgprs: 81
; NumVgprs: 253
; ScratchSize: 528
; MemoryBound: 0
; FloatMode: 240
; IeeeMode: 1
; LDSByteSize: 1024 bytes/workgroup (compile time only)
; SGPRBlocks: 10
; VGPRBlocks: 63
; NumSGPRsForWavesPerEU: 81
; NumVGPRsForWavesPerEU: 253
; Occupancy: 1
; WaveLimiterHint : 0
; COMPUTE_PGM_RSRC2:SCRATCH_EN: 1
; COMPUTE_PGM_RSRC2:USER_SGPR: 6
; COMPUTE_PGM_RSRC2:TRAP_HANDLER: 0
; COMPUTE_PGM_RSRC2:TGID_X_EN: 1
; COMPUTE_PGM_RSRC2:TGID_Y_EN: 0
; COMPUTE_PGM_RSRC2:TGID_Z_EN: 0
; COMPUTE_PGM_RSRC2:TIDIG_COMP_CNT: 0
	.section	.text._ZN9rocsolver6v33100L18trti2_kernel_smallILi1EdPKPdEEv13rocblas_fill_17rocblas_diagonal_T1_iil,"axG",@progbits,_ZN9rocsolver6v33100L18trti2_kernel_smallILi1EdPKPdEEv13rocblas_fill_17rocblas_diagonal_T1_iil,comdat
	.globl	_ZN9rocsolver6v33100L18trti2_kernel_smallILi1EdPKPdEEv13rocblas_fill_17rocblas_diagonal_T1_iil ; -- Begin function _ZN9rocsolver6v33100L18trti2_kernel_smallILi1EdPKPdEEv13rocblas_fill_17rocblas_diagonal_T1_iil
	.p2align	8
	.type	_ZN9rocsolver6v33100L18trti2_kernel_smallILi1EdPKPdEEv13rocblas_fill_17rocblas_diagonal_T1_iil,@function
_ZN9rocsolver6v33100L18trti2_kernel_smallILi1EdPKPdEEv13rocblas_fill_17rocblas_diagonal_T1_iil: ; @_ZN9rocsolver6v33100L18trti2_kernel_smallILi1EdPKPdEEv13rocblas_fill_17rocblas_diagonal_T1_iil
; %bb.0:
	v_cmp_eq_u32_e32 vcc, 0, v0
	s_and_saveexec_b64 s[0:1], vcc
	s_cbranch_execz .LBB64_2
; %bb.1:
	s_load_dword s0, s[4:5], 0x10
	s_load_dwordx2 s[2:3], s[4:5], 0x8
	s_ashr_i32 s7, s6, 31
	s_lshl_b64 s[6:7], s[6:7], 3
	s_waitcnt lgkmcnt(0)
	s_ashr_i32 s1, s0, 31
	s_add_u32 s2, s2, s6
	s_addc_u32 s3, s3, s7
	s_load_dwordx2 s[2:3], s[2:3], 0x0
	s_lshl_b64 s[0:1], s[0:1], 3
	s_waitcnt lgkmcnt(0)
	s_add_u32 s0, s2, s0
	s_addc_u32 s1, s3, s1
	v_mov_b32_e32 v0, s0
	v_mov_b32_e32 v1, s1
	flat_load_dwordx2 v[2:3], v[0:1]
	s_waitcnt vmcnt(0) lgkmcnt(0)
	v_div_scale_f64 v[4:5], s[0:1], v[2:3], v[2:3], 1.0
	s_load_dword s0, s[4:5], 0x4
	s_waitcnt lgkmcnt(0)
	s_cmpk_eq_i32 s0, 0x84
	v_rcp_f64_e32 v[6:7], v[4:5]
	v_fma_f64 v[8:9], -v[4:5], v[6:7], 1.0
	v_fma_f64 v[6:7], v[6:7], v[8:9], v[6:7]
	v_div_scale_f64 v[8:9], vcc, 1.0, v[2:3], 1.0
	v_fma_f64 v[10:11], -v[4:5], v[6:7], 1.0
	v_fma_f64 v[6:7], v[6:7], v[10:11], v[6:7]
	v_mul_f64 v[10:11], v[8:9], v[6:7]
	v_fma_f64 v[4:5], -v[4:5], v[10:11], v[8:9]
	v_div_fmas_f64 v[4:5], v[4:5], v[6:7], v[10:11]
	s_cselect_b64 vcc, -1, 0
	v_div_fixup_f64 v[4:5], v[4:5], v[2:3], 1.0
	v_cndmask_b32_e32 v3, v5, v3, vcc
	v_cndmask_b32_e32 v2, v4, v2, vcc
	flat_store_dwordx2 v[0:1], v[2:3]
.LBB64_2:
	s_endpgm
	.section	.rodata,"a",@progbits
	.p2align	6, 0x0
	.amdhsa_kernel _ZN9rocsolver6v33100L18trti2_kernel_smallILi1EdPKPdEEv13rocblas_fill_17rocblas_diagonal_T1_iil
		.amdhsa_group_segment_fixed_size 0
		.amdhsa_private_segment_fixed_size 0
		.amdhsa_kernarg_size 32
		.amdhsa_user_sgpr_count 6
		.amdhsa_user_sgpr_private_segment_buffer 1
		.amdhsa_user_sgpr_dispatch_ptr 0
		.amdhsa_user_sgpr_queue_ptr 0
		.amdhsa_user_sgpr_kernarg_segment_ptr 1
		.amdhsa_user_sgpr_dispatch_id 0
		.amdhsa_user_sgpr_flat_scratch_init 0
		.amdhsa_user_sgpr_private_segment_size 0
		.amdhsa_uses_dynamic_stack 0
		.amdhsa_system_sgpr_private_segment_wavefront_offset 0
		.amdhsa_system_sgpr_workgroup_id_x 1
		.amdhsa_system_sgpr_workgroup_id_y 0
		.amdhsa_system_sgpr_workgroup_id_z 0
		.amdhsa_system_sgpr_workgroup_info 0
		.amdhsa_system_vgpr_workitem_id 0
		.amdhsa_next_free_vgpr 12
		.amdhsa_next_free_sgpr 8
		.amdhsa_reserve_vcc 1
		.amdhsa_reserve_flat_scratch 0
		.amdhsa_float_round_mode_32 0
		.amdhsa_float_round_mode_16_64 0
		.amdhsa_float_denorm_mode_32 3
		.amdhsa_float_denorm_mode_16_64 3
		.amdhsa_dx10_clamp 1
		.amdhsa_ieee_mode 1
		.amdhsa_fp16_overflow 0
		.amdhsa_exception_fp_ieee_invalid_op 0
		.amdhsa_exception_fp_denorm_src 0
		.amdhsa_exception_fp_ieee_div_zero 0
		.amdhsa_exception_fp_ieee_overflow 0
		.amdhsa_exception_fp_ieee_underflow 0
		.amdhsa_exception_fp_ieee_inexact 0
		.amdhsa_exception_int_div_zero 0
	.end_amdhsa_kernel
	.section	.text._ZN9rocsolver6v33100L18trti2_kernel_smallILi1EdPKPdEEv13rocblas_fill_17rocblas_diagonal_T1_iil,"axG",@progbits,_ZN9rocsolver6v33100L18trti2_kernel_smallILi1EdPKPdEEv13rocblas_fill_17rocblas_diagonal_T1_iil,comdat
.Lfunc_end64:
	.size	_ZN9rocsolver6v33100L18trti2_kernel_smallILi1EdPKPdEEv13rocblas_fill_17rocblas_diagonal_T1_iil, .Lfunc_end64-_ZN9rocsolver6v33100L18trti2_kernel_smallILi1EdPKPdEEv13rocblas_fill_17rocblas_diagonal_T1_iil
                                        ; -- End function
	.set _ZN9rocsolver6v33100L18trti2_kernel_smallILi1EdPKPdEEv13rocblas_fill_17rocblas_diagonal_T1_iil.num_vgpr, 12
	.set _ZN9rocsolver6v33100L18trti2_kernel_smallILi1EdPKPdEEv13rocblas_fill_17rocblas_diagonal_T1_iil.num_agpr, 0
	.set _ZN9rocsolver6v33100L18trti2_kernel_smallILi1EdPKPdEEv13rocblas_fill_17rocblas_diagonal_T1_iil.numbered_sgpr, 8
	.set _ZN9rocsolver6v33100L18trti2_kernel_smallILi1EdPKPdEEv13rocblas_fill_17rocblas_diagonal_T1_iil.num_named_barrier, 0
	.set _ZN9rocsolver6v33100L18trti2_kernel_smallILi1EdPKPdEEv13rocblas_fill_17rocblas_diagonal_T1_iil.private_seg_size, 0
	.set _ZN9rocsolver6v33100L18trti2_kernel_smallILi1EdPKPdEEv13rocblas_fill_17rocblas_diagonal_T1_iil.uses_vcc, 1
	.set _ZN9rocsolver6v33100L18trti2_kernel_smallILi1EdPKPdEEv13rocblas_fill_17rocblas_diagonal_T1_iil.uses_flat_scratch, 0
	.set _ZN9rocsolver6v33100L18trti2_kernel_smallILi1EdPKPdEEv13rocblas_fill_17rocblas_diagonal_T1_iil.has_dyn_sized_stack, 0
	.set _ZN9rocsolver6v33100L18trti2_kernel_smallILi1EdPKPdEEv13rocblas_fill_17rocblas_diagonal_T1_iil.has_recursion, 0
	.set _ZN9rocsolver6v33100L18trti2_kernel_smallILi1EdPKPdEEv13rocblas_fill_17rocblas_diagonal_T1_iil.has_indirect_call, 0
	.section	.AMDGPU.csdata,"",@progbits
; Kernel info:
; codeLenInByte = 220
; TotalNumSgprs: 12
; NumVgprs: 12
; ScratchSize: 0
; MemoryBound: 0
; FloatMode: 240
; IeeeMode: 1
; LDSByteSize: 0 bytes/workgroup (compile time only)
; SGPRBlocks: 1
; VGPRBlocks: 2
; NumSGPRsForWavesPerEU: 12
; NumVGPRsForWavesPerEU: 12
; Occupancy: 10
; WaveLimiterHint : 1
; COMPUTE_PGM_RSRC2:SCRATCH_EN: 0
; COMPUTE_PGM_RSRC2:USER_SGPR: 6
; COMPUTE_PGM_RSRC2:TRAP_HANDLER: 0
; COMPUTE_PGM_RSRC2:TGID_X_EN: 1
; COMPUTE_PGM_RSRC2:TGID_Y_EN: 0
; COMPUTE_PGM_RSRC2:TGID_Z_EN: 0
; COMPUTE_PGM_RSRC2:TIDIG_COMP_CNT: 0
	.section	.text._ZN9rocsolver6v33100L18trti2_kernel_smallILi2EdPKPdEEv13rocblas_fill_17rocblas_diagonal_T1_iil,"axG",@progbits,_ZN9rocsolver6v33100L18trti2_kernel_smallILi2EdPKPdEEv13rocblas_fill_17rocblas_diagonal_T1_iil,comdat
	.globl	_ZN9rocsolver6v33100L18trti2_kernel_smallILi2EdPKPdEEv13rocblas_fill_17rocblas_diagonal_T1_iil ; -- Begin function _ZN9rocsolver6v33100L18trti2_kernel_smallILi2EdPKPdEEv13rocblas_fill_17rocblas_diagonal_T1_iil
	.p2align	8
	.type	_ZN9rocsolver6v33100L18trti2_kernel_smallILi2EdPKPdEEv13rocblas_fill_17rocblas_diagonal_T1_iil,@function
_ZN9rocsolver6v33100L18trti2_kernel_smallILi2EdPKPdEEv13rocblas_fill_17rocblas_diagonal_T1_iil: ; @_ZN9rocsolver6v33100L18trti2_kernel_smallILi2EdPKPdEEv13rocblas_fill_17rocblas_diagonal_T1_iil
; %bb.0:
	v_cmp_gt_u32_e32 vcc, 2, v0
	s_and_saveexec_b64 s[0:1], vcc
	s_cbranch_execz .LBB65_20
; %bb.1:
	s_load_dwordx2 s[0:1], s[4:5], 0x10
	s_load_dwordx4 s[8:11], s[4:5], 0x0
	s_ashr_i32 s7, s6, 31
	s_lshl_b64 s[2:3], s[6:7], 3
	v_lshlrev_b32_e32 v7, 3, v0
	s_waitcnt lgkmcnt(0)
	s_ashr_i32 s5, s0, 31
	s_add_u32 s2, s10, s2
	s_addc_u32 s3, s11, s3
	s_load_dwordx2 s[2:3], s[2:3], 0x0
	s_mov_b32 s4, s0
	s_lshl_b64 s[4:5], s[4:5], 3
	v_mov_b32_e32 v5, 0
	v_mov_b32_e32 v6, 0xbff00000
	s_waitcnt lgkmcnt(0)
	s_add_u32 s0, s2, s4
	s_addc_u32 s2, s3, s5
	v_mov_b32_e32 v1, s2
	v_add_co_u32_e32 v9, vcc, s0, v7
	s_ashr_i32 s3, s1, 31
	s_mov_b32 s2, s1
	v_addc_co_u32_e32 v10, vcc, 0, v1, vcc
	s_lshl_b64 s[0:1], s[2:3], 3
	v_mov_b32_e32 v1, s1
	v_add_co_u32_e32 v11, vcc, s0, v9
	v_addc_co_u32_e32 v12, vcc, v10, v1, vcc
	flat_load_dwordx2 v[1:2], v[9:10]
	flat_load_dwordx2 v[3:4], v[11:12]
	s_cmpk_lg_i32 s9, 0x84
	s_cselect_b64 s[2:3], -1, 0
	s_cmpk_eq_i32 s9, 0x84
	s_cbranch_scc1 .LBB65_3
; %bb.2:
	v_cmp_eq_u32_e64 s[0:1], 1, v0
	s_waitcnt vmcnt(0) lgkmcnt(0)
	v_cndmask_b32_e64 v6, v2, v4, s[0:1]
	v_cndmask_b32_e64 v5, v1, v3, s[0:1]
	v_div_scale_f64 v[13:14], s[4:5], v[5:6], v[5:6], 1.0
	v_rcp_f64_e32 v[15:16], v[13:14]
	v_fma_f64 v[17:18], -v[13:14], v[15:16], 1.0
	v_fma_f64 v[15:16], v[15:16], v[17:18], v[15:16]
	v_div_scale_f64 v[17:18], vcc, 1.0, v[5:6], 1.0
	v_fma_f64 v[19:20], -v[13:14], v[15:16], 1.0
	v_fma_f64 v[15:16], v[15:16], v[19:20], v[15:16]
	v_mul_f64 v[19:20], v[17:18], v[15:16]
	v_fma_f64 v[13:14], -v[13:14], v[19:20], v[17:18]
	v_div_fmas_f64 v[13:14], v[13:14], v[15:16], v[19:20]
	v_cmp_eq_u32_e32 vcc, 0, v0
	v_div_fixup_f64 v[5:6], v[13:14], v[5:6], 1.0
	v_cndmask_b32_e64 v4, v4, v6, s[0:1]
	v_cndmask_b32_e64 v3, v3, v5, s[0:1]
	v_cndmask_b32_e32 v2, v2, v6, vcc
	v_cndmask_b32_e32 v1, v1, v5, vcc
	v_xor_b32_e32 v6, 0x80000000, v6
.LBB65_3:
	s_cmpk_eq_i32 s8, 0x79
	v_add_u32_e32 v13, 16, v7
	ds_write_b64 v7, v[5:6]
	s_cbranch_scc1 .LBB65_7
; %bb.4:
	s_waitcnt vmcnt(0) lgkmcnt(0)
	v_mov_b32_e32 v8, v4
	v_cmp_eq_u32_e32 vcc, 1, v0
	v_mov_b32_e32 v7, v3
	v_mov_b32_e32 v6, v2
	;; [unrolled: 1-line block ×3, first 2 shown]
	ds_write_b64 v13, v[1:2]
	s_waitcnt lgkmcnt(0)
	; wave barrier
	s_and_saveexec_b64 s[0:1], vcc
	s_cbranch_execz .LBB65_11
; %bb.5:
	s_and_b64 vcc, exec, s[2:3]
	s_cbranch_vccz .LBB65_8
; %bb.6:
	ds_read_b64 v[5:6], v13
	v_cmp_eq_u32_e32 vcc, 1, v0
	v_cndmask_b32_e32 v8, v2, v4, vcc
	v_cndmask_b32_e32 v7, v1, v3, vcc
	s_waitcnt lgkmcnt(0)
	v_mul_f64 v[5:6], v[7:8], v[5:6]
	s_cbranch_execz .LBB65_9
	s_branch .LBB65_10
.LBB65_7:
                                        ; implicit-def: $vgpr5_vgpr6_vgpr7_vgpr8
	s_branch .LBB65_12
.LBB65_8:
                                        ; implicit-def: $vgpr5_vgpr6
.LBB65_9:
	ds_read_b64 v[5:6], v13
.LBB65_10:
	v_mov_b32_e32 v7, 0
	ds_read_b64 v[7:8], v7
	s_waitcnt lgkmcnt(0)
	v_mul_f64 v[14:15], v[5:6], v[7:8]
	v_mov_b32_e32 v8, v4
	v_mov_b32_e32 v6, v2
	;; [unrolled: 1-line block ×6, first 2 shown]
.LBB65_11:
	s_or_b64 exec, exec, s[0:1]
	s_cbranch_execnz .LBB65_19
.LBB65_12:
	v_cmp_eq_u32_e32 vcc, 0, v0
	s_waitcnt vmcnt(0) lgkmcnt(0)
	ds_write_b64 v13, v[3:4]
	s_waitcnt lgkmcnt(0)
	; wave barrier
	s_and_saveexec_b64 s[0:1], vcc
	s_cbranch_execz .LBB65_18
; %bb.13:
	s_and_b64 vcc, exec, s[2:3]
	s_cbranch_vccz .LBB65_15
; %bb.14:
	ds_read_b64 v[5:6], v13
	v_cmp_eq_u32_e32 vcc, 1, v0
	v_cndmask_b32_e32 v4, v2, v4, vcc
	v_cndmask_b32_e32 v3, v1, v3, vcc
	s_waitcnt lgkmcnt(0)
	v_mul_f64 v[3:4], v[3:4], v[5:6]
	s_cbranch_execz .LBB65_16
	s_branch .LBB65_17
.LBB65_15:
                                        ; implicit-def: $vgpr3_vgpr4
.LBB65_16:
	ds_read_b64 v[3:4], v13
.LBB65_17:
	v_mov_b32_e32 v0, 0
	ds_read_b64 v[5:6], v0 offset:8
	s_waitcnt lgkmcnt(0)
	v_mul_f64 v[3:4], v[3:4], v[5:6]
.LBB65_18:
	s_or_b64 exec, exec, s[0:1]
	v_mov_b32_e32 v8, v4
	v_mov_b32_e32 v7, v3
	;; [unrolled: 1-line block ×4, first 2 shown]
.LBB65_19:
	flat_store_dwordx2 v[9:10], v[5:6]
	flat_store_dwordx2 v[11:12], v[7:8]
.LBB65_20:
	s_endpgm
	.section	.rodata,"a",@progbits
	.p2align	6, 0x0
	.amdhsa_kernel _ZN9rocsolver6v33100L18trti2_kernel_smallILi2EdPKPdEEv13rocblas_fill_17rocblas_diagonal_T1_iil
		.amdhsa_group_segment_fixed_size 32
		.amdhsa_private_segment_fixed_size 0
		.amdhsa_kernarg_size 32
		.amdhsa_user_sgpr_count 6
		.amdhsa_user_sgpr_private_segment_buffer 1
		.amdhsa_user_sgpr_dispatch_ptr 0
		.amdhsa_user_sgpr_queue_ptr 0
		.amdhsa_user_sgpr_kernarg_segment_ptr 1
		.amdhsa_user_sgpr_dispatch_id 0
		.amdhsa_user_sgpr_flat_scratch_init 0
		.amdhsa_user_sgpr_private_segment_size 0
		.amdhsa_uses_dynamic_stack 0
		.amdhsa_system_sgpr_private_segment_wavefront_offset 0
		.amdhsa_system_sgpr_workgroup_id_x 1
		.amdhsa_system_sgpr_workgroup_id_y 0
		.amdhsa_system_sgpr_workgroup_id_z 0
		.amdhsa_system_sgpr_workgroup_info 0
		.amdhsa_system_vgpr_workitem_id 0
		.amdhsa_next_free_vgpr 21
		.amdhsa_next_free_sgpr 12
		.amdhsa_reserve_vcc 1
		.amdhsa_reserve_flat_scratch 0
		.amdhsa_float_round_mode_32 0
		.amdhsa_float_round_mode_16_64 0
		.amdhsa_float_denorm_mode_32 3
		.amdhsa_float_denorm_mode_16_64 3
		.amdhsa_dx10_clamp 1
		.amdhsa_ieee_mode 1
		.amdhsa_fp16_overflow 0
		.amdhsa_exception_fp_ieee_invalid_op 0
		.amdhsa_exception_fp_denorm_src 0
		.amdhsa_exception_fp_ieee_div_zero 0
		.amdhsa_exception_fp_ieee_overflow 0
		.amdhsa_exception_fp_ieee_underflow 0
		.amdhsa_exception_fp_ieee_inexact 0
		.amdhsa_exception_int_div_zero 0
	.end_amdhsa_kernel
	.section	.text._ZN9rocsolver6v33100L18trti2_kernel_smallILi2EdPKPdEEv13rocblas_fill_17rocblas_diagonal_T1_iil,"axG",@progbits,_ZN9rocsolver6v33100L18trti2_kernel_smallILi2EdPKPdEEv13rocblas_fill_17rocblas_diagonal_T1_iil,comdat
.Lfunc_end65:
	.size	_ZN9rocsolver6v33100L18trti2_kernel_smallILi2EdPKPdEEv13rocblas_fill_17rocblas_diagonal_T1_iil, .Lfunc_end65-_ZN9rocsolver6v33100L18trti2_kernel_smallILi2EdPKPdEEv13rocblas_fill_17rocblas_diagonal_T1_iil
                                        ; -- End function
	.set _ZN9rocsolver6v33100L18trti2_kernel_smallILi2EdPKPdEEv13rocblas_fill_17rocblas_diagonal_T1_iil.num_vgpr, 21
	.set _ZN9rocsolver6v33100L18trti2_kernel_smallILi2EdPKPdEEv13rocblas_fill_17rocblas_diagonal_T1_iil.num_agpr, 0
	.set _ZN9rocsolver6v33100L18trti2_kernel_smallILi2EdPKPdEEv13rocblas_fill_17rocblas_diagonal_T1_iil.numbered_sgpr, 12
	.set _ZN9rocsolver6v33100L18trti2_kernel_smallILi2EdPKPdEEv13rocblas_fill_17rocblas_diagonal_T1_iil.num_named_barrier, 0
	.set _ZN9rocsolver6v33100L18trti2_kernel_smallILi2EdPKPdEEv13rocblas_fill_17rocblas_diagonal_T1_iil.private_seg_size, 0
	.set _ZN9rocsolver6v33100L18trti2_kernel_smallILi2EdPKPdEEv13rocblas_fill_17rocblas_diagonal_T1_iil.uses_vcc, 1
	.set _ZN9rocsolver6v33100L18trti2_kernel_smallILi2EdPKPdEEv13rocblas_fill_17rocblas_diagonal_T1_iil.uses_flat_scratch, 0
	.set _ZN9rocsolver6v33100L18trti2_kernel_smallILi2EdPKPdEEv13rocblas_fill_17rocblas_diagonal_T1_iil.has_dyn_sized_stack, 0
	.set _ZN9rocsolver6v33100L18trti2_kernel_smallILi2EdPKPdEEv13rocblas_fill_17rocblas_diagonal_T1_iil.has_recursion, 0
	.set _ZN9rocsolver6v33100L18trti2_kernel_smallILi2EdPKPdEEv13rocblas_fill_17rocblas_diagonal_T1_iil.has_indirect_call, 0
	.section	.AMDGPU.csdata,"",@progbits
; Kernel info:
; codeLenInByte = 640
; TotalNumSgprs: 16
; NumVgprs: 21
; ScratchSize: 0
; MemoryBound: 0
; FloatMode: 240
; IeeeMode: 1
; LDSByteSize: 32 bytes/workgroup (compile time only)
; SGPRBlocks: 1
; VGPRBlocks: 5
; NumSGPRsForWavesPerEU: 16
; NumVGPRsForWavesPerEU: 21
; Occupancy: 10
; WaveLimiterHint : 1
; COMPUTE_PGM_RSRC2:SCRATCH_EN: 0
; COMPUTE_PGM_RSRC2:USER_SGPR: 6
; COMPUTE_PGM_RSRC2:TRAP_HANDLER: 0
; COMPUTE_PGM_RSRC2:TGID_X_EN: 1
; COMPUTE_PGM_RSRC2:TGID_Y_EN: 0
; COMPUTE_PGM_RSRC2:TGID_Z_EN: 0
; COMPUTE_PGM_RSRC2:TIDIG_COMP_CNT: 0
	.section	.text._ZN9rocsolver6v33100L18trti2_kernel_smallILi3EdPKPdEEv13rocblas_fill_17rocblas_diagonal_T1_iil,"axG",@progbits,_ZN9rocsolver6v33100L18trti2_kernel_smallILi3EdPKPdEEv13rocblas_fill_17rocblas_diagonal_T1_iil,comdat
	.globl	_ZN9rocsolver6v33100L18trti2_kernel_smallILi3EdPKPdEEv13rocblas_fill_17rocblas_diagonal_T1_iil ; -- Begin function _ZN9rocsolver6v33100L18trti2_kernel_smallILi3EdPKPdEEv13rocblas_fill_17rocblas_diagonal_T1_iil
	.p2align	8
	.type	_ZN9rocsolver6v33100L18trti2_kernel_smallILi3EdPKPdEEv13rocblas_fill_17rocblas_diagonal_T1_iil,@function
_ZN9rocsolver6v33100L18trti2_kernel_smallILi3EdPKPdEEv13rocblas_fill_17rocblas_diagonal_T1_iil: ; @_ZN9rocsolver6v33100L18trti2_kernel_smallILi3EdPKPdEEv13rocblas_fill_17rocblas_diagonal_T1_iil
; %bb.0:
	v_cmp_gt_u32_e32 vcc, 3, v0
	s_and_saveexec_b64 s[0:1], vcc
	s_cbranch_execz .LBB66_32
; %bb.1:
	s_load_dwordx2 s[0:1], s[4:5], 0x10
	s_load_dwordx4 s[8:11], s[4:5], 0x0
	s_ashr_i32 s7, s6, 31
	s_lshl_b64 s[2:3], s[6:7], 3
	v_lshlrev_b32_e32 v9, 3, v0
	s_waitcnt lgkmcnt(0)
	s_ashr_i32 s5, s0, 31
	s_add_u32 s2, s10, s2
	s_addc_u32 s3, s11, s3
	s_load_dwordx2 s[2:3], s[2:3], 0x0
	s_mov_b32 s4, s0
	s_lshl_b64 s[4:5], s[4:5], 3
	v_mov_b32_e32 v7, 0
	v_mov_b32_e32 v8, 0xbff00000
	s_waitcnt lgkmcnt(0)
	s_add_u32 s0, s2, s4
	s_addc_u32 s4, s3, s5
	v_mov_b32_e32 v1, s4
	v_add_co_u32_e32 v13, vcc, s0, v9
	s_ashr_i32 s3, s1, 31
	s_mov_b32 s2, s1
	v_addc_co_u32_e32 v14, vcc, 0, v1, vcc
	s_lshl_b64 s[2:3], s[2:3], 3
	v_mov_b32_e32 v1, s3
	v_add_co_u32_e32 v15, vcc, s2, v13
	s_add_i32 s1, s1, s1
	v_addc_co_u32_e32 v16, vcc, v14, v1, vcc
	v_add_u32_e32 v1, s1, v0
	v_ashrrev_i32_e32 v2, 31, v1
	v_lshlrev_b64 v[1:2], 3, v[1:2]
	v_mov_b32_e32 v3, s4
	v_add_co_u32_e32 v17, vcc, s0, v1
	v_addc_co_u32_e32 v18, vcc, v3, v2, vcc
	flat_load_dwordx2 v[1:2], v[13:14]
	flat_load_dwordx2 v[3:4], v[15:16]
	;; [unrolled: 1-line block ×3, first 2 shown]
	s_cmpk_lg_i32 s9, 0x84
	s_cselect_b64 s[4:5], -1, 0
	s_cmpk_eq_i32 s9, 0x84
	s_cbranch_scc1 .LBB66_3
; %bb.2:
	v_cmp_eq_u32_e64 s[0:1], 1, v0
	s_waitcnt vmcnt(0) lgkmcnt(0)
	v_cndmask_b32_e64 v7, v2, v4, s[0:1]
	v_cmp_eq_u32_e64 s[2:3], 2, v0
	v_cndmask_b32_e64 v8, v7, v6, s[2:3]
	v_cndmask_b32_e64 v7, v1, v3, s[0:1]
	;; [unrolled: 1-line block ×3, first 2 shown]
	v_div_scale_f64 v[10:11], s[6:7], v[7:8], v[7:8], 1.0
	v_rcp_f64_e32 v[19:20], v[10:11]
	v_fma_f64 v[21:22], -v[10:11], v[19:20], 1.0
	v_fma_f64 v[19:20], v[19:20], v[21:22], v[19:20]
	v_div_scale_f64 v[21:22], vcc, 1.0, v[7:8], 1.0
	v_fma_f64 v[23:24], -v[10:11], v[19:20], 1.0
	v_fma_f64 v[19:20], v[19:20], v[23:24], v[19:20]
	v_mul_f64 v[23:24], v[21:22], v[19:20]
	v_fma_f64 v[10:11], -v[10:11], v[23:24], v[21:22]
	v_div_fmas_f64 v[10:11], v[10:11], v[19:20], v[23:24]
	v_cmp_eq_u32_e32 vcc, 0, v0
	v_div_fixup_f64 v[7:8], v[10:11], v[7:8], 1.0
	v_cndmask_b32_e64 v6, v6, v8, s[2:3]
	v_cndmask_b32_e64 v5, v5, v7, s[2:3]
	v_cndmask_b32_e64 v4, v4, v8, s[0:1]
	v_cndmask_b32_e64 v3, v3, v7, s[0:1]
	v_cndmask_b32_e32 v2, v2, v8, vcc
	v_cndmask_b32_e32 v1, v1, v7, vcc
	v_xor_b32_e32 v8, 0x80000000, v8
.LBB66_3:
	s_cmpk_eq_i32 s8, 0x79
	v_add_u32_e32 v19, 32, v9
	s_waitcnt vmcnt(0) lgkmcnt(0)
	ds_write2_b64 v9, v[7:8], v[3:4] offset1:4
	s_waitcnt lgkmcnt(0)
	s_cbranch_scc1 .LBB66_7
; %bb.4:
	v_mov_b32_e32 v12, v6
	v_cmp_eq_u32_e64 s[0:1], 2, v0
	v_mov_b32_e32 v11, v5
	v_mov_b32_e32 v10, v4
	;; [unrolled: 1-line block ×5, first 2 shown]
	; wave barrier
	s_and_saveexec_b64 s[6:7], s[0:1]
	s_cbranch_execz .LBB66_11
; %bb.5:
	s_and_b64 vcc, exec, s[4:5]
	s_cbranch_vccz .LBB66_8
; %bb.6:
	ds_read_b64 v[7:8], v19
	v_cmp_eq_u32_e32 vcc, 1, v0
	v_cndmask_b32_e32 v9, v2, v4, vcc
	v_cmp_eq_u32_e64 s[2:3], 2, v0
	v_cndmask_b32_e64 v10, v9, v6, s[2:3]
	v_cndmask_b32_e32 v9, v1, v3, vcc
	v_cndmask_b32_e64 v9, v9, v5, s[2:3]
	s_waitcnt lgkmcnt(0)
	v_mul_f64 v[7:8], v[9:10], v[7:8]
	s_cbranch_execz .LBB66_9
	s_branch .LBB66_10
.LBB66_7:
                                        ; implicit-def: $vgpr7_vgpr8_vgpr9_vgpr10_vgpr11_vgpr12
	s_cbranch_execnz .LBB66_18
	s_branch .LBB66_31
.LBB66_8:
                                        ; implicit-def: $vgpr7_vgpr8
.LBB66_9:
	ds_read_b64 v[7:8], v19
.LBB66_10:
	v_mov_b32_e32 v9, 0
	ds_read_b64 v[9:10], v9 offset:8
	s_waitcnt lgkmcnt(0)
	v_mul_f64 v[20:21], v[7:8], v[9:10]
	v_mov_b32_e32 v12, v6
	v_mov_b32_e32 v10, v4
	;; [unrolled: 1-line block ×8, first 2 shown]
.LBB66_11:
	s_or_b64 exec, exec, s[6:7]
	v_cmp_ne_u32_e32 vcc, 0, v0
	ds_write_b64 v19, v[7:8]
	s_waitcnt lgkmcnt(0)
	; wave barrier
	s_and_saveexec_b64 s[6:7], vcc
	s_cbranch_execz .LBB66_17
; %bb.12:
	s_andn2_b64 vcc, exec, s[4:5]
	s_cbranch_vccnz .LBB66_14
; %bb.13:
	ds_read_b64 v[20:21], v19
	v_cmp_eq_u32_e32 vcc, 1, v0
	v_cndmask_b32_e32 v8, v8, v10, vcc
	v_cmp_eq_u32_e64 s[2:3], 2, v0
	v_cndmask_b32_e32 v7, v7, v9, vcc
	v_cndmask_b32_e64 v8, v8, v12, s[2:3]
	v_cndmask_b32_e64 v7, v7, v11, s[2:3]
	s_waitcnt lgkmcnt(0)
	v_mul_f64 v[7:8], v[7:8], v[20:21]
	s_cbranch_execz .LBB66_15
	s_branch .LBB66_16
.LBB66_14:
                                        ; implicit-def: $vgpr7_vgpr8
.LBB66_15:
	ds_read_b64 v[7:8], v19
.LBB66_16:
	v_mov_b32_e32 v20, 0
	ds_read2_b64 v[20:23], v20 offset1:5
	s_waitcnt lgkmcnt(0)
	v_fma_f64 v[22:23], v[9:10], v[22:23], v[7:8]
	v_cndmask_b32_e64 v8, v8, v23, s[0:1]
	v_cndmask_b32_e64 v7, v7, v22, s[0:1]
	v_mul_f64 v[7:8], v[7:8], v[20:21]
.LBB66_17:
	s_or_b64 exec, exec, s[6:7]
	s_branch .LBB66_31
.LBB66_18:
	v_cmp_eq_u32_e64 s[0:1], 0, v0
	; wave barrier
	s_and_saveexec_b64 s[6:7], s[0:1]
	s_cbranch_execz .LBB66_24
; %bb.19:
	s_and_b64 vcc, exec, s[4:5]
	s_cbranch_vccz .LBB66_21
; %bb.20:
	ds_read_b64 v[7:8], v19
	v_cmp_eq_u32_e32 vcc, 1, v0
	v_cndmask_b32_e32 v4, v2, v4, vcc
	v_cmp_eq_u32_e64 s[2:3], 2, v0
	v_cndmask_b32_e32 v3, v1, v3, vcc
	v_cndmask_b32_e64 v4, v4, v6, s[2:3]
	v_cndmask_b32_e64 v3, v3, v5, s[2:3]
	s_waitcnt lgkmcnt(0)
	v_mul_f64 v[3:4], v[3:4], v[7:8]
	s_cbranch_execz .LBB66_22
	s_branch .LBB66_23
.LBB66_21:
                                        ; implicit-def: $vgpr3_vgpr4
.LBB66_22:
	ds_read_b64 v[3:4], v19
.LBB66_23:
	v_mov_b32_e32 v7, 0
	ds_read_b64 v[7:8], v7 offset:8
	s_waitcnt lgkmcnt(0)
	v_mul_f64 v[3:4], v[3:4], v[7:8]
.LBB66_24:
	s_or_b64 exec, exec, s[6:7]
	v_cmp_ne_u32_e32 vcc, 2, v0
	ds_write_b64 v19, v[5:6]
	s_waitcnt lgkmcnt(0)
	; wave barrier
	s_and_saveexec_b64 s[6:7], vcc
	s_cbranch_execz .LBB66_30
; %bb.25:
	s_andn2_b64 vcc, exec, s[4:5]
	s_cbranch_vccnz .LBB66_27
; %bb.26:
	ds_read_b64 v[7:8], v19
	v_cmp_eq_u32_e32 vcc, 1, v0
	v_cndmask_b32_e32 v9, v2, v4, vcc
	v_cmp_eq_u32_e64 s[2:3], 2, v0
	v_cndmask_b32_e32 v0, v1, v3, vcc
	v_cndmask_b32_e64 v6, v9, v6, s[2:3]
	v_cndmask_b32_e64 v5, v0, v5, s[2:3]
	s_waitcnt lgkmcnt(0)
	v_mul_f64 v[5:6], v[5:6], v[7:8]
	s_cbranch_execz .LBB66_28
	s_branch .LBB66_29
.LBB66_27:
                                        ; implicit-def: $vgpr5_vgpr6
.LBB66_28:
	ds_read_b64 v[5:6], v19
.LBB66_29:
	v_mov_b32_e32 v0, 0
	ds_read2_b64 v[7:10], v0 offset0:2 offset1:5
	s_waitcnt lgkmcnt(0)
	v_fma_f64 v[9:10], v[3:4], v[9:10], v[5:6]
	v_cndmask_b32_e64 v6, v6, v10, s[0:1]
	v_cndmask_b32_e64 v5, v5, v9, s[0:1]
	v_mul_f64 v[5:6], v[5:6], v[7:8]
.LBB66_30:
	s_or_b64 exec, exec, s[6:7]
	v_mov_b32_e32 v12, v6
	v_mov_b32_e32 v11, v5
	;; [unrolled: 1-line block ×6, first 2 shown]
.LBB66_31:
	flat_store_dwordx2 v[13:14], v[7:8]
	flat_store_dwordx2 v[15:16], v[9:10]
	;; [unrolled: 1-line block ×3, first 2 shown]
.LBB66_32:
	s_endpgm
	.section	.rodata,"a",@progbits
	.p2align	6, 0x0
	.amdhsa_kernel _ZN9rocsolver6v33100L18trti2_kernel_smallILi3EdPKPdEEv13rocblas_fill_17rocblas_diagonal_T1_iil
		.amdhsa_group_segment_fixed_size 56
		.amdhsa_private_segment_fixed_size 0
		.amdhsa_kernarg_size 32
		.amdhsa_user_sgpr_count 6
		.amdhsa_user_sgpr_private_segment_buffer 1
		.amdhsa_user_sgpr_dispatch_ptr 0
		.amdhsa_user_sgpr_queue_ptr 0
		.amdhsa_user_sgpr_kernarg_segment_ptr 1
		.amdhsa_user_sgpr_dispatch_id 0
		.amdhsa_user_sgpr_flat_scratch_init 0
		.amdhsa_user_sgpr_private_segment_size 0
		.amdhsa_uses_dynamic_stack 0
		.amdhsa_system_sgpr_private_segment_wavefront_offset 0
		.amdhsa_system_sgpr_workgroup_id_x 1
		.amdhsa_system_sgpr_workgroup_id_y 0
		.amdhsa_system_sgpr_workgroup_id_z 0
		.amdhsa_system_sgpr_workgroup_info 0
		.amdhsa_system_vgpr_workitem_id 0
		.amdhsa_next_free_vgpr 25
		.amdhsa_next_free_sgpr 12
		.amdhsa_reserve_vcc 1
		.amdhsa_reserve_flat_scratch 0
		.amdhsa_float_round_mode_32 0
		.amdhsa_float_round_mode_16_64 0
		.amdhsa_float_denorm_mode_32 3
		.amdhsa_float_denorm_mode_16_64 3
		.amdhsa_dx10_clamp 1
		.amdhsa_ieee_mode 1
		.amdhsa_fp16_overflow 0
		.amdhsa_exception_fp_ieee_invalid_op 0
		.amdhsa_exception_fp_denorm_src 0
		.amdhsa_exception_fp_ieee_div_zero 0
		.amdhsa_exception_fp_ieee_overflow 0
		.amdhsa_exception_fp_ieee_underflow 0
		.amdhsa_exception_fp_ieee_inexact 0
		.amdhsa_exception_int_div_zero 0
	.end_amdhsa_kernel
	.section	.text._ZN9rocsolver6v33100L18trti2_kernel_smallILi3EdPKPdEEv13rocblas_fill_17rocblas_diagonal_T1_iil,"axG",@progbits,_ZN9rocsolver6v33100L18trti2_kernel_smallILi3EdPKPdEEv13rocblas_fill_17rocblas_diagonal_T1_iil,comdat
.Lfunc_end66:
	.size	_ZN9rocsolver6v33100L18trti2_kernel_smallILi3EdPKPdEEv13rocblas_fill_17rocblas_diagonal_T1_iil, .Lfunc_end66-_ZN9rocsolver6v33100L18trti2_kernel_smallILi3EdPKPdEEv13rocblas_fill_17rocblas_diagonal_T1_iil
                                        ; -- End function
	.set _ZN9rocsolver6v33100L18trti2_kernel_smallILi3EdPKPdEEv13rocblas_fill_17rocblas_diagonal_T1_iil.num_vgpr, 25
	.set _ZN9rocsolver6v33100L18trti2_kernel_smallILi3EdPKPdEEv13rocblas_fill_17rocblas_diagonal_T1_iil.num_agpr, 0
	.set _ZN9rocsolver6v33100L18trti2_kernel_smallILi3EdPKPdEEv13rocblas_fill_17rocblas_diagonal_T1_iil.numbered_sgpr, 12
	.set _ZN9rocsolver6v33100L18trti2_kernel_smallILi3EdPKPdEEv13rocblas_fill_17rocblas_diagonal_T1_iil.num_named_barrier, 0
	.set _ZN9rocsolver6v33100L18trti2_kernel_smallILi3EdPKPdEEv13rocblas_fill_17rocblas_diagonal_T1_iil.private_seg_size, 0
	.set _ZN9rocsolver6v33100L18trti2_kernel_smallILi3EdPKPdEEv13rocblas_fill_17rocblas_diagonal_T1_iil.uses_vcc, 1
	.set _ZN9rocsolver6v33100L18trti2_kernel_smallILi3EdPKPdEEv13rocblas_fill_17rocblas_diagonal_T1_iil.uses_flat_scratch, 0
	.set _ZN9rocsolver6v33100L18trti2_kernel_smallILi3EdPKPdEEv13rocblas_fill_17rocblas_diagonal_T1_iil.has_dyn_sized_stack, 0
	.set _ZN9rocsolver6v33100L18trti2_kernel_smallILi3EdPKPdEEv13rocblas_fill_17rocblas_diagonal_T1_iil.has_recursion, 0
	.set _ZN9rocsolver6v33100L18trti2_kernel_smallILi3EdPKPdEEv13rocblas_fill_17rocblas_diagonal_T1_iil.has_indirect_call, 0
	.section	.AMDGPU.csdata,"",@progbits
; Kernel info:
; codeLenInByte = 1100
; TotalNumSgprs: 16
; NumVgprs: 25
; ScratchSize: 0
; MemoryBound: 0
; FloatMode: 240
; IeeeMode: 1
; LDSByteSize: 56 bytes/workgroup (compile time only)
; SGPRBlocks: 1
; VGPRBlocks: 6
; NumSGPRsForWavesPerEU: 16
; NumVGPRsForWavesPerEU: 25
; Occupancy: 9
; WaveLimiterHint : 1
; COMPUTE_PGM_RSRC2:SCRATCH_EN: 0
; COMPUTE_PGM_RSRC2:USER_SGPR: 6
; COMPUTE_PGM_RSRC2:TRAP_HANDLER: 0
; COMPUTE_PGM_RSRC2:TGID_X_EN: 1
; COMPUTE_PGM_RSRC2:TGID_Y_EN: 0
; COMPUTE_PGM_RSRC2:TGID_Z_EN: 0
; COMPUTE_PGM_RSRC2:TIDIG_COMP_CNT: 0
	.section	.text._ZN9rocsolver6v33100L18trti2_kernel_smallILi4EdPKPdEEv13rocblas_fill_17rocblas_diagonal_T1_iil,"axG",@progbits,_ZN9rocsolver6v33100L18trti2_kernel_smallILi4EdPKPdEEv13rocblas_fill_17rocblas_diagonal_T1_iil,comdat
	.globl	_ZN9rocsolver6v33100L18trti2_kernel_smallILi4EdPKPdEEv13rocblas_fill_17rocblas_diagonal_T1_iil ; -- Begin function _ZN9rocsolver6v33100L18trti2_kernel_smallILi4EdPKPdEEv13rocblas_fill_17rocblas_diagonal_T1_iil
	.p2align	8
	.type	_ZN9rocsolver6v33100L18trti2_kernel_smallILi4EdPKPdEEv13rocblas_fill_17rocblas_diagonal_T1_iil,@function
_ZN9rocsolver6v33100L18trti2_kernel_smallILi4EdPKPdEEv13rocblas_fill_17rocblas_diagonal_T1_iil: ; @_ZN9rocsolver6v33100L18trti2_kernel_smallILi4EdPKPdEEv13rocblas_fill_17rocblas_diagonal_T1_iil
; %bb.0:
	v_cmp_gt_u32_e32 vcc, 4, v0
	s_and_saveexec_b64 s[0:1], vcc
	s_cbranch_execz .LBB67_56
; %bb.1:
	s_load_dwordx2 s[0:1], s[4:5], 0x10
	s_load_dwordx4 s[8:11], s[4:5], 0x0
	s_ashr_i32 s7, s6, 31
	s_lshl_b64 s[2:3], s[6:7], 3
	v_lshlrev_b32_e32 v11, 3, v0
	s_waitcnt lgkmcnt(0)
	s_ashr_i32 s5, s0, 31
	s_add_u32 s2, s10, s2
	s_addc_u32 s3, s11, s3
	s_load_dwordx2 s[2:3], s[2:3], 0x0
	s_mov_b32 s4, s0
	s_lshl_b64 s[4:5], s[4:5], 3
	v_mov_b32_e32 v9, 0
	v_mov_b32_e32 v10, 0xbff00000
	s_waitcnt lgkmcnt(0)
	s_add_u32 s0, s2, s4
	s_addc_u32 s4, s3, s5
	v_mov_b32_e32 v1, s4
	v_add_co_u32_e32 v17, vcc, s0, v11
	s_ashr_i32 s3, s1, 31
	s_mov_b32 s2, s1
	v_addc_co_u32_e32 v18, vcc, 0, v1, vcc
	s_lshl_b64 s[2:3], s[2:3], 3
	v_mov_b32_e32 v1, s3
	v_add_co_u32_e32 v19, vcc, s2, v17
	s_add_i32 s2, s1, s1
	v_addc_co_u32_e32 v20, vcc, v18, v1, vcc
	v_add_u32_e32 v1, s2, v0
	v_ashrrev_i32_e32 v2, 31, v1
	v_lshlrev_b64 v[2:3], 3, v[1:2]
	v_add_u32_e32 v1, s1, v1
	v_add_co_u32_e32 v21, vcc, s0, v2
	v_ashrrev_i32_e32 v2, 31, v1
	v_mov_b32_e32 v4, s4
	v_lshlrev_b64 v[1:2], 3, v[1:2]
	v_addc_co_u32_e32 v22, vcc, v4, v3, vcc
	v_mov_b32_e32 v3, s4
	v_add_co_u32_e32 v23, vcc, s0, v1
	v_addc_co_u32_e32 v24, vcc, v3, v2, vcc
	flat_load_dwordx2 v[1:2], v[17:18]
	flat_load_dwordx2 v[3:4], v[19:20]
	;; [unrolled: 1-line block ×4, first 2 shown]
	s_cmpk_lg_i32 s9, 0x84
	s_cselect_b64 s[10:11], -1, 0
	s_cmpk_eq_i32 s9, 0x84
	s_cbranch_scc1 .LBB67_3
; %bb.2:
	v_cmp_eq_u32_e64 s[0:1], 1, v0
	s_waitcnt vmcnt(0) lgkmcnt(0)
	v_cndmask_b32_e64 v9, v2, v4, s[0:1]
	v_cmp_eq_u32_e64 s[2:3], 2, v0
	v_cndmask_b32_e64 v9, v9, v6, s[2:3]
	v_cmp_eq_u32_e64 s[4:5], 3, v0
	v_cndmask_b32_e64 v10, v9, v8, s[4:5]
	v_cndmask_b32_e64 v9, v1, v3, s[0:1]
	;; [unrolled: 1-line block ×4, first 2 shown]
	v_div_scale_f64 v[12:13], s[6:7], v[9:10], v[9:10], 1.0
	v_rcp_f64_e32 v[14:15], v[12:13]
	v_fma_f64 v[25:26], -v[12:13], v[14:15], 1.0
	v_fma_f64 v[14:15], v[14:15], v[25:26], v[14:15]
	v_div_scale_f64 v[25:26], vcc, 1.0, v[9:10], 1.0
	v_fma_f64 v[27:28], -v[12:13], v[14:15], 1.0
	v_fma_f64 v[14:15], v[14:15], v[27:28], v[14:15]
	v_mul_f64 v[27:28], v[25:26], v[14:15]
	v_fma_f64 v[12:13], -v[12:13], v[27:28], v[25:26]
	v_div_fmas_f64 v[12:13], v[12:13], v[14:15], v[27:28]
	v_cmp_eq_u32_e32 vcc, 0, v0
	v_div_fixup_f64 v[9:10], v[12:13], v[9:10], 1.0
	v_cndmask_b32_e64 v8, v8, v10, s[4:5]
	v_cndmask_b32_e64 v7, v7, v9, s[4:5]
	;; [unrolled: 1-line block ×6, first 2 shown]
	v_cndmask_b32_e32 v2, v2, v10, vcc
	v_cndmask_b32_e32 v1, v1, v9, vcc
	v_xor_b32_e32 v10, 0x80000000, v10
.LBB67_3:
	s_cmpk_eq_i32 s8, 0x79
	v_add_u32_e32 v27, 32, v11
	ds_write_b64 v11, v[9:10]
	s_cbranch_scc1 .LBB67_7
; %bb.4:
	s_waitcnt vmcnt(0) lgkmcnt(0)
	v_mov_b32_e32 v16, v8
	v_cmp_eq_u32_e64 s[2:3], 3, v0
	v_mov_b32_e32 v15, v7
	v_mov_b32_e32 v14, v6
	v_mov_b32_e32 v13, v5
	v_mov_b32_e32 v12, v4
	v_mov_b32_e32 v11, v3
	v_mov_b32_e32 v10, v2
	v_mov_b32_e32 v9, v1
	ds_write_b64 v27, v[5:6]
	s_waitcnt lgkmcnt(0)
	; wave barrier
	s_and_saveexec_b64 s[6:7], s[2:3]
	s_cbranch_execz .LBB67_11
; %bb.5:
	s_and_b64 vcc, exec, s[10:11]
	s_cbranch_vccz .LBB67_8
; %bb.6:
	v_cmp_eq_u32_e32 vcc, 1, v0
	v_cndmask_b32_e32 v9, v2, v4, vcc
	v_cmp_eq_u32_e64 s[0:1], 2, v0
	v_cndmask_b32_e64 v11, v9, v6, s[0:1]
	ds_read_b64 v[9:10], v27
	v_cmp_eq_u32_e64 s[4:5], 3, v0
	v_cndmask_b32_e64 v12, v11, v8, s[4:5]
	v_cndmask_b32_e32 v11, v1, v3, vcc
	v_cndmask_b32_e64 v11, v11, v5, s[0:1]
	v_cndmask_b32_e64 v11, v11, v7, s[4:5]
	s_waitcnt lgkmcnt(0)
	v_mul_f64 v[9:10], v[11:12], v[9:10]
	s_cbranch_execz .LBB67_9
	s_branch .LBB67_10
.LBB67_7:
                                        ; implicit-def: $vgpr9_vgpr10_vgpr11_vgpr12_vgpr13_vgpr14_vgpr15_vgpr16
	s_cbranch_execnz .LBB67_34
	s_branch .LBB67_55
.LBB67_8:
                                        ; implicit-def: $vgpr9_vgpr10
.LBB67_9:
	ds_read_b64 v[9:10], v27
.LBB67_10:
	v_mov_b32_e32 v11, 0
	ds_read_b64 v[11:12], v11 offset:16
	s_waitcnt lgkmcnt(0)
	v_mul_f64 v[25:26], v[9:10], v[11:12]
	v_mov_b32_e32 v16, v8
	v_mov_b32_e32 v14, v6
	;; [unrolled: 1-line block ×10, first 2 shown]
.LBB67_11:
	s_or_b64 exec, exec, s[6:7]
	v_cmp_lt_u32_e64 s[0:1], 1, v0
	ds_write_b64 v27, v[11:12]
	s_waitcnt lgkmcnt(0)
	; wave barrier
	s_and_saveexec_b64 s[8:9], s[0:1]
	s_cbranch_execz .LBB67_17
; %bb.12:
	s_andn2_b64 vcc, exec, s[10:11]
	s_cbranch_vccnz .LBB67_14
; %bb.13:
	ds_read_b64 v[25:26], v27
	v_cmp_eq_u32_e32 vcc, 1, v0
	v_cndmask_b32_e32 v12, v10, v12, vcc
	v_cmp_eq_u32_e64 s[4:5], 2, v0
	v_cndmask_b32_e32 v11, v9, v11, vcc
	v_cndmask_b32_e64 v12, v12, v14, s[4:5]
	v_cmp_eq_u32_e64 s[6:7], 3, v0
	v_cndmask_b32_e64 v11, v11, v13, s[4:5]
	v_cndmask_b32_e64 v12, v12, v16, s[6:7]
	;; [unrolled: 1-line block ×3, first 2 shown]
	s_waitcnt lgkmcnt(0)
	v_mul_f64 v[11:12], v[11:12], v[25:26]
	s_cbranch_execz .LBB67_15
	s_branch .LBB67_16
.LBB67_14:
                                        ; implicit-def: $vgpr11_vgpr12
.LBB67_15:
	ds_read_b64 v[11:12], v27
.LBB67_16:
	v_mov_b32_e32 v25, 0
	ds_read2_b64 v[28:31], v25 offset0:1 offset1:6
	s_waitcnt lgkmcnt(0)
	v_fma_f64 v[25:26], v[13:14], v[30:31], v[11:12]
	v_cndmask_b32_e64 v12, v12, v26, s[2:3]
	v_cndmask_b32_e64 v11, v11, v25, s[2:3]
	v_mul_f64 v[11:12], v[11:12], v[28:29]
.LBB67_17:
	s_or_b64 exec, exec, s[8:9]
	v_cmp_ne_u32_e32 vcc, 0, v0
	ds_write_b64 v27, v[9:10]
	s_waitcnt lgkmcnt(0)
	; wave barrier
	s_and_saveexec_b64 s[6:7], vcc
	s_cbranch_execz .LBB67_33
; %bb.18:
	s_andn2_b64 vcc, exec, s[10:11]
	s_cbranch_vccnz .LBB67_20
; %bb.19:
	v_cmp_eq_u32_e32 vcc, 1, v0
	v_cndmask_b32_e32 v25, v10, v12, vcc
	v_cmp_eq_u32_e64 s[2:3], 2, v0
	v_cndmask_b32_e64 v28, v25, v14, s[2:3]
	ds_read_b64 v[25:26], v27
	v_cmp_eq_u32_e64 s[4:5], 3, v0
	v_cndmask_b32_e64 v29, v28, v16, s[4:5]
	v_cndmask_b32_e32 v28, v9, v11, vcc
	v_cndmask_b32_e64 v28, v28, v13, s[2:3]
	v_cndmask_b32_e64 v28, v28, v15, s[4:5]
	s_waitcnt lgkmcnt(0)
	v_mul_f64 v[25:26], v[28:29], v[25:26]
	s_cbranch_execz .LBB67_21
	s_branch .LBB67_22
.LBB67_20:
                                        ; implicit-def: $vgpr25_vgpr26
.LBB67_21:
	ds_read_b64 v[25:26], v27
.LBB67_22:
	s_and_saveexec_b64 s[2:3], s[0:1]
	s_cbranch_execz .LBB67_32
; %bb.23:
	v_add_u32_e32 v29, -2, v0
	v_add_u32_e32 v28, -1, v0
	v_cmp_lt_u32_e32 vcc, 6, v29
	v_mov_b32_e32 v30, 1
	s_and_saveexec_b64 s[4:5], vcc
	s_cbranch_execz .LBB67_27
; %bb.24:
	v_and_b32_e32 v29, -8, v28
	v_sub_u32_e32 v29, 0, v29
	s_mov_b64 s[8:9], 8
	s_mov_b32 s14, 40
	s_mov_b64 s[12:13], 0
.LBB67_25:                              ; =>This Inner Loop Header: Depth=1
	s_add_i32 s15, s8, -7
	s_cmp_eq_u32 s15, 1
	s_cselect_b64 vcc, -1, 0
	s_cmp_eq_u32 s15, 2
	v_mov_b32_e32 v42, s14
	v_cndmask_b32_e32 v46, v10, v12, vcc
	s_cselect_b64 s[0:1], -1, 0
	s_cmp_eq_u32 s15, 3
	v_cndmask_b32_e32 v47, v9, v11, vcc
	ds_read2_b64 v[30:33], v42 offset1:1
	ds_read2_b64 v[34:37], v42 offset0:2 offset1:3
	ds_read2_b64 v[38:41], v42 offset0:4 offset1:5
	;; [unrolled: 1-line block ×3, first 2 shown]
	v_cndmask_b32_e64 v46, v46, v14, s[0:1]
	s_cselect_b64 vcc, -1, 0
	v_cndmask_b32_e64 v48, v47, v13, s[0:1]
	v_cndmask_b32_e32 v47, v46, v16, vcc
	v_cndmask_b32_e32 v46, v48, v15, vcc
	s_waitcnt lgkmcnt(3)
	v_fma_f64 v[25:26], v[46:47], v[30:31], v[25:26]
	s_add_i32 s15, s8, -6
	s_cmp_eq_u32 s15, 1
	s_cselect_b64 vcc, -1, 0
	s_cmp_eq_u32 s15, 2
	v_cndmask_b32_e32 v30, v10, v12, vcc
	s_cselect_b64 s[0:1], -1, 0
	s_cmp_eq_u32 s15, 3
	v_cndmask_b32_e32 v31, v9, v11, vcc
	v_cndmask_b32_e64 v30, v30, v14, s[0:1]
	s_cselect_b64 vcc, -1, 0
	v_cndmask_b32_e64 v46, v31, v13, s[0:1]
	v_cndmask_b32_e32 v31, v30, v16, vcc
	v_cndmask_b32_e32 v30, v46, v15, vcc
	v_fma_f64 v[25:26], v[30:31], v[32:33], v[25:26]
	s_add_i32 s15, s8, -5
	s_cmp_eq_u32 s15, 1
	s_cselect_b64 vcc, -1, 0
	s_cmp_eq_u32 s15, 2
	v_cndmask_b32_e32 v46, v10, v12, vcc
	s_cselect_b64 s[0:1], -1, 0
	s_cmp_eq_u32 s15, 3
	v_cndmask_b32_e32 v47, v9, v11, vcc
	v_cndmask_b32_e64 v46, v46, v14, s[0:1]
	s_cselect_b64 vcc, -1, 0
	v_cndmask_b32_e64 v48, v47, v13, s[0:1]
	v_cndmask_b32_e32 v47, v46, v16, vcc
	v_cndmask_b32_e32 v46, v48, v15, vcc
	s_waitcnt lgkmcnt(2)
	v_fma_f64 v[25:26], v[46:47], v[34:35], v[25:26]
	s_add_i32 s15, s8, -4
	s_cmp_eq_u32 s15, 1
	s_cselect_b64 vcc, -1, 0
	s_cmp_eq_u32 s15, 2
	v_cndmask_b32_e32 v30, v10, v12, vcc
	s_cselect_b64 s[0:1], -1, 0
	s_cmp_eq_u32 s15, 3
	v_cndmask_b32_e32 v31, v9, v11, vcc
	v_cndmask_b32_e64 v30, v30, v14, s[0:1]
	s_cselect_b64 vcc, -1, 0
	v_cndmask_b32_e64 v32, v31, v13, s[0:1]
	v_cndmask_b32_e32 v31, v30, v16, vcc
	v_cndmask_b32_e32 v30, v32, v15, vcc
	v_fma_f64 v[25:26], v[30:31], v[36:37], v[25:26]
	s_add_i32 s15, s8, -3
	s_cmp_eq_u32 s15, 1
	s_cselect_b64 vcc, -1, 0
	s_cmp_eq_u32 s15, 2
	v_cndmask_b32_e32 v32, v10, v12, vcc
	s_cselect_b64 s[0:1], -1, 0
	s_cmp_eq_u32 s15, 3
	v_cndmask_b32_e32 v33, v9, v11, vcc
	;; [unrolled: 29-line block ×3, first 2 shown]
	v_cndmask_b32_e64 v33, v34, v14, s[0:1]
	s_cselect_b64 vcc, -1, 0
	v_cndmask_b32_e64 v32, v32, v13, s[0:1]
	v_cndmask_b32_e32 v31, v33, v16, vcc
	v_cndmask_b32_e32 v30, v32, v15, vcc
	s_waitcnt lgkmcnt(0)
	v_fma_f64 v[25:26], v[30:31], v[42:43], v[25:26]
	s_cmp_eq_u32 s8, 1
	s_cselect_b64 vcc, -1, 0
	s_cmp_eq_u32 s8, 2
	v_cndmask_b32_e32 v32, v10, v12, vcc
	s_cselect_b64 s[0:1], -1, 0
	s_cmp_eq_u32 s8, 3
	v_cndmask_b32_e32 v30, v9, v11, vcc
	v_cndmask_b32_e64 v31, v32, v14, s[0:1]
	s_cselect_b64 vcc, -1, 0
	v_cndmask_b32_e64 v30, v30, v13, s[0:1]
	v_cndmask_b32_e32 v31, v31, v16, vcc
	v_cndmask_b32_e32 v30, v30, v15, vcc
	v_fma_f64 v[25:26], v[30:31], v[44:45], v[25:26]
	s_add_u32 s8, s8, 8
	v_add_u32_e32 v30, s8, v29
	s_addc_u32 s9, s9, 0
	s_add_i32 s14, s14, 64
	s_add_i32 s0, s8, -7
	v_cmp_eq_u32_e32 vcc, 8, v30
	s_or_b64 s[12:13], vcc, s[12:13]
	v_mov_b32_e32 v30, s0
	s_andn2_b64 exec, exec, s[12:13]
	s_cbranch_execnz .LBB67_25
; %bb.26:
	s_or_b64 exec, exec, s[12:13]
.LBB67_27:
	s_or_b64 exec, exec, s[4:5]
	v_and_b32_e32 v28, 7, v28
	v_cmp_ne_u32_e32 vcc, 0, v28
	s_and_saveexec_b64 s[4:5], vcc
	s_cbranch_execz .LBB67_31
; %bb.28:
	v_lshl_add_u32 v29, v30, 3, 32
	v_mov_b32_e32 v31, 0
	s_mov_b64 s[8:9], 0
.LBB67_29:                              ; =>This Inner Loop Header: Depth=1
	v_cmp_eq_u32_e32 vcc, 1, v30
	ds_read_b64 v[32:33], v29
	v_cndmask_b32_e32 v34, v10, v12, vcc
	v_cmp_eq_u32_e64 s[0:1], 2, v30
	v_cndmask_b32_e64 v34, v34, v14, s[0:1]
	v_cndmask_b32_e32 v36, v9, v11, vcc
	v_cmp_eq_u32_e32 vcc, 3, v30
	v_cndmask_b32_e32 v35, v34, v16, vcc
	v_cndmask_b32_e64 v34, v36, v13, s[0:1]
	v_cndmask_b32_e32 v34, v34, v15, vcc
	s_waitcnt lgkmcnt(0)
	v_fma_f64 v[25:26], v[34:35], v[32:33], v[25:26]
	v_add_u32_e32 v28, -1, v28
	v_add_co_u32_e32 v30, vcc, 1, v30
	v_cmp_eq_u32_e64 s[0:1], 0, v28
	v_add_u32_e32 v29, 8, v29
	s_or_b64 s[8:9], s[0:1], s[8:9]
	v_addc_co_u32_e32 v31, vcc, 0, v31, vcc
	s_andn2_b64 exec, exec, s[8:9]
	s_cbranch_execnz .LBB67_29
; %bb.30:
	s_or_b64 exec, exec, s[8:9]
.LBB67_31:
	s_or_b64 exec, exec, s[4:5]
.LBB67_32:
	s_or_b64 exec, exec, s[2:3]
	v_mov_b32_e32 v9, 0
	ds_read_b64 v[9:10], v9
	s_waitcnt lgkmcnt(0)
	v_mul_f64 v[9:10], v[25:26], v[9:10]
.LBB67_33:
	s_or_b64 exec, exec, s[6:7]
	s_branch .LBB67_55
.LBB67_34:
	v_cmp_eq_u32_e64 s[0:1], 0, v0
	s_waitcnt vmcnt(0) lgkmcnt(0)
	ds_write_b64 v27, v[3:4]
	s_waitcnt lgkmcnt(0)
	; wave barrier
	s_and_saveexec_b64 s[6:7], s[0:1]
	s_cbranch_execz .LBB67_40
; %bb.35:
	s_and_b64 vcc, exec, s[10:11]
	s_cbranch_vccz .LBB67_37
; %bb.36:
	ds_read_b64 v[9:10], v27
	v_cmp_eq_u32_e32 vcc, 1, v0
	v_cndmask_b32_e32 v4, v2, v4, vcc
	v_cmp_eq_u32_e64 s[2:3], 2, v0
	v_cndmask_b32_e32 v3, v1, v3, vcc
	v_cndmask_b32_e64 v4, v4, v6, s[2:3]
	v_cmp_eq_u32_e64 s[4:5], 3, v0
	v_cndmask_b32_e64 v3, v3, v5, s[2:3]
	v_cndmask_b32_e64 v4, v4, v8, s[4:5]
	;; [unrolled: 1-line block ×3, first 2 shown]
	s_waitcnt lgkmcnt(0)
	v_mul_f64 v[3:4], v[3:4], v[9:10]
	s_cbranch_execz .LBB67_38
	s_branch .LBB67_39
.LBB67_37:
                                        ; implicit-def: $vgpr3_vgpr4
.LBB67_38:
	ds_read_b64 v[3:4], v27
.LBB67_39:
	v_mov_b32_e32 v9, 0
	ds_read_b64 v[9:10], v9 offset:8
	s_waitcnt lgkmcnt(0)
	v_mul_f64 v[3:4], v[3:4], v[9:10]
.LBB67_40:
	s_or_b64 exec, exec, s[6:7]
	v_cndmask_b32_e64 v9, 0, 1, s[10:11]
	v_cmp_gt_u32_e64 s[2:3], 2, v0
	v_cmp_ne_u32_e64 s[4:5], 1, v9
	ds_write_b64 v27, v[5:6]
	s_waitcnt lgkmcnt(0)
	; wave barrier
	s_and_saveexec_b64 s[10:11], s[2:3]
	s_cbranch_execz .LBB67_46
; %bb.41:
	s_and_b64 vcc, exec, s[4:5]
	s_cbranch_vccnz .LBB67_43
; %bb.42:
	v_cmp_eq_u32_e32 vcc, 1, v0
	v_cndmask_b32_e32 v9, v2, v4, vcc
	v_cmp_eq_u32_e64 s[6:7], 2, v0
	v_cndmask_b32_e64 v6, v9, v6, s[6:7]
	ds_read_b64 v[9:10], v27
	v_cndmask_b32_e32 v11, v1, v3, vcc
	v_cmp_eq_u32_e64 s[8:9], 3, v0
	v_cndmask_b32_e64 v5, v11, v5, s[6:7]
	v_cndmask_b32_e64 v6, v6, v8, s[8:9]
	;; [unrolled: 1-line block ×3, first 2 shown]
	s_waitcnt lgkmcnt(0)
	v_mul_f64 v[5:6], v[5:6], v[9:10]
	s_cbranch_execz .LBB67_44
	s_branch .LBB67_45
.LBB67_43:
                                        ; implicit-def: $vgpr5_vgpr6
.LBB67_44:
	ds_read_b64 v[5:6], v27
.LBB67_45:
	v_mov_b32_e32 v9, 0
	ds_read2_b64 v[9:12], v9 offset0:2 offset1:5
	s_waitcnt lgkmcnt(0)
	v_fma_f64 v[11:12], v[3:4], v[11:12], v[5:6]
	v_cndmask_b32_e64 v6, v6, v12, s[0:1]
	v_cndmask_b32_e64 v5, v5, v11, s[0:1]
	v_mul_f64 v[5:6], v[5:6], v[9:10]
.LBB67_46:
	s_or_b64 exec, exec, s[10:11]
	v_cmp_ne_u32_e32 vcc, 3, v0
	ds_write_b64 v27, v[7:8]
	s_waitcnt lgkmcnt(0)
	; wave barrier
	s_and_saveexec_b64 s[8:9], vcc
	s_cbranch_execz .LBB67_54
; %bb.47:
	s_and_b64 vcc, exec, s[4:5]
	s_cbranch_vccnz .LBB67_49
; %bb.48:
	v_cmp_eq_u32_e32 vcc, 1, v0
	v_cndmask_b32_e32 v9, v2, v4, vcc
	v_cmp_eq_u32_e64 s[4:5], 2, v0
	v_cndmask_b32_e64 v11, v9, v6, s[4:5]
	ds_read_b64 v[9:10], v27
	v_cmp_eq_u32_e64 s[6:7], 3, v0
	v_cndmask_b32_e64 v12, v11, v8, s[6:7]
	v_cndmask_b32_e32 v11, v1, v3, vcc
	v_cndmask_b32_e64 v11, v11, v5, s[4:5]
	v_cndmask_b32_e64 v11, v11, v7, s[6:7]
	s_waitcnt lgkmcnt(0)
	v_mul_f64 v[9:10], v[11:12], v[9:10]
	s_cbranch_execz .LBB67_50
	s_branch .LBB67_51
.LBB67_49:
                                        ; implicit-def: $vgpr9_vgpr10
.LBB67_50:
	ds_read_b64 v[9:10], v27
.LBB67_51:
	s_and_saveexec_b64 s[6:7], s[2:3]
	s_cbranch_execz .LBB67_53
; %bb.52:
	v_add_u32_e32 v0, 1, v0
	v_cmp_eq_u32_e32 vcc, 1, v0
	v_cndmask_b32_e32 v11, v2, v4, vcc
	v_cmp_eq_u32_e64 s[2:3], 2, v0
	v_cndmask_b32_e64 v11, v11, v6, s[2:3]
	v_cmp_eq_u32_e64 s[4:5], 3, v0
	v_cndmask_b32_e64 v8, v11, v8, s[4:5]
	ds_read_b64 v[11:12], v27 offset:8
	v_cndmask_b32_e32 v0, v1, v3, vcc
	v_cndmask_b32_e64 v0, v0, v5, s[2:3]
	v_cndmask_b32_e64 v7, v0, v7, s[4:5]
	v_mov_b32_e32 v0, 0
	ds_read_b64 v[13:14], v0 offset:48
	s_waitcnt lgkmcnt(1)
	v_fma_f64 v[7:8], v[7:8], v[11:12], v[9:10]
	s_waitcnt lgkmcnt(0)
	v_fma_f64 v[9:10], v[5:6], v[13:14], v[7:8]
	v_cndmask_b32_e64 v10, v8, v10, s[0:1]
	v_cndmask_b32_e64 v9, v7, v9, s[0:1]
.LBB67_53:
	s_or_b64 exec, exec, s[6:7]
	v_mov_b32_e32 v0, 0
	ds_read_b64 v[7:8], v0 offset:24
	s_waitcnt lgkmcnt(0)
	v_mul_f64 v[7:8], v[9:10], v[7:8]
.LBB67_54:
	s_or_b64 exec, exec, s[8:9]
	v_mov_b32_e32 v16, v8
	v_mov_b32_e32 v15, v7
	;; [unrolled: 1-line block ×8, first 2 shown]
.LBB67_55:
	flat_store_dwordx2 v[17:18], v[9:10]
	flat_store_dwordx2 v[19:20], v[11:12]
	;; [unrolled: 1-line block ×4, first 2 shown]
.LBB67_56:
	s_endpgm
	.section	.rodata,"a",@progbits
	.p2align	6, 0x0
	.amdhsa_kernel _ZN9rocsolver6v33100L18trti2_kernel_smallILi4EdPKPdEEv13rocblas_fill_17rocblas_diagonal_T1_iil
		.amdhsa_group_segment_fixed_size 64
		.amdhsa_private_segment_fixed_size 0
		.amdhsa_kernarg_size 32
		.amdhsa_user_sgpr_count 6
		.amdhsa_user_sgpr_private_segment_buffer 1
		.amdhsa_user_sgpr_dispatch_ptr 0
		.amdhsa_user_sgpr_queue_ptr 0
		.amdhsa_user_sgpr_kernarg_segment_ptr 1
		.amdhsa_user_sgpr_dispatch_id 0
		.amdhsa_user_sgpr_flat_scratch_init 0
		.amdhsa_user_sgpr_private_segment_size 0
		.amdhsa_uses_dynamic_stack 0
		.amdhsa_system_sgpr_private_segment_wavefront_offset 0
		.amdhsa_system_sgpr_workgroup_id_x 1
		.amdhsa_system_sgpr_workgroup_id_y 0
		.amdhsa_system_sgpr_workgroup_id_z 0
		.amdhsa_system_sgpr_workgroup_info 0
		.amdhsa_system_vgpr_workitem_id 0
		.amdhsa_next_free_vgpr 49
		.amdhsa_next_free_sgpr 16
		.amdhsa_reserve_vcc 1
		.amdhsa_reserve_flat_scratch 0
		.amdhsa_float_round_mode_32 0
		.amdhsa_float_round_mode_16_64 0
		.amdhsa_float_denorm_mode_32 3
		.amdhsa_float_denorm_mode_16_64 3
		.amdhsa_dx10_clamp 1
		.amdhsa_ieee_mode 1
		.amdhsa_fp16_overflow 0
		.amdhsa_exception_fp_ieee_invalid_op 0
		.amdhsa_exception_fp_denorm_src 0
		.amdhsa_exception_fp_ieee_div_zero 0
		.amdhsa_exception_fp_ieee_overflow 0
		.amdhsa_exception_fp_ieee_underflow 0
		.amdhsa_exception_fp_ieee_inexact 0
		.amdhsa_exception_int_div_zero 0
	.end_amdhsa_kernel
	.section	.text._ZN9rocsolver6v33100L18trti2_kernel_smallILi4EdPKPdEEv13rocblas_fill_17rocblas_diagonal_T1_iil,"axG",@progbits,_ZN9rocsolver6v33100L18trti2_kernel_smallILi4EdPKPdEEv13rocblas_fill_17rocblas_diagonal_T1_iil,comdat
.Lfunc_end67:
	.size	_ZN9rocsolver6v33100L18trti2_kernel_smallILi4EdPKPdEEv13rocblas_fill_17rocblas_diagonal_T1_iil, .Lfunc_end67-_ZN9rocsolver6v33100L18trti2_kernel_smallILi4EdPKPdEEv13rocblas_fill_17rocblas_diagonal_T1_iil
                                        ; -- End function
	.set _ZN9rocsolver6v33100L18trti2_kernel_smallILi4EdPKPdEEv13rocblas_fill_17rocblas_diagonal_T1_iil.num_vgpr, 49
	.set _ZN9rocsolver6v33100L18trti2_kernel_smallILi4EdPKPdEEv13rocblas_fill_17rocblas_diagonal_T1_iil.num_agpr, 0
	.set _ZN9rocsolver6v33100L18trti2_kernel_smallILi4EdPKPdEEv13rocblas_fill_17rocblas_diagonal_T1_iil.numbered_sgpr, 16
	.set _ZN9rocsolver6v33100L18trti2_kernel_smallILi4EdPKPdEEv13rocblas_fill_17rocblas_diagonal_T1_iil.num_named_barrier, 0
	.set _ZN9rocsolver6v33100L18trti2_kernel_smallILi4EdPKPdEEv13rocblas_fill_17rocblas_diagonal_T1_iil.private_seg_size, 0
	.set _ZN9rocsolver6v33100L18trti2_kernel_smallILi4EdPKPdEEv13rocblas_fill_17rocblas_diagonal_T1_iil.uses_vcc, 1
	.set _ZN9rocsolver6v33100L18trti2_kernel_smallILi4EdPKPdEEv13rocblas_fill_17rocblas_diagonal_T1_iil.uses_flat_scratch, 0
	.set _ZN9rocsolver6v33100L18trti2_kernel_smallILi4EdPKPdEEv13rocblas_fill_17rocblas_diagonal_T1_iil.has_dyn_sized_stack, 0
	.set _ZN9rocsolver6v33100L18trti2_kernel_smallILi4EdPKPdEEv13rocblas_fill_17rocblas_diagonal_T1_iil.has_recursion, 0
	.set _ZN9rocsolver6v33100L18trti2_kernel_smallILi4EdPKPdEEv13rocblas_fill_17rocblas_diagonal_T1_iil.has_indirect_call, 0
	.section	.AMDGPU.csdata,"",@progbits
; Kernel info:
; codeLenInByte = 2640
; TotalNumSgprs: 20
; NumVgprs: 49
; ScratchSize: 0
; MemoryBound: 0
; FloatMode: 240
; IeeeMode: 1
; LDSByteSize: 64 bytes/workgroup (compile time only)
; SGPRBlocks: 2
; VGPRBlocks: 12
; NumSGPRsForWavesPerEU: 20
; NumVGPRsForWavesPerEU: 49
; Occupancy: 4
; WaveLimiterHint : 1
; COMPUTE_PGM_RSRC2:SCRATCH_EN: 0
; COMPUTE_PGM_RSRC2:USER_SGPR: 6
; COMPUTE_PGM_RSRC2:TRAP_HANDLER: 0
; COMPUTE_PGM_RSRC2:TGID_X_EN: 1
; COMPUTE_PGM_RSRC2:TGID_Y_EN: 0
; COMPUTE_PGM_RSRC2:TGID_Z_EN: 0
; COMPUTE_PGM_RSRC2:TIDIG_COMP_CNT: 0
	.section	.text._ZN9rocsolver6v33100L18trti2_kernel_smallILi5EdPKPdEEv13rocblas_fill_17rocblas_diagonal_T1_iil,"axG",@progbits,_ZN9rocsolver6v33100L18trti2_kernel_smallILi5EdPKPdEEv13rocblas_fill_17rocblas_diagonal_T1_iil,comdat
	.globl	_ZN9rocsolver6v33100L18trti2_kernel_smallILi5EdPKPdEEv13rocblas_fill_17rocblas_diagonal_T1_iil ; -- Begin function _ZN9rocsolver6v33100L18trti2_kernel_smallILi5EdPKPdEEv13rocblas_fill_17rocblas_diagonal_T1_iil
	.p2align	8
	.type	_ZN9rocsolver6v33100L18trti2_kernel_smallILi5EdPKPdEEv13rocblas_fill_17rocblas_diagonal_T1_iil,@function
_ZN9rocsolver6v33100L18trti2_kernel_smallILi5EdPKPdEEv13rocblas_fill_17rocblas_diagonal_T1_iil: ; @_ZN9rocsolver6v33100L18trti2_kernel_smallILi5EdPKPdEEv13rocblas_fill_17rocblas_diagonal_T1_iil
; %bb.0:
	v_cmp_gt_u32_e32 vcc, 5, v0
	s_and_saveexec_b64 s[0:1], vcc
	s_cbranch_execz .LBB68_82
; %bb.1:
	s_load_dwordx2 s[0:1], s[4:5], 0x10
	s_load_dwordx4 s[8:11], s[4:5], 0x0
	s_ashr_i32 s7, s6, 31
	s_lshl_b64 s[2:3], s[6:7], 3
	v_lshlrev_b32_e32 v19, 3, v0
	s_waitcnt lgkmcnt(0)
	s_ashr_i32 s5, s0, 31
	s_add_u32 s2, s10, s2
	s_addc_u32 s3, s11, s3
	s_load_dwordx2 s[2:3], s[2:3], 0x0
	s_mov_b32 s4, s0
	s_lshl_b64 s[4:5], s[4:5], 3
	v_mov_b32_e32 v17, 0
	v_mov_b32_e32 v18, 0xbff00000
	s_waitcnt lgkmcnt(0)
	s_add_u32 s0, s2, s4
	s_addc_u32 s4, s3, s5
	v_mov_b32_e32 v1, s4
	v_add_co_u32_e32 v33, vcc, s0, v19
	s_ashr_i32 s3, s1, 31
	s_mov_b32 s2, s1
	v_addc_co_u32_e32 v34, vcc, 0, v1, vcc
	s_lshl_b64 s[2:3], s[2:3], 3
	v_mov_b32_e32 v1, s3
	v_add_co_u32_e32 v35, vcc, s2, v33
	s_add_i32 s2, s1, s1
	v_addc_co_u32_e32 v36, vcc, v34, v1, vcc
	v_add_u32_e32 v1, s2, v0
	v_ashrrev_i32_e32 v2, 31, v1
	v_lshlrev_b64 v[2:3], 3, v[1:2]
	v_add_u32_e32 v1, s1, v1
	v_mov_b32_e32 v4, s4
	v_add_co_u32_e32 v37, vcc, s0, v2
	v_ashrrev_i32_e32 v2, 31, v1
	v_addc_co_u32_e32 v38, vcc, v4, v3, vcc
	v_lshlrev_b64 v[2:3], 3, v[1:2]
	v_add_u32_e32 v1, s1, v1
	v_add_co_u32_e32 v39, vcc, s0, v2
	v_ashrrev_i32_e32 v2, 31, v1
	v_lshlrev_b64 v[1:2], 3, v[1:2]
	v_addc_co_u32_e32 v40, vcc, v4, v3, vcc
	v_mov_b32_e32 v3, s4
	v_add_co_u32_e32 v41, vcc, s0, v1
	v_addc_co_u32_e32 v42, vcc, v3, v2, vcc
	flat_load_dwordx2 v[1:2], v[33:34]
	flat_load_dwordx2 v[3:4], v[35:36]
	;; [unrolled: 1-line block ×5, first 2 shown]
	s_cmpk_lg_i32 s9, 0x84
	s_cselect_b64 s[10:11], -1, 0
	s_cmpk_eq_i32 s9, 0x84
	v_mov_b32_e32 v43, 0
	s_cbranch_scc1 .LBB68_3
; %bb.2:
	v_cmp_eq_u32_e64 s[0:1], 1, v0
	s_waitcnt vmcnt(0) lgkmcnt(0)
	v_cndmask_b32_e64 v11, v2, v4, s[0:1]
	v_cmp_eq_u32_e64 s[2:3], 2, v0
	v_cndmask_b32_e64 v11, v11, v6, s[2:3]
	v_cmp_eq_u32_e64 s[4:5], 3, v0
	v_cndmask_b32_e64 v11, v11, v8, s[4:5]
	v_cmp_eq_u32_e64 s[6:7], 4, v0
	v_cndmask_b32_e64 v12, v11, v10, s[6:7]
	v_cndmask_b32_e64 v11, v1, v3, s[0:1]
	;; [unrolled: 1-line block ×5, first 2 shown]
	v_div_scale_f64 v[13:14], s[12:13], v[11:12], v[11:12], 1.0
	v_rcp_f64_e32 v[15:16], v[13:14]
	v_fma_f64 v[17:18], -v[13:14], v[15:16], 1.0
	v_fma_f64 v[15:16], v[15:16], v[17:18], v[15:16]
	v_div_scale_f64 v[17:18], vcc, 1.0, v[11:12], 1.0
	v_fma_f64 v[20:21], -v[13:14], v[15:16], 1.0
	v_fma_f64 v[15:16], v[15:16], v[20:21], v[15:16]
	v_mul_f64 v[20:21], v[17:18], v[15:16]
	v_fma_f64 v[13:14], -v[13:14], v[20:21], v[17:18]
	v_div_fmas_f64 v[13:14], v[13:14], v[15:16], v[20:21]
	v_cmp_eq_u32_e32 vcc, 0, v0
	v_div_fixup_f64 v[17:18], v[13:14], v[11:12], 1.0
	v_cndmask_b32_e64 v10, v10, v18, s[6:7]
	v_cndmask_b32_e64 v9, v9, v17, s[6:7]
	;; [unrolled: 1-line block ×8, first 2 shown]
	v_cndmask_b32_e32 v2, v2, v18, vcc
	v_cndmask_b32_e32 v1, v1, v17, vcc
	v_xor_b32_e32 v18, 0x80000000, v18
.LBB68_3:
	s_cmpk_eq_i32 s8, 0x79
	v_add_u32_e32 v44, 48, v19
	ds_write_b64 v19, v[17:18]
	s_cbranch_scc1 .LBB68_7
; %bb.4:
	s_waitcnt vmcnt(0) lgkmcnt(0)
	v_mov_b32_e32 v32, v16
	v_mov_b32_e32 v26, v10
	;; [unrolled: 1-line block ×11, first 2 shown]
	v_cmp_eq_u32_e64 s[0:1], 4, v0
	ds_write_b64 v44, v[7:8]
	s_waitcnt lgkmcnt(0)
	; wave barrier
	v_mov_b32_e32 v31, v15
	v_mov_b32_e32 v30, v14
	;; [unrolled: 1-line block ×5, first 2 shown]
	s_and_saveexec_b64 s[8:9], s[0:1]
	s_cbranch_execz .LBB68_11
; %bb.5:
	s_and_b64 vcc, exec, s[10:11]
	s_cbranch_vccz .LBB68_8
; %bb.6:
	v_cmp_eq_u32_e32 vcc, 1, v0
	v_cndmask_b32_e32 v17, v2, v4, vcc
	v_cmp_eq_u32_e64 s[2:3], 2, v0
	v_cndmask_b32_e64 v17, v17, v6, s[2:3]
	v_cmp_eq_u32_e64 s[4:5], 3, v0
	v_cndmask_b32_e64 v17, v17, v8, s[4:5]
	v_cmp_eq_u32_e64 s[6:7], 4, v0
	ds_read_b64 v[19:20], v44
	v_cndmask_b32_e64 v18, v17, v10, s[6:7]
	v_cndmask_b32_e32 v17, v1, v3, vcc
	v_cndmask_b32_e64 v17, v17, v5, s[2:3]
	v_cndmask_b32_e64 v17, v17, v7, s[4:5]
	;; [unrolled: 1-line block ×3, first 2 shown]
	s_waitcnt lgkmcnt(0)
	v_mul_f64 v[17:18], v[17:18], v[19:20]
	s_cbranch_execz .LBB68_9
	s_branch .LBB68_10
.LBB68_7:
                                        ; implicit-def: $vgpr17_vgpr18_vgpr19_vgpr20_vgpr21_vgpr22_vgpr23_vgpr24_vgpr25_vgpr26_vgpr27_vgpr28_vgpr29_vgpr30_vgpr31_vgpr32
	s_cbranch_execnz .LBB68_50
	s_branch .LBB68_81
.LBB68_8:
                                        ; implicit-def: $vgpr17_vgpr18
.LBB68_9:
	ds_read_b64 v[17:18], v44
.LBB68_10:
	v_mov_b32_e32 v19, 0
	ds_read_b64 v[19:20], v19 offset:24
	v_mov_b32_e32 v21, v5
	v_mov_b32_e32 v22, v6
	;; [unrolled: 1-line block ×4, first 2 shown]
	s_waitcnt lgkmcnt(0)
	v_mul_f64 v[23:24], v[17:18], v[19:20]
	v_mov_b32_e32 v17, v1
	v_mov_b32_e32 v18, v2
	;; [unrolled: 1-line block ×4, first 2 shown]
.LBB68_11:
	s_or_b64 exec, exec, s[8:9]
	v_cmp_lt_u32_e64 s[2:3], 2, v0
	ds_write_b64 v44, v[21:22]
	s_waitcnt lgkmcnt(0)
	; wave barrier
	s_and_saveexec_b64 s[12:13], s[2:3]
	s_cbranch_execz .LBB68_17
; %bb.12:
	s_andn2_b64 vcc, exec, s[10:11]
	s_cbranch_vccnz .LBB68_14
; %bb.13:
	v_cmp_eq_u32_e32 vcc, 1, v0
	v_cndmask_b32_e32 v27, v18, v20, vcc
	v_cmp_eq_u32_e64 s[4:5], 2, v0
	v_cndmask_b32_e64 v22, v27, v22, s[4:5]
	ds_read_b64 v[27:28], v44
	v_cndmask_b32_e32 v29, v17, v19, vcc
	v_cmp_eq_u32_e64 s[6:7], 3, v0
	v_cndmask_b32_e64 v21, v29, v21, s[4:5]
	v_cndmask_b32_e64 v22, v22, v24, s[6:7]
	v_cmp_eq_u32_e64 s[8:9], 4, v0
	v_cndmask_b32_e64 v21, v21, v23, s[6:7]
	v_cndmask_b32_e64 v22, v22, v26, s[8:9]
	;; [unrolled: 1-line block ×3, first 2 shown]
	s_waitcnt lgkmcnt(0)
	v_mul_f64 v[21:22], v[21:22], v[27:28]
	s_cbranch_execz .LBB68_15
	s_branch .LBB68_16
.LBB68_14:
                                        ; implicit-def: $vgpr21_vgpr22
.LBB68_15:
	ds_read_b64 v[21:22], v44
.LBB68_16:
	v_mov_b32_e32 v27, 0
	ds_read2_b64 v[27:30], v27 offset0:2 offset1:9
	s_waitcnt lgkmcnt(0)
	v_fma_f64 v[29:30], v[23:24], v[29:30], v[21:22]
	v_cndmask_b32_e64 v22, v22, v30, s[0:1]
	v_cndmask_b32_e64 v21, v21, v29, s[0:1]
	v_mul_f64 v[21:22], v[21:22], v[27:28]
.LBB68_17:
	s_or_b64 exec, exec, s[12:13]
	v_cmp_lt_u32_e64 s[0:1], 1, v0
	ds_write_b64 v44, v[19:20]
	s_waitcnt lgkmcnt(0)
	; wave barrier
	s_and_saveexec_b64 s[12:13], s[0:1]
	s_cbranch_execz .LBB68_33
; %bb.18:
	s_andn2_b64 vcc, exec, s[10:11]
	s_cbranch_vccnz .LBB68_20
; %bb.19:
	v_cmp_eq_u32_e32 vcc, 1, v0
	v_cndmask_b32_e32 v27, v18, v20, vcc
	v_cmp_eq_u32_e64 s[4:5], 2, v0
	v_cndmask_b32_e64 v27, v27, v22, s[4:5]
	v_cmp_eq_u32_e64 s[6:7], 3, v0
	v_cndmask_b32_e64 v27, v27, v24, s[6:7]
	v_cmp_eq_u32_e64 s[8:9], 4, v0
	ds_read_b64 v[29:30], v44
	v_cndmask_b32_e64 v28, v27, v26, s[8:9]
	v_cndmask_b32_e32 v27, v17, v19, vcc
	v_cndmask_b32_e64 v27, v27, v21, s[4:5]
	v_cndmask_b32_e64 v27, v27, v23, s[6:7]
	;; [unrolled: 1-line block ×3, first 2 shown]
	s_waitcnt lgkmcnt(0)
	v_mul_f64 v[27:28], v[27:28], v[29:30]
	s_cbranch_execz .LBB68_21
	s_branch .LBB68_22
.LBB68_20:
                                        ; implicit-def: $vgpr27_vgpr28
.LBB68_21:
	ds_read_b64 v[27:28], v44
.LBB68_22:
	s_and_saveexec_b64 s[4:5], s[2:3]
	s_cbranch_execz .LBB68_32
; %bb.23:
	v_add_u32_e32 v30, -3, v0
	v_add_u32_e32 v29, -2, v0
	v_cmp_lt_u32_e32 vcc, 6, v30
	v_mov_b32_e32 v31, 2
	s_and_saveexec_b64 s[6:7], vcc
	s_cbranch_execz .LBB68_27
; %bb.24:
	v_and_b32_e32 v30, -8, v29
	v_sub_u32_e32 v30, 0, v30
	s_mov_b64 s[8:9], 9
	s_mov_b32 s16, 64
	s_mov_b64 s[14:15], 0
.LBB68_25:                              ; =>This Inner Loop Header: Depth=1
	s_add_i32 s17, s8, -7
	s_cmp_eq_u32 s17, 1
	v_mov_b32_e32 v31, s16
	s_cselect_b64 vcc, -1, 0
	s_cmp_eq_u32 s17, 2
	ds_read_b128 v[45:48], v31
	ds_read_b128 v[49:52], v31 offset:16
	ds_read_b128 v[53:56], v31 offset:32
	;; [unrolled: 1-line block ×3, first 2 shown]
	v_cndmask_b32_e32 v31, v18, v20, vcc
	s_cselect_b64 s[2:3], -1, 0
	s_cmp_eq_u32 s17, 3
	v_cndmask_b32_e32 v32, v17, v19, vcc
	v_cndmask_b32_e64 v31, v31, v22, s[2:3]
	s_cselect_b64 vcc, -1, 0
	s_cmp_eq_u32 s17, 4
	v_cndmask_b32_e64 v32, v32, v21, s[2:3]
	v_cndmask_b32_e32 v31, v31, v24, vcc
	s_cselect_b64 s[2:3], -1, 0
	v_cndmask_b32_e32 v61, v32, v23, vcc
	v_cndmask_b32_e64 v32, v31, v26, s[2:3]
	v_cndmask_b32_e64 v31, v61, v25, s[2:3]
	s_waitcnt lgkmcnt(3)
	v_fma_f64 v[27:28], v[31:32], v[45:46], v[27:28]
	s_add_i32 s17, s8, -6
	s_cmp_eq_u32 s17, 1
	s_cselect_b64 vcc, -1, 0
	s_cmp_eq_u32 s17, 2
	v_cndmask_b32_e32 v31, v18, v20, vcc
	s_cselect_b64 s[2:3], -1, 0
	s_cmp_eq_u32 s17, 3
	v_cndmask_b32_e32 v32, v17, v19, vcc
	v_cndmask_b32_e64 v31, v31, v22, s[2:3]
	s_cselect_b64 vcc, -1, 0
	s_cmp_eq_u32 s17, 4
	v_cndmask_b32_e64 v32, v32, v21, s[2:3]
	v_cndmask_b32_e32 v31, v31, v24, vcc
	v_cndmask_b32_e32 v45, v32, v23, vcc
	s_cselect_b64 vcc, -1, 0
	v_cndmask_b32_e32 v32, v31, v26, vcc
	v_cndmask_b32_e32 v31, v45, v25, vcc
	v_fma_f64 v[27:28], v[31:32], v[47:48], v[27:28]
	s_add_i32 s17, s8, -5
	s_cmp_eq_u32 s17, 1
	s_cselect_b64 vcc, -1, 0
	s_cmp_eq_u32 s17, 2
	v_cndmask_b32_e32 v45, v18, v20, vcc
	s_cselect_b64 s[2:3], -1, 0
	s_cmp_eq_u32 s17, 3
	v_cndmask_b32_e32 v46, v17, v19, vcc
	v_cndmask_b32_e64 v45, v45, v22, s[2:3]
	s_cselect_b64 vcc, -1, 0
	s_cmp_eq_u32 s17, 4
	v_cndmask_b32_e64 v46, v46, v21, s[2:3]
	v_cndmask_b32_e32 v45, v45, v24, vcc
	s_cselect_b64 s[2:3], -1, 0
	v_cndmask_b32_e32 v31, v46, v23, vcc
	v_cndmask_b32_e64 v32, v45, v26, s[2:3]
	v_cndmask_b32_e64 v31, v31, v25, s[2:3]
	s_waitcnt lgkmcnt(2)
	v_fma_f64 v[27:28], v[31:32], v[49:50], v[27:28]
	s_add_i32 s17, s8, -4
	s_cmp_eq_u32 s17, 1
	s_cselect_b64 vcc, -1, 0
	s_cmp_eq_u32 s17, 2
	v_cndmask_b32_e32 v45, v18, v20, vcc
	s_cselect_b64 s[2:3], -1, 0
	s_cmp_eq_u32 s17, 3
	v_cndmask_b32_e32 v46, v17, v19, vcc
	v_cndmask_b32_e64 v45, v45, v22, s[2:3]
	s_cselect_b64 vcc, -1, 0
	s_cmp_eq_u32 s17, 4
	v_cndmask_b32_e64 v46, v46, v21, s[2:3]
	v_cndmask_b32_e32 v45, v45, v24, vcc
	s_cselect_b64 s[2:3], -1, 0
	v_cndmask_b32_e32 v47, v46, v23, vcc
	v_cndmask_b32_e64 v46, v45, v26, s[2:3]
	v_cndmask_b32_e64 v45, v47, v25, s[2:3]
	v_fma_f64 v[27:28], v[45:46], v[51:52], v[27:28]
	s_add_i32 s17, s8, -3
	s_cmp_eq_u32 s17, 1
	s_cselect_b64 vcc, -1, 0
	s_cmp_eq_u32 s17, 2
	v_cndmask_b32_e32 v47, v18, v20, vcc
	s_cselect_b64 s[2:3], -1, 0
	s_cmp_eq_u32 s17, 3
	v_cndmask_b32_e32 v31, v17, v19, vcc
	v_cndmask_b32_e64 v32, v47, v22, s[2:3]
	s_cselect_b64 vcc, -1, 0
	s_cmp_eq_u32 s17, 4
	v_cndmask_b32_e64 v31, v31, v21, s[2:3]
	v_cndmask_b32_e32 v32, v32, v24, vcc
	s_cselect_b64 s[2:3], -1, 0
	v_cndmask_b32_e32 v31, v31, v23, vcc
	v_cndmask_b32_e64 v32, v32, v26, s[2:3]
	v_cndmask_b32_e64 v31, v31, v25, s[2:3]
	s_waitcnt lgkmcnt(1)
	v_fma_f64 v[27:28], v[31:32], v[53:54], v[27:28]
	s_add_i32 s17, s8, -2
	s_cmp_eq_u32 s17, 1
	s_cselect_b64 vcc, -1, 0
	s_cmp_eq_u32 s17, 2
	v_cndmask_b32_e32 v47, v18, v20, vcc
	s_cselect_b64 s[2:3], -1, 0
	s_cmp_eq_u32 s17, 3
	v_cndmask_b32_e32 v48, v17, v19, vcc
	v_cndmask_b32_e64 v47, v47, v22, s[2:3]
	s_cselect_b64 vcc, -1, 0
	s_cmp_eq_u32 s17, 4
	v_cndmask_b32_e64 v48, v48, v21, s[2:3]
	v_cndmask_b32_e32 v47, v47, v24, vcc
	s_cselect_b64 s[2:3], -1, 0
	v_cndmask_b32_e32 v48, v48, v23, vcc
	v_cndmask_b32_e64 v47, v47, v26, s[2:3]
	v_cndmask_b32_e64 v46, v48, v25, s[2:3]
	v_fma_f64 v[27:28], v[46:47], v[55:56], v[27:28]
	s_add_i32 s17, s8, -1
	s_cmp_eq_u32 s17, 1
	s_cselect_b64 vcc, -1, 0
	s_cmp_eq_u32 s17, 2
	v_cndmask_b32_e32 v45, v18, v20, vcc
	s_cselect_b64 s[2:3], -1, 0
	s_cmp_eq_u32 s17, 3
	v_cndmask_b32_e32 v48, v17, v19, vcc
	v_cndmask_b32_e64 v45, v45, v22, s[2:3]
	s_cselect_b64 vcc, -1, 0
	s_cmp_eq_u32 s17, 4
	v_cndmask_b32_e64 v48, v48, v21, s[2:3]
	v_cndmask_b32_e32 v45, v45, v24, vcc
	s_cselect_b64 s[2:3], -1, 0
	v_cndmask_b32_e32 v31, v48, v23, vcc
	v_cndmask_b32_e64 v32, v45, v26, s[2:3]
	v_cndmask_b32_e64 v31, v31, v25, s[2:3]
	s_waitcnt lgkmcnt(0)
	v_fma_f64 v[27:28], v[31:32], v[57:58], v[27:28]
	s_cmp_eq_u32 s8, 1
	s_cselect_b64 vcc, -1, 0
	s_cmp_eq_u32 s8, 2
	v_cndmask_b32_e32 v45, v18, v20, vcc
	s_cselect_b64 s[2:3], -1, 0
	s_cmp_eq_u32 s8, 3
	v_cndmask_b32_e32 v46, v17, v19, vcc
	v_cndmask_b32_e64 v45, v45, v22, s[2:3]
	s_cselect_b64 vcc, -1, 0
	s_cmp_eq_u32 s8, 4
	v_cndmask_b32_e64 v31, v46, v21, s[2:3]
	v_cndmask_b32_e32 v32, v45, v24, vcc
	s_cselect_b64 s[2:3], -1, 0
	v_cndmask_b32_e32 v31, v31, v23, vcc
	v_cndmask_b32_e64 v32, v32, v26, s[2:3]
	v_cndmask_b32_e64 v31, v31, v25, s[2:3]
	v_fma_f64 v[27:28], v[31:32], v[59:60], v[27:28]
	s_add_u32 s8, s8, 8
	v_add_u32_e32 v31, s8, v30
	s_addc_u32 s9, s9, 0
	s_add_i32 s16, s16, 64
	s_add_i32 s2, s8, -7
	v_cmp_eq_u32_e32 vcc, 9, v31
	s_or_b64 s[14:15], vcc, s[14:15]
	v_mov_b32_e32 v31, s2
	s_andn2_b64 exec, exec, s[14:15]
	s_cbranch_execnz .LBB68_25
; %bb.26:
	s_or_b64 exec, exec, s[14:15]
.LBB68_27:
	s_or_b64 exec, exec, s[6:7]
	v_and_b32_e32 v29, 7, v29
	v_cmp_ne_u32_e32 vcc, 0, v29
	s_and_saveexec_b64 s[6:7], vcc
	s_cbranch_execz .LBB68_31
; %bb.28:
	v_lshl_add_u32 v30, v31, 3, 48
	v_mov_b32_e32 v32, 0
	s_mov_b64 s[8:9], 0
.LBB68_29:                              ; =>This Inner Loop Header: Depth=1
	v_cmp_eq_u32_e32 vcc, 1, v31
	v_cndmask_b32_e32 v47, v18, v20, vcc
	ds_read_b64 v[45:46], v30
	v_cmp_eq_u32_e64 s[2:3], 2, v31
	v_cndmask_b32_e64 v47, v47, v22, s[2:3]
	v_cndmask_b32_e32 v48, v17, v19, vcc
	v_cmp_eq_u32_e32 vcc, 3, v31
	v_cndmask_b32_e32 v47, v47, v24, vcc
	v_cndmask_b32_e64 v49, v48, v21, s[2:3]
	v_cmp_eq_u32_e64 s[2:3], 4, v31
	v_cndmask_b32_e64 v48, v47, v26, s[2:3]
	v_cndmask_b32_e32 v47, v49, v23, vcc
	v_cndmask_b32_e64 v47, v47, v25, s[2:3]
	s_waitcnt lgkmcnt(0)
	v_fma_f64 v[27:28], v[47:48], v[45:46], v[27:28]
	v_add_u32_e32 v29, -1, v29
	v_cmp_eq_u32_e32 vcc, 0, v29
	s_or_b64 s[8:9], vcc, s[8:9]
	v_add_co_u32_e32 v31, vcc, 1, v31
	v_add_u32_e32 v30, 8, v30
	v_addc_co_u32_e32 v32, vcc, 0, v32, vcc
	s_andn2_b64 exec, exec, s[8:9]
	s_cbranch_execnz .LBB68_29
; %bb.30:
	s_or_b64 exec, exec, s[8:9]
.LBB68_31:
	s_or_b64 exec, exec, s[6:7]
.LBB68_32:
	s_or_b64 exec, exec, s[4:5]
	v_mov_b32_e32 v19, 0
	ds_read_b64 v[19:20], v19 offset:8
	s_waitcnt lgkmcnt(0)
	v_mul_f64 v[19:20], v[27:28], v[19:20]
.LBB68_33:
	s_or_b64 exec, exec, s[12:13]
	v_cmp_ne_u32_e32 vcc, 0, v0
	ds_write_b64 v44, v[17:18]
	s_waitcnt lgkmcnt(0)
	; wave barrier
	s_and_saveexec_b64 s[8:9], vcc
	s_cbranch_execz .LBB68_49
; %bb.34:
	s_andn2_b64 vcc, exec, s[10:11]
	s_cbranch_vccnz .LBB68_36
; %bb.35:
	v_cmp_eq_u32_e32 vcc, 1, v0
	v_cndmask_b32_e32 v27, v18, v20, vcc
	v_cmp_eq_u32_e64 s[2:3], 2, v0
	v_cndmask_b32_e64 v27, v27, v22, s[2:3]
	v_cmp_eq_u32_e64 s[4:5], 3, v0
	v_cndmask_b32_e64 v27, v27, v24, s[4:5]
	v_cmp_eq_u32_e64 s[6:7], 4, v0
	ds_read_b64 v[29:30], v44
	v_cndmask_b32_e64 v28, v27, v26, s[6:7]
	v_cndmask_b32_e32 v27, v17, v19, vcc
	v_cndmask_b32_e64 v27, v27, v21, s[2:3]
	v_cndmask_b32_e64 v27, v27, v23, s[4:5]
	;; [unrolled: 1-line block ×3, first 2 shown]
	s_waitcnt lgkmcnt(0)
	v_mul_f64 v[27:28], v[27:28], v[29:30]
	s_cbranch_execz .LBB68_37
	s_branch .LBB68_38
.LBB68_36:
                                        ; implicit-def: $vgpr27_vgpr28
.LBB68_37:
	ds_read_b64 v[27:28], v44
.LBB68_38:
	s_and_saveexec_b64 s[2:3], s[0:1]
	s_cbranch_execz .LBB68_48
; %bb.39:
	v_add_u32_e32 v30, -2, v0
	v_add_u32_e32 v29, -1, v0
	v_cmp_lt_u32_e32 vcc, 6, v30
	v_mov_b32_e32 v31, 1
	s_and_saveexec_b64 s[4:5], vcc
	s_cbranch_execz .LBB68_43
; %bb.40:
	v_and_b32_e32 v30, -8, v29
	v_sub_u32_e32 v30, 0, v30
	s_mov_b64 s[6:7], 8
	s_mov_b32 s14, 56
	s_mov_b64 s[12:13], 0
.LBB68_41:                              ; =>This Inner Loop Header: Depth=1
	s_add_i32 s15, s6, -7
	s_cmp_eq_u32 s15, 1
	v_mov_b32_e32 v31, s14
	s_cselect_b64 vcc, -1, 0
	s_cmp_eq_u32 s15, 2
	ds_read2_b64 v[45:48], v31 offset1:1
	ds_read2_b64 v[49:52], v31 offset0:2 offset1:3
	ds_read2_b64 v[53:56], v31 offset0:4 offset1:5
	;; [unrolled: 1-line block ×3, first 2 shown]
	v_cndmask_b32_e32 v31, v18, v20, vcc
	s_cselect_b64 s[0:1], -1, 0
	s_cmp_eq_u32 s15, 3
	v_cndmask_b32_e64 v31, v31, v22, s[0:1]
	v_cndmask_b32_e32 v32, v17, v19, vcc
	s_cselect_b64 vcc, -1, 0
	s_cmp_eq_u32 s15, 4
	v_cndmask_b32_e32 v31, v31, v24, vcc
	v_cndmask_b32_e64 v61, v32, v21, s[0:1]
	s_cselect_b64 s[0:1], -1, 0
	v_cndmask_b32_e64 v32, v31, v26, s[0:1]
	v_cndmask_b32_e32 v31, v61, v23, vcc
	v_cndmask_b32_e64 v31, v31, v25, s[0:1]
	s_add_i32 s15, s6, -6
	s_waitcnt lgkmcnt(3)
	v_fma_f64 v[27:28], v[31:32], v[45:46], v[27:28]
	s_cmp_eq_u32 s15, 1
	s_cselect_b64 vcc, -1, 0
	s_cmp_eq_u32 s15, 2
	v_cndmask_b32_e32 v31, v18, v20, vcc
	s_cselect_b64 s[0:1], -1, 0
	s_cmp_eq_u32 s15, 3
	v_cndmask_b32_e64 v31, v31, v22, s[0:1]
	v_cndmask_b32_e32 v32, v17, v19, vcc
	s_cselect_b64 vcc, -1, 0
	s_cmp_eq_u32 s15, 4
	v_cndmask_b32_e32 v31, v31, v24, vcc
	v_cndmask_b32_e64 v45, v32, v21, s[0:1]
	s_cselect_b64 s[0:1], -1, 0
	v_cndmask_b32_e64 v32, v31, v26, s[0:1]
	v_cndmask_b32_e32 v31, v45, v23, vcc
	v_cndmask_b32_e64 v31, v31, v25, s[0:1]
	v_fma_f64 v[27:28], v[31:32], v[47:48], v[27:28]
	s_add_i32 s15, s6, -5
	s_cmp_eq_u32 s15, 1
	s_cselect_b64 vcc, -1, 0
	s_cmp_eq_u32 s15, 2
	v_cndmask_b32_e32 v45, v18, v20, vcc
	s_cselect_b64 s[0:1], -1, 0
	s_cmp_eq_u32 s15, 3
	v_cndmask_b32_e32 v46, v17, v19, vcc
	v_cndmask_b32_e64 v45, v45, v22, s[0:1]
	s_cselect_b64 vcc, -1, 0
	s_cmp_eq_u32 s15, 4
	v_cndmask_b32_e64 v46, v46, v21, s[0:1]
	v_cndmask_b32_e32 v45, v45, v24, vcc
	s_cselect_b64 s[0:1], -1, 0
	v_cndmask_b32_e32 v31, v46, v23, vcc
	v_cndmask_b32_e64 v32, v45, v26, s[0:1]
	v_cndmask_b32_e64 v31, v31, v25, s[0:1]
	s_add_i32 s15, s6, -4
	s_waitcnt lgkmcnt(2)
	v_fma_f64 v[27:28], v[31:32], v[49:50], v[27:28]
	s_cmp_eq_u32 s15, 1
	s_cselect_b64 vcc, -1, 0
	s_cmp_eq_u32 s15, 2
	v_cndmask_b32_e32 v45, v18, v20, vcc
	s_cselect_b64 s[0:1], -1, 0
	s_cmp_eq_u32 s15, 3
	v_cndmask_b32_e64 v45, v45, v22, s[0:1]
	v_cndmask_b32_e32 v46, v17, v19, vcc
	s_cselect_b64 vcc, -1, 0
	s_cmp_eq_u32 s15, 4
	v_cndmask_b32_e32 v45, v45, v24, vcc
	v_cndmask_b32_e64 v47, v46, v21, s[0:1]
	s_cselect_b64 s[0:1], -1, 0
	v_cndmask_b32_e64 v46, v45, v26, s[0:1]
	v_cndmask_b32_e32 v45, v47, v23, vcc
	v_cndmask_b32_e64 v45, v45, v25, s[0:1]
	s_add_i32 s15, s6, -3
	v_fma_f64 v[27:28], v[45:46], v[51:52], v[27:28]
	s_cmp_eq_u32 s15, 1
	s_cselect_b64 vcc, -1, 0
	s_cmp_eq_u32 s15, 2
	v_cndmask_b32_e32 v47, v18, v20, vcc
	s_cselect_b64 s[0:1], -1, 0
	s_cmp_eq_u32 s15, 3
	v_cndmask_b32_e64 v31, v47, v22, s[0:1]
	v_cndmask_b32_e32 v32, v17, v19, vcc
	s_cselect_b64 vcc, -1, 0
	s_cmp_eq_u32 s15, 4
	v_cndmask_b32_e32 v31, v31, v24, vcc
	v_cndmask_b32_e64 v47, v32, v21, s[0:1]
	s_cselect_b64 s[0:1], -1, 0
	v_cndmask_b32_e64 v32, v31, v26, s[0:1]
	v_cndmask_b32_e32 v31, v47, v23, vcc
	v_cndmask_b32_e64 v31, v31, v25, s[0:1]
	s_waitcnt lgkmcnt(1)
	v_fma_f64 v[27:28], v[31:32], v[53:54], v[27:28]
	s_add_i32 s15, s6, -2
	s_cmp_eq_u32 s15, 1
	s_cselect_b64 vcc, -1, 0
	s_cmp_eq_u32 s15, 2
	v_cndmask_b32_e32 v47, v18, v20, vcc
	s_cselect_b64 s[0:1], -1, 0
	s_cmp_eq_u32 s15, 3
	v_cndmask_b32_e32 v48, v17, v19, vcc
	v_cndmask_b32_e64 v47, v47, v22, s[0:1]
	s_cselect_b64 vcc, -1, 0
	s_cmp_eq_u32 s15, 4
	v_cndmask_b32_e64 v48, v48, v21, s[0:1]
	v_cndmask_b32_e32 v47, v47, v24, vcc
	s_cselect_b64 s[0:1], -1, 0
	v_cndmask_b32_e32 v48, v48, v23, vcc
	v_cndmask_b32_e64 v47, v47, v26, s[0:1]
	v_cndmask_b32_e64 v46, v48, v25, s[0:1]
	v_fma_f64 v[27:28], v[46:47], v[55:56], v[27:28]
	s_add_i32 s15, s6, -1
	s_cmp_eq_u32 s15, 1
	s_cselect_b64 vcc, -1, 0
	s_cmp_eq_u32 s15, 2
	v_cndmask_b32_e32 v45, v18, v20, vcc
	s_cselect_b64 s[0:1], -1, 0
	s_cmp_eq_u32 s15, 3
	v_cndmask_b32_e32 v48, v17, v19, vcc
	v_cndmask_b32_e64 v45, v45, v22, s[0:1]
	s_cselect_b64 vcc, -1, 0
	s_cmp_eq_u32 s15, 4
	v_cndmask_b32_e64 v48, v48, v21, s[0:1]
	v_cndmask_b32_e32 v45, v45, v24, vcc
	s_cselect_b64 s[0:1], -1, 0
	v_cndmask_b32_e32 v31, v48, v23, vcc
	v_cndmask_b32_e64 v32, v45, v26, s[0:1]
	v_cndmask_b32_e64 v31, v31, v25, s[0:1]
	s_waitcnt lgkmcnt(0)
	v_fma_f64 v[27:28], v[31:32], v[57:58], v[27:28]
	s_cmp_eq_u32 s6, 1
	s_cselect_b64 vcc, -1, 0
	s_cmp_eq_u32 s6, 2
	v_cndmask_b32_e32 v45, v18, v20, vcc
	s_cselect_b64 s[0:1], -1, 0
	s_cmp_eq_u32 s6, 3
	v_cndmask_b32_e32 v46, v17, v19, vcc
	v_cndmask_b32_e64 v45, v45, v22, s[0:1]
	s_cselect_b64 vcc, -1, 0
	s_cmp_eq_u32 s6, 4
	v_cndmask_b32_e64 v31, v46, v21, s[0:1]
	v_cndmask_b32_e32 v45, v45, v24, vcc
	s_cselect_b64 s[0:1], -1, 0
	v_cndmask_b32_e32 v31, v31, v23, vcc
	v_cndmask_b32_e64 v32, v45, v26, s[0:1]
	v_cndmask_b32_e64 v31, v31, v25, s[0:1]
	v_fma_f64 v[27:28], v[31:32], v[59:60], v[27:28]
	s_add_u32 s6, s6, 8
	v_add_u32_e32 v31, s6, v30
	s_addc_u32 s7, s7, 0
	s_add_i32 s14, s14, 64
	s_add_i32 s0, s6, -7
	v_cmp_eq_u32_e32 vcc, 8, v31
	s_or_b64 s[12:13], vcc, s[12:13]
	v_mov_b32_e32 v31, s0
	s_andn2_b64 exec, exec, s[12:13]
	s_cbranch_execnz .LBB68_41
; %bb.42:
	s_or_b64 exec, exec, s[12:13]
.LBB68_43:
	s_or_b64 exec, exec, s[4:5]
	v_and_b32_e32 v29, 7, v29
	v_cmp_ne_u32_e32 vcc, 0, v29
	s_and_saveexec_b64 s[4:5], vcc
	s_cbranch_execz .LBB68_47
; %bb.44:
	v_lshl_add_u32 v30, v31, 3, 48
	v_mov_b32_e32 v32, 0
	s_mov_b64 s[6:7], 0
.LBB68_45:                              ; =>This Inner Loop Header: Depth=1
	v_cmp_eq_u32_e32 vcc, 1, v31
	v_cndmask_b32_e32 v47, v18, v20, vcc
	ds_read_b64 v[45:46], v30
	v_cmp_eq_u32_e64 s[0:1], 2, v31
	v_cndmask_b32_e64 v47, v47, v22, s[0:1]
	v_cndmask_b32_e32 v48, v17, v19, vcc
	v_cmp_eq_u32_e32 vcc, 3, v31
	v_cndmask_b32_e32 v47, v47, v24, vcc
	v_cndmask_b32_e64 v49, v48, v21, s[0:1]
	v_cmp_eq_u32_e64 s[0:1], 4, v31
	v_cndmask_b32_e64 v48, v47, v26, s[0:1]
	v_cndmask_b32_e32 v47, v49, v23, vcc
	v_cndmask_b32_e64 v47, v47, v25, s[0:1]
	s_waitcnt lgkmcnt(0)
	v_fma_f64 v[27:28], v[47:48], v[45:46], v[27:28]
	v_add_u32_e32 v29, -1, v29
	v_cmp_eq_u32_e32 vcc, 0, v29
	s_or_b64 s[6:7], vcc, s[6:7]
	v_add_co_u32_e32 v31, vcc, 1, v31
	v_add_u32_e32 v30, 8, v30
	v_addc_co_u32_e32 v32, vcc, 0, v32, vcc
	s_andn2_b64 exec, exec, s[6:7]
	s_cbranch_execnz .LBB68_45
; %bb.46:
	s_or_b64 exec, exec, s[6:7]
.LBB68_47:
	s_or_b64 exec, exec, s[4:5]
.LBB68_48:
	s_or_b64 exec, exec, s[2:3]
	v_mov_b32_e32 v17, 0
	ds_read_b64 v[17:18], v17
	s_waitcnt lgkmcnt(0)
	v_mul_f64 v[17:18], v[27:28], v[17:18]
.LBB68_49:
	s_or_b64 exec, exec, s[8:9]
	s_branch .LBB68_81
.LBB68_50:
	v_cmp_eq_u32_e64 s[0:1], 0, v0
	s_waitcnt vmcnt(0) lgkmcnt(0)
	ds_write_b64 v44, v[3:4]
	s_waitcnt lgkmcnt(0)
	; wave barrier
	s_and_saveexec_b64 s[8:9], s[0:1]
	s_cbranch_execz .LBB68_56
; %bb.51:
	s_and_b64 vcc, exec, s[10:11]
	s_cbranch_vccz .LBB68_53
; %bb.52:
	v_cmp_eq_u32_e32 vcc, 1, v0
	ds_read_b64 v[11:12], v44
	v_cndmask_b32_e32 v4, v2, v4, vcc
	v_cmp_eq_u32_e64 s[2:3], 2, v0
	v_cndmask_b32_e32 v3, v1, v3, vcc
	v_cndmask_b32_e64 v4, v4, v6, s[2:3]
	v_cmp_eq_u32_e64 s[4:5], 3, v0
	v_cndmask_b32_e64 v3, v3, v5, s[2:3]
	v_cndmask_b32_e64 v4, v4, v8, s[4:5]
	v_cmp_eq_u32_e64 s[6:7], 4, v0
	v_cndmask_b32_e64 v3, v3, v7, s[4:5]
	v_cndmask_b32_e64 v4, v4, v10, s[6:7]
	;; [unrolled: 1-line block ×3, first 2 shown]
	s_waitcnt lgkmcnt(0)
	v_mul_f64 v[3:4], v[3:4], v[11:12]
	s_cbranch_execz .LBB68_54
	s_branch .LBB68_55
.LBB68_53:
                                        ; implicit-def: $vgpr3_vgpr4
.LBB68_54:
	ds_read_b64 v[3:4], v44
.LBB68_55:
	v_mov_b32_e32 v11, 0
	ds_read_b64 v[11:12], v11 offset:8
	s_waitcnt lgkmcnt(0)
	v_mul_f64 v[3:4], v[3:4], v[11:12]
.LBB68_56:
	s_or_b64 exec, exec, s[8:9]
	v_cndmask_b32_e64 v17, 0, 1, s[10:11]
	v_cmp_gt_u32_e32 vcc, 2, v0
	v_cmp_ne_u32_e64 s[2:3], 1, v17
	ds_write_b64 v44, v[5:6]
	s_waitcnt lgkmcnt(0)
	; wave barrier
	s_and_saveexec_b64 s[10:11], vcc
	s_cbranch_execz .LBB68_62
; %bb.57:
	s_and_b64 vcc, exec, s[2:3]
	s_cbranch_vccnz .LBB68_59
; %bb.58:
	v_cmp_eq_u32_e32 vcc, 1, v0
	v_cndmask_b32_e32 v11, v2, v4, vcc
	v_cmp_eq_u32_e64 s[4:5], 2, v0
	v_cndmask_b32_e64 v6, v11, v6, s[4:5]
	ds_read_b64 v[11:12], v44
	v_cndmask_b32_e32 v13, v1, v3, vcc
	v_cmp_eq_u32_e64 s[6:7], 3, v0
	v_cndmask_b32_e64 v5, v13, v5, s[4:5]
	v_cndmask_b32_e64 v6, v6, v8, s[6:7]
	v_cmp_eq_u32_e64 s[8:9], 4, v0
	v_cndmask_b32_e64 v5, v5, v7, s[6:7]
	v_cndmask_b32_e64 v6, v6, v10, s[8:9]
	;; [unrolled: 1-line block ×3, first 2 shown]
	s_waitcnt lgkmcnt(0)
	v_mul_f64 v[5:6], v[5:6], v[11:12]
	s_cbranch_execz .LBB68_60
	s_branch .LBB68_61
.LBB68_59:
                                        ; implicit-def: $vgpr5_vgpr6
.LBB68_60:
	ds_read_b64 v[5:6], v44
.LBB68_61:
	v_mov_b32_e32 v11, 0
	ds_read2_b64 v[11:14], v11 offset0:2 offset1:7
	s_waitcnt lgkmcnt(0)
	v_fma_f64 v[13:14], v[3:4], v[13:14], v[5:6]
	v_cndmask_b32_e64 v6, v6, v14, s[0:1]
	v_cndmask_b32_e64 v5, v5, v13, s[0:1]
	v_mul_f64 v[5:6], v[5:6], v[11:12]
.LBB68_62:
	s_or_b64 exec, exec, s[10:11]
	v_cmp_gt_u32_e64 s[4:5], 3, v0
	ds_write_b64 v44, v[7:8]
	s_waitcnt lgkmcnt(0)
	; wave barrier
	s_and_saveexec_b64 s[12:13], s[4:5]
	s_cbranch_execz .LBB68_70
; %bb.63:
	s_and_b64 vcc, exec, s[2:3]
	s_cbranch_vccnz .LBB68_65
; %bb.64:
	v_cmp_eq_u32_e32 vcc, 1, v0
	v_cndmask_b32_e32 v11, v2, v4, vcc
	v_cmp_eq_u32_e64 s[6:7], 2, v0
	v_cndmask_b32_e64 v11, v11, v6, s[6:7]
	v_cmp_eq_u32_e64 s[8:9], 3, v0
	v_cndmask_b32_e64 v11, v11, v8, s[8:9]
	v_cmp_eq_u32_e64 s[10:11], 4, v0
	ds_read_b64 v[13:14], v44
	v_cndmask_b32_e64 v12, v11, v10, s[10:11]
	v_cndmask_b32_e32 v11, v1, v3, vcc
	v_cndmask_b32_e64 v11, v11, v5, s[6:7]
	v_cndmask_b32_e64 v11, v11, v7, s[8:9]
	;; [unrolled: 1-line block ×3, first 2 shown]
	s_waitcnt lgkmcnt(0)
	v_mul_f64 v[11:12], v[11:12], v[13:14]
	s_cbranch_execz .LBB68_66
	s_branch .LBB68_67
.LBB68_65:
                                        ; implicit-def: $vgpr11_vgpr12
.LBB68_66:
	ds_read_b64 v[11:12], v44
.LBB68_67:
	v_cmp_ne_u32_e32 vcc, 2, v0
	s_and_saveexec_b64 s[14:15], vcc
	s_cbranch_execz .LBB68_69
; %bb.68:
	v_add_u32_e32 v13, 1, v0
	v_cmp_eq_u32_e32 vcc, 1, v13
	v_cndmask_b32_e32 v14, v2, v4, vcc
	v_cmp_eq_u32_e64 s[6:7], 2, v13
	v_cndmask_b32_e64 v14, v14, v6, s[6:7]
	v_cmp_eq_u32_e64 s[8:9], 3, v13
	v_cmp_eq_u32_e64 s[10:11], 4, v13
	v_cndmask_b32_e32 v13, v1, v3, vcc
	v_cndmask_b32_e64 v8, v14, v8, s[8:9]
	v_cndmask_b32_e64 v15, v13, v5, s[6:7]
	ds_read_b64 v[13:14], v44 offset:8
	v_cndmask_b32_e64 v7, v15, v7, s[8:9]
	v_cndmask_b32_e64 v8, v8, v10, s[10:11]
	;; [unrolled: 1-line block ×3, first 2 shown]
	v_mov_b32_e32 v15, 0
	ds_read_b64 v[15:16], v15 offset:64
	s_waitcnt lgkmcnt(1)
	v_fma_f64 v[7:8], v[7:8], v[13:14], v[11:12]
	s_waitcnt lgkmcnt(0)
	v_fma_f64 v[11:12], v[5:6], v[15:16], v[7:8]
	v_cndmask_b32_e64 v12, v8, v12, s[0:1]
	v_cndmask_b32_e64 v11, v7, v11, s[0:1]
.LBB68_69:
	s_or_b64 exec, exec, s[14:15]
	v_mov_b32_e32 v7, 0
	ds_read_b64 v[7:8], v7 offset:24
	s_waitcnt lgkmcnt(0)
	v_mul_f64 v[7:8], v[11:12], v[7:8]
.LBB68_70:
	s_or_b64 exec, exec, s[12:13]
	v_cmp_ne_u32_e32 vcc, 4, v0
	ds_write_b64 v44, v[9:10]
	s_waitcnt lgkmcnt(0)
	; wave barrier
	s_and_saveexec_b64 s[8:9], vcc
	s_cbranch_execz .LBB68_80
; %bb.71:
	s_and_b64 vcc, exec, s[2:3]
	s_cbranch_vccnz .LBB68_73
; %bb.72:
	v_cmp_eq_u32_e32 vcc, 1, v0
	v_cndmask_b32_e32 v11, v2, v4, vcc
	v_cmp_eq_u32_e64 s[0:1], 2, v0
	v_cndmask_b32_e64 v11, v11, v6, s[0:1]
	v_cmp_eq_u32_e64 s[2:3], 3, v0
	v_cndmask_b32_e64 v11, v11, v8, s[2:3]
	v_cmp_eq_u32_e64 s[6:7], 4, v0
	ds_read_b64 v[13:14], v44
	v_cndmask_b32_e64 v12, v11, v10, s[6:7]
	v_cndmask_b32_e32 v11, v1, v3, vcc
	v_cndmask_b32_e64 v11, v11, v5, s[0:1]
	v_cndmask_b32_e64 v11, v11, v7, s[2:3]
	;; [unrolled: 1-line block ×3, first 2 shown]
	s_waitcnt lgkmcnt(0)
	v_mul_f64 v[11:12], v[11:12], v[13:14]
	s_cbranch_execz .LBB68_74
	s_branch .LBB68_75
.LBB68_73:
                                        ; implicit-def: $vgpr11_vgpr12
.LBB68_74:
	ds_read_b64 v[11:12], v44
.LBB68_75:
	s_and_saveexec_b64 s[2:3], s[4:5]
	s_cbranch_execz .LBB68_79
; %bb.76:
	v_lshl_add_u32 v13, v0, 3, 56
	s_mov_b64 s[4:5], 0
.LBB68_77:                              ; =>This Inner Loop Header: Depth=1
	v_add_co_u32_e32 v0, vcc, 1, v0
	v_addc_co_u32_e32 v43, vcc, 0, v43, vcc
	v_cmp_eq_u32_e32 vcc, 1, v0
	ds_read_b64 v[14:15], v13
	v_cndmask_b32_e32 v16, v2, v4, vcc
	v_cmp_eq_u32_e64 s[0:1], 2, v0
	v_cndmask_b32_e64 v16, v16, v6, s[0:1]
	v_cndmask_b32_e32 v17, v1, v3, vcc
	v_cmp_eq_u32_e32 vcc, 3, v0
	v_cndmask_b32_e32 v16, v16, v8, vcc
	v_cndmask_b32_e64 v18, v17, v5, s[0:1]
	v_cmp_eq_u32_e64 s[0:1], 4, v0
	v_cndmask_b32_e64 v17, v16, v10, s[0:1]
	v_cndmask_b32_e32 v16, v18, v7, vcc
	v_cndmask_b32_e64 v16, v16, v9, s[0:1]
	s_waitcnt lgkmcnt(0)
	v_fma_f64 v[11:12], v[16:17], v[14:15], v[11:12]
	v_cmp_lt_u32_e32 vcc, 2, v0
	s_or_b64 s[4:5], vcc, s[4:5]
	v_add_u32_e32 v13, 8, v13
	s_andn2_b64 exec, exec, s[4:5]
	s_cbranch_execnz .LBB68_77
; %bb.78:
	s_or_b64 exec, exec, s[4:5]
.LBB68_79:
	s_or_b64 exec, exec, s[2:3]
	v_mov_b32_e32 v0, 0
	ds_read_b64 v[9:10], v0 offset:32
	s_waitcnt lgkmcnt(0)
	v_mul_f64 v[9:10], v[11:12], v[9:10]
.LBB68_80:
	s_or_b64 exec, exec, s[8:9]
	v_mov_b32_e32 v32, v16
	v_mov_b32_e32 v31, v15
	;; [unrolled: 1-line block ×16, first 2 shown]
.LBB68_81:
	flat_store_dwordx2 v[33:34], v[17:18]
	flat_store_dwordx2 v[35:36], v[19:20]
	;; [unrolled: 1-line block ×5, first 2 shown]
.LBB68_82:
	s_endpgm
	.section	.rodata,"a",@progbits
	.p2align	6, 0x0
	.amdhsa_kernel _ZN9rocsolver6v33100L18trti2_kernel_smallILi5EdPKPdEEv13rocblas_fill_17rocblas_diagonal_T1_iil
		.amdhsa_group_segment_fixed_size 88
		.amdhsa_private_segment_fixed_size 0
		.amdhsa_kernarg_size 32
		.amdhsa_user_sgpr_count 6
		.amdhsa_user_sgpr_private_segment_buffer 1
		.amdhsa_user_sgpr_dispatch_ptr 0
		.amdhsa_user_sgpr_queue_ptr 0
		.amdhsa_user_sgpr_kernarg_segment_ptr 1
		.amdhsa_user_sgpr_dispatch_id 0
		.amdhsa_user_sgpr_flat_scratch_init 0
		.amdhsa_user_sgpr_private_segment_size 0
		.amdhsa_uses_dynamic_stack 0
		.amdhsa_system_sgpr_private_segment_wavefront_offset 0
		.amdhsa_system_sgpr_workgroup_id_x 1
		.amdhsa_system_sgpr_workgroup_id_y 0
		.amdhsa_system_sgpr_workgroup_id_z 0
		.amdhsa_system_sgpr_workgroup_info 0
		.amdhsa_system_vgpr_workitem_id 0
		.amdhsa_next_free_vgpr 62
		.amdhsa_next_free_sgpr 18
		.amdhsa_reserve_vcc 1
		.amdhsa_reserve_flat_scratch 0
		.amdhsa_float_round_mode_32 0
		.amdhsa_float_round_mode_16_64 0
		.amdhsa_float_denorm_mode_32 3
		.amdhsa_float_denorm_mode_16_64 3
		.amdhsa_dx10_clamp 1
		.amdhsa_ieee_mode 1
		.amdhsa_fp16_overflow 0
		.amdhsa_exception_fp_ieee_invalid_op 0
		.amdhsa_exception_fp_denorm_src 0
		.amdhsa_exception_fp_ieee_div_zero 0
		.amdhsa_exception_fp_ieee_overflow 0
		.amdhsa_exception_fp_ieee_underflow 0
		.amdhsa_exception_fp_ieee_inexact 0
		.amdhsa_exception_int_div_zero 0
	.end_amdhsa_kernel
	.section	.text._ZN9rocsolver6v33100L18trti2_kernel_smallILi5EdPKPdEEv13rocblas_fill_17rocblas_diagonal_T1_iil,"axG",@progbits,_ZN9rocsolver6v33100L18trti2_kernel_smallILi5EdPKPdEEv13rocblas_fill_17rocblas_diagonal_T1_iil,comdat
.Lfunc_end68:
	.size	_ZN9rocsolver6v33100L18trti2_kernel_smallILi5EdPKPdEEv13rocblas_fill_17rocblas_diagonal_T1_iil, .Lfunc_end68-_ZN9rocsolver6v33100L18trti2_kernel_smallILi5EdPKPdEEv13rocblas_fill_17rocblas_diagonal_T1_iil
                                        ; -- End function
	.set _ZN9rocsolver6v33100L18trti2_kernel_smallILi5EdPKPdEEv13rocblas_fill_17rocblas_diagonal_T1_iil.num_vgpr, 62
	.set _ZN9rocsolver6v33100L18trti2_kernel_smallILi5EdPKPdEEv13rocblas_fill_17rocblas_diagonal_T1_iil.num_agpr, 0
	.set _ZN9rocsolver6v33100L18trti2_kernel_smallILi5EdPKPdEEv13rocblas_fill_17rocblas_diagonal_T1_iil.numbered_sgpr, 18
	.set _ZN9rocsolver6v33100L18trti2_kernel_smallILi5EdPKPdEEv13rocblas_fill_17rocblas_diagonal_T1_iil.num_named_barrier, 0
	.set _ZN9rocsolver6v33100L18trti2_kernel_smallILi5EdPKPdEEv13rocblas_fill_17rocblas_diagonal_T1_iil.private_seg_size, 0
	.set _ZN9rocsolver6v33100L18trti2_kernel_smallILi5EdPKPdEEv13rocblas_fill_17rocblas_diagonal_T1_iil.uses_vcc, 1
	.set _ZN9rocsolver6v33100L18trti2_kernel_smallILi5EdPKPdEEv13rocblas_fill_17rocblas_diagonal_T1_iil.uses_flat_scratch, 0
	.set _ZN9rocsolver6v33100L18trti2_kernel_smallILi5EdPKPdEEv13rocblas_fill_17rocblas_diagonal_T1_iil.has_dyn_sized_stack, 0
	.set _ZN9rocsolver6v33100L18trti2_kernel_smallILi5EdPKPdEEv13rocblas_fill_17rocblas_diagonal_T1_iil.has_recursion, 0
	.set _ZN9rocsolver6v33100L18trti2_kernel_smallILi5EdPKPdEEv13rocblas_fill_17rocblas_diagonal_T1_iil.has_indirect_call, 0
	.section	.AMDGPU.csdata,"",@progbits
; Kernel info:
; codeLenInByte = 4720
; TotalNumSgprs: 22
; NumVgprs: 62
; ScratchSize: 0
; MemoryBound: 0
; FloatMode: 240
; IeeeMode: 1
; LDSByteSize: 88 bytes/workgroup (compile time only)
; SGPRBlocks: 2
; VGPRBlocks: 15
; NumSGPRsForWavesPerEU: 22
; NumVGPRsForWavesPerEU: 62
; Occupancy: 4
; WaveLimiterHint : 1
; COMPUTE_PGM_RSRC2:SCRATCH_EN: 0
; COMPUTE_PGM_RSRC2:USER_SGPR: 6
; COMPUTE_PGM_RSRC2:TRAP_HANDLER: 0
; COMPUTE_PGM_RSRC2:TGID_X_EN: 1
; COMPUTE_PGM_RSRC2:TGID_Y_EN: 0
; COMPUTE_PGM_RSRC2:TGID_Z_EN: 0
; COMPUTE_PGM_RSRC2:TIDIG_COMP_CNT: 0
	.section	.text._ZN9rocsolver6v33100L18trti2_kernel_smallILi6EdPKPdEEv13rocblas_fill_17rocblas_diagonal_T1_iil,"axG",@progbits,_ZN9rocsolver6v33100L18trti2_kernel_smallILi6EdPKPdEEv13rocblas_fill_17rocblas_diagonal_T1_iil,comdat
	.globl	_ZN9rocsolver6v33100L18trti2_kernel_smallILi6EdPKPdEEv13rocblas_fill_17rocblas_diagonal_T1_iil ; -- Begin function _ZN9rocsolver6v33100L18trti2_kernel_smallILi6EdPKPdEEv13rocblas_fill_17rocblas_diagonal_T1_iil
	.p2align	8
	.type	_ZN9rocsolver6v33100L18trti2_kernel_smallILi6EdPKPdEEv13rocblas_fill_17rocblas_diagonal_T1_iil,@function
_ZN9rocsolver6v33100L18trti2_kernel_smallILi6EdPKPdEEv13rocblas_fill_17rocblas_diagonal_T1_iil: ; @_ZN9rocsolver6v33100L18trti2_kernel_smallILi6EdPKPdEEv13rocblas_fill_17rocblas_diagonal_T1_iil
; %bb.0:
	v_cmp_gt_u32_e32 vcc, 6, v0
	s_and_saveexec_b64 s[0:1], vcc
	s_cbranch_execz .LBB69_108
; %bb.1:
	s_load_dwordx2 s[0:1], s[4:5], 0x10
	s_load_dwordx4 s[12:15], s[4:5], 0x0
	s_ashr_i32 s7, s6, 31
	s_lshl_b64 s[2:3], s[6:7], 3
	v_lshlrev_b32_e32 v20, 3, v0
	s_waitcnt lgkmcnt(0)
	s_ashr_i32 s5, s0, 31
	s_add_u32 s2, s14, s2
	s_addc_u32 s3, s15, s3
	s_load_dwordx2 s[2:3], s[2:3], 0x0
	s_mov_b32 s4, s0
	s_lshl_b64 s[4:5], s[4:5], 3
	v_mov_b32_e32 v18, 0
	v_mov_b32_e32 v19, 0xbff00000
	s_waitcnt lgkmcnt(0)
	s_add_u32 s0, s2, s4
	s_addc_u32 s4, s3, s5
	v_mov_b32_e32 v1, s4
	v_add_co_u32_e32 v34, vcc, s0, v20
	s_ashr_i32 s3, s1, 31
	s_mov_b32 s2, s1
	v_addc_co_u32_e32 v35, vcc, 0, v1, vcc
	s_lshl_b64 s[2:3], s[2:3], 3
	v_mov_b32_e32 v1, s3
	v_add_co_u32_e32 v36, vcc, s2, v34
	s_add_i32 s2, s1, s1
	v_addc_co_u32_e32 v37, vcc, v35, v1, vcc
	v_add_u32_e32 v1, s2, v0
	v_ashrrev_i32_e32 v2, 31, v1
	v_lshlrev_b64 v[2:3], 3, v[1:2]
	v_add_u32_e32 v1, s1, v1
	v_mov_b32_e32 v4, s4
	v_add_co_u32_e32 v38, vcc, s0, v2
	v_ashrrev_i32_e32 v2, 31, v1
	v_addc_co_u32_e32 v39, vcc, v4, v3, vcc
	v_lshlrev_b64 v[2:3], 3, v[1:2]
	v_add_u32_e32 v1, s1, v1
	v_add_co_u32_e32 v40, vcc, s0, v2
	v_ashrrev_i32_e32 v2, 31, v1
	v_addc_co_u32_e32 v41, vcc, v4, v3, vcc
	v_lshlrev_b64 v[2:3], 3, v[1:2]
	v_add_u32_e32 v1, s1, v1
	v_add_co_u32_e32 v42, vcc, s0, v2
	v_ashrrev_i32_e32 v2, 31, v1
	v_lshlrev_b64 v[1:2], 3, v[1:2]
	v_addc_co_u32_e32 v43, vcc, v4, v3, vcc
	v_mov_b32_e32 v3, s4
	v_add_co_u32_e32 v44, vcc, s0, v1
	v_addc_co_u32_e32 v45, vcc, v3, v2, vcc
	flat_load_dwordx2 v[2:3], v[34:35]
	flat_load_dwordx2 v[4:5], v[36:37]
	;; [unrolled: 1-line block ×6, first 2 shown]
	s_cmpk_lg_i32 s13, 0x84
	s_cselect_b64 s[14:15], -1, 0
	s_cmpk_eq_i32 s13, 0x84
	v_mov_b32_e32 v1, 0
	s_cbranch_scc1 .LBB69_3
; %bb.2:
	v_cmp_eq_u32_e64 s[0:1], 1, v0
	s_waitcnt vmcnt(0) lgkmcnt(0)
	v_cndmask_b32_e64 v14, v3, v5, s[0:1]
	v_cmp_eq_u32_e64 s[2:3], 2, v0
	v_cndmask_b32_e64 v14, v14, v7, s[2:3]
	v_cmp_eq_u32_e64 s[4:5], 3, v0
	;; [unrolled: 2-line block ×4, first 2 shown]
	v_cndmask_b32_e64 v15, v14, v13, s[8:9]
	v_cndmask_b32_e64 v14, v2, v4, s[0:1]
	;; [unrolled: 1-line block ×6, first 2 shown]
	v_div_scale_f64 v[16:17], s[10:11], v[14:15], v[14:15], 1.0
	v_rcp_f64_e32 v[18:19], v[16:17]
	v_fma_f64 v[21:22], -v[16:17], v[18:19], 1.0
	v_fma_f64 v[18:19], v[18:19], v[21:22], v[18:19]
	v_div_scale_f64 v[21:22], vcc, 1.0, v[14:15], 1.0
	v_fma_f64 v[23:24], -v[16:17], v[18:19], 1.0
	v_fma_f64 v[18:19], v[18:19], v[23:24], v[18:19]
	v_mul_f64 v[23:24], v[21:22], v[18:19]
	v_fma_f64 v[16:17], -v[16:17], v[23:24], v[21:22]
	v_div_fmas_f64 v[16:17], v[16:17], v[18:19], v[23:24]
	v_cmp_eq_u32_e32 vcc, 0, v0
	v_div_fixup_f64 v[18:19], v[16:17], v[14:15], 1.0
	v_cndmask_b32_e64 v13, v13, v19, s[8:9]
	v_cndmask_b32_e64 v12, v12, v18, s[8:9]
	;; [unrolled: 1-line block ×10, first 2 shown]
	v_cndmask_b32_e32 v3, v3, v19, vcc
	v_cndmask_b32_e32 v2, v2, v18, vcc
	v_xor_b32_e32 v19, 0x80000000, v19
.LBB69_3:
	s_cmpk_eq_i32 s12, 0x79
	v_add_u32_e32 v48, 48, v20
	ds_write_b64 v20, v[18:19]
	s_cbranch_scc1 .LBB69_7
; %bb.4:
	s_waitcnt vmcnt(0) lgkmcnt(0)
	v_mov_b32_e32 v33, v17
	v_mov_b32_e32 v32, v16
	;; [unrolled: 1-line block ×16, first 2 shown]
	v_cmp_eq_u32_e64 s[0:1], 5, v0
	ds_write_b64 v48, v[10:11]
	s_waitcnt lgkmcnt(0)
	; wave barrier
	s_and_saveexec_b64 s[10:11], s[0:1]
	s_cbranch_execz .LBB69_11
; %bb.5:
	s_and_b64 vcc, exec, s[14:15]
	s_cbranch_vccz .LBB69_8
; %bb.6:
	v_cmp_eq_u32_e32 vcc, 1, v0
	v_cndmask_b32_e32 v18, v3, v5, vcc
	v_cmp_eq_u32_e64 s[2:3], 2, v0
	v_cndmask_b32_e64 v18, v18, v7, s[2:3]
	v_cmp_eq_u32_e64 s[4:5], 3, v0
	v_cndmask_b32_e64 v18, v18, v9, s[4:5]
	;; [unrolled: 2-line block ×4, first 2 shown]
	v_cndmask_b32_e32 v18, v2, v4, vcc
	ds_read_b64 v[20:21], v48
	v_cndmask_b32_e64 v18, v18, v6, s[2:3]
	v_cndmask_b32_e64 v18, v18, v8, s[4:5]
	v_cndmask_b32_e64 v18, v18, v10, s[6:7]
	v_cndmask_b32_e64 v18, v18, v12, s[8:9]
	s_waitcnt lgkmcnt(0)
	v_mul_f64 v[20:21], v[18:19], v[20:21]
	s_cbranch_execz .LBB69_9
	s_branch .LBB69_10
.LBB69_7:
                                        ; implicit-def: $vgpr18_vgpr19_vgpr20_vgpr21_vgpr22_vgpr23_vgpr24_vgpr25_vgpr26_vgpr27_vgpr28_vgpr29_vgpr30_vgpr31_vgpr32_vgpr33
	s_cbranch_execnz .LBB69_66
	s_branch .LBB69_107
.LBB69_8:
                                        ; implicit-def: $vgpr20_vgpr21
.LBB69_9:
	ds_read_b64 v[20:21], v48
.LBB69_10:
	v_mov_b32_e32 v18, 0
	ds_read_b64 v[22:23], v18 offset:32
	v_mov_b32_e32 v18, v2
	v_mov_b32_e32 v19, v3
	;; [unrolled: 1-line block ×4, first 2 shown]
	s_waitcnt lgkmcnt(0)
	v_mul_f64 v[26:27], v[20:21], v[22:23]
	v_mov_b32_e32 v20, v4
	v_mov_b32_e32 v21, v5
	;; [unrolled: 1-line block ×6, first 2 shown]
.LBB69_11:
	s_or_b64 exec, exec, s[10:11]
	v_cmp_lt_u32_e64 s[2:3], 3, v0
	ds_write_b64 v48, v[24:25]
	s_waitcnt lgkmcnt(0)
	; wave barrier
	s_and_saveexec_b64 s[12:13], s[2:3]
	s_cbranch_execz .LBB69_17
; %bb.12:
	s_andn2_b64 vcc, exec, s[14:15]
	s_cbranch_vccnz .LBB69_14
; %bb.13:
	v_cmp_eq_u32_e32 vcc, 1, v0
	v_cndmask_b32_e32 v30, v19, v21, vcc
	v_cmp_eq_u32_e64 s[4:5], 2, v0
	v_cndmask_b32_e64 v30, v30, v23, s[4:5]
	v_cmp_eq_u32_e64 s[6:7], 3, v0
	v_cndmask_b32_e64 v25, v30, v25, s[6:7]
	v_cndmask_b32_e32 v32, v18, v20, vcc
	ds_read_b64 v[30:31], v48
	v_cndmask_b32_e64 v32, v32, v22, s[4:5]
	v_cmp_eq_u32_e64 s[8:9], 4, v0
	v_cndmask_b32_e64 v24, v32, v24, s[6:7]
	v_cndmask_b32_e64 v25, v25, v27, s[8:9]
	v_cmp_eq_u32_e64 s[10:11], 5, v0
	v_cndmask_b32_e64 v24, v24, v26, s[8:9]
	v_cndmask_b32_e64 v25, v25, v29, s[10:11]
	;; [unrolled: 1-line block ×3, first 2 shown]
	s_waitcnt lgkmcnt(0)
	v_mul_f64 v[24:25], v[24:25], v[30:31]
	s_cbranch_execz .LBB69_15
	s_branch .LBB69_16
.LBB69_14:
                                        ; implicit-def: $vgpr24_vgpr25
.LBB69_15:
	ds_read_b64 v[24:25], v48
.LBB69_16:
	v_mov_b32_e32 v30, 0
	ds_read2_b64 v[30:33], v30 offset0:3 offset1:10
	s_waitcnt lgkmcnt(0)
	v_fma_f64 v[32:33], v[26:27], v[32:33], v[24:25]
	v_cndmask_b32_e64 v25, v25, v33, s[0:1]
	v_cndmask_b32_e64 v24, v24, v32, s[0:1]
	v_mul_f64 v[24:25], v[24:25], v[30:31]
.LBB69_17:
	s_or_b64 exec, exec, s[12:13]
	v_cmp_lt_u32_e64 s[0:1], 2, v0
	ds_write_b64 v48, v[22:23]
	s_waitcnt lgkmcnt(0)
	; wave barrier
	s_and_saveexec_b64 s[12:13], s[0:1]
	s_cbranch_execz .LBB69_33
; %bb.18:
	s_andn2_b64 vcc, exec, s[14:15]
	s_cbranch_vccnz .LBB69_20
; %bb.19:
	v_cmp_eq_u32_e32 vcc, 1, v0
	v_cndmask_b32_e32 v46, v19, v21, vcc
	v_cmp_eq_u32_e64 s[4:5], 2, v0
	v_cndmask_b32_e64 v46, v46, v23, s[4:5]
	v_cmp_eq_u32_e64 s[6:7], 3, v0
	v_cndmask_b32_e64 v46, v46, v25, s[6:7]
	;; [unrolled: 2-line block ×4, first 2 shown]
	v_cndmask_b32_e32 v46, v18, v20, vcc
	ds_read_b64 v[49:50], v48
	v_cndmask_b32_e64 v46, v46, v22, s[4:5]
	v_cndmask_b32_e64 v46, v46, v24, s[6:7]
	v_cndmask_b32_e64 v46, v46, v26, s[8:9]
	v_cndmask_b32_e64 v46, v46, v28, s[10:11]
	s_waitcnt lgkmcnt(0)
	v_mul_f64 v[46:47], v[46:47], v[49:50]
	s_cbranch_execz .LBB69_21
	s_branch .LBB69_22
.LBB69_20:
                                        ; implicit-def: $vgpr46_vgpr47
.LBB69_21:
	ds_read_b64 v[46:47], v48
.LBB69_22:
	s_and_saveexec_b64 s[4:5], s[2:3]
	s_cbranch_execz .LBB69_32
; %bb.23:
	v_add_u32_e32 v50, -4, v0
	v_add_u32_e32 v49, -3, v0
	v_cmp_lt_u32_e32 vcc, 6, v50
	v_mov_b32_e32 v51, 3
	s_and_saveexec_b64 s[2:3], vcc
	s_cbranch_execz .LBB69_27
; %bb.24:
	v_and_b32_e32 v50, -8, v49
	v_sub_u32_e32 v50, 0, v50
	s_mov_b64 s[6:7], 10
	s_movk_i32 s10, 0x48
	s_mov_b64 s[8:9], 0
.LBB69_25:                              ; =>This Inner Loop Header: Depth=1
	s_lshl_b32 s11, s6, 1
	s_add_i32 s16, s11, -13
	v_mov_b32_e32 v57, s10
	s_add_i32 s17, s11, -14
	s_set_gpr_idx_on s16, gpr_idx(SRC0)
	v_mov_b32_e32 v56, v18
	s_set_gpr_idx_off
	s_set_gpr_idx_on s17, gpr_idx(SRC0)
	v_mov_b32_e32 v55, v18
	s_set_gpr_idx_off
	ds_read2_b64 v[51:54], v57 offset1:1
	s_add_i32 s16, s11, -11
	s_add_i32 s17, s11, -12
	;; [unrolled: 1-line block ×4, first 2 shown]
	s_waitcnt lgkmcnt(0)
	v_fma_f64 v[46:47], v[55:56], v[51:52], v[46:47]
	s_set_gpr_idx_on s16, gpr_idx(SRC0)
	v_mov_b32_e32 v52, v18
	s_set_gpr_idx_off
	s_set_gpr_idx_on s17, gpr_idx(SRC0)
	v_mov_b32_e32 v51, v18
	s_set_gpr_idx_off
	s_add_i32 s16, s11, -7
	s_add_i32 s17, s11, -8
	v_fma_f64 v[46:47], v[51:52], v[53:54], v[46:47]
	s_set_gpr_idx_on s18, gpr_idx(SRC0)
	v_mov_b32_e32 v56, v18
	s_set_gpr_idx_off
	s_set_gpr_idx_on s19, gpr_idx(SRC0)
	v_mov_b32_e32 v55, v18
	s_set_gpr_idx_off
	ds_read2_b64 v[51:54], v57 offset0:2 offset1:3
	s_add_i32 s18, s11, -5
	s_add_i32 s19, s11, -6
	s_waitcnt lgkmcnt(0)
	v_fma_f64 v[46:47], v[55:56], v[51:52], v[46:47]
	s_set_gpr_idx_on s16, gpr_idx(SRC0)
	v_mov_b32_e32 v52, v18
	s_set_gpr_idx_off
	s_set_gpr_idx_on s17, gpr_idx(SRC0)
	v_mov_b32_e32 v51, v18
	s_set_gpr_idx_off
	s_add_i32 s16, s11, -3
	s_add_i32 s17, s11, -4
	v_fma_f64 v[46:47], v[51:52], v[53:54], v[46:47]
	s_set_gpr_idx_on s18, gpr_idx(SRC0)
	v_mov_b32_e32 v56, v18
	s_set_gpr_idx_off
	s_set_gpr_idx_on s19, gpr_idx(SRC0)
	v_mov_b32_e32 v55, v18
	s_set_gpr_idx_off
	ds_read2_b64 v[51:54], v57 offset0:4 offset1:5
	s_add_i32 s18, s11, -1
	s_add_i32 s19, s11, -2
	s_add_u32 s6, s6, 8
	s_addc_u32 s7, s7, 0
	s_waitcnt lgkmcnt(0)
	v_fma_f64 v[46:47], v[55:56], v[51:52], v[46:47]
	s_set_gpr_idx_on s16, gpr_idx(SRC0)
	v_mov_b32_e32 v52, v18
	s_set_gpr_idx_off
	s_set_gpr_idx_on s17, gpr_idx(SRC0)
	v_mov_b32_e32 v51, v18
	s_set_gpr_idx_off
	s_add_i32 s10, s10, 64
	v_fma_f64 v[46:47], v[51:52], v[53:54], v[46:47]
	s_set_gpr_idx_on s18, gpr_idx(SRC0)
	v_mov_b32_e32 v56, v18
	s_set_gpr_idx_off
	s_set_gpr_idx_on s19, gpr_idx(SRC0)
	v_mov_b32_e32 v55, v18
	s_set_gpr_idx_off
	ds_read2_b64 v[51:54], v57 offset0:6 offset1:7
	s_waitcnt lgkmcnt(0)
	v_fma_f64 v[46:47], v[55:56], v[51:52], v[46:47]
	s_set_gpr_idx_on s11, gpr_idx(SRC0)
	v_mov_b32_e32 v52, v19
	v_mov_b32_e32 v51, v18
	s_set_gpr_idx_off
	s_add_i32 s11, s6, -7
	v_fma_f64 v[46:47], v[51:52], v[53:54], v[46:47]
	v_add_u32_e32 v51, s6, v50
	v_cmp_eq_u32_e32 vcc, 10, v51
	s_or_b64 s[8:9], vcc, s[8:9]
	v_mov_b32_e32 v51, s11
	s_andn2_b64 exec, exec, s[8:9]
	s_cbranch_execnz .LBB69_25
; %bb.26:
	s_or_b64 exec, exec, s[8:9]
.LBB69_27:
	s_or_b64 exec, exec, s[2:3]
	v_and_b32_e32 v30, 7, v49
	v_cmp_ne_u32_e32 vcc, 0, v30
	s_and_saveexec_b64 s[6:7], vcc
	s_cbranch_execz .LBB69_31
; %bb.28:
	v_lshl_add_u32 v31, v51, 3, 48
	v_mov_b32_e32 v32, 0
	s_mov_b64 s[8:9], 0
.LBB69_29:                              ; =>This Inner Loop Header: Depth=1
	v_cmp_eq_u32_e32 vcc, 1, v51
	v_cndmask_b32_e32 v33, v19, v21, vcc
	v_cmp_eq_u32_e64 s[2:3], 2, v51
	ds_read_b64 v[49:50], v31
	v_cndmask_b32_e64 v33, v33, v23, s[2:3]
	v_cndmask_b32_e32 v52, v18, v20, vcc
	v_cmp_eq_u32_e32 vcc, 3, v51
	v_cndmask_b32_e32 v33, v33, v25, vcc
	v_cndmask_b32_e64 v52, v52, v22, s[2:3]
	v_cmp_eq_u32_e64 s[2:3], 4, v51
	v_cndmask_b32_e64 v33, v33, v27, s[2:3]
	v_cndmask_b32_e32 v52, v52, v24, vcc
	v_cmp_eq_u32_e32 vcc, 5, v51
	v_cndmask_b32_e32 v53, v33, v29, vcc
	v_cndmask_b32_e64 v33, v52, v26, s[2:3]
	v_cndmask_b32_e32 v52, v33, v28, vcc
	s_waitcnt lgkmcnt(0)
	v_fma_f64 v[46:47], v[52:53], v[49:50], v[46:47]
	v_add_u32_e32 v30, -1, v30
	v_cmp_eq_u32_e32 vcc, 0, v30
	s_or_b64 s[8:9], vcc, s[8:9]
	v_add_co_u32_e32 v51, vcc, 1, v51
	v_add_u32_e32 v31, 8, v31
	v_addc_co_u32_e32 v32, vcc, 0, v32, vcc
	s_andn2_b64 exec, exec, s[8:9]
	s_cbranch_execnz .LBB69_29
; %bb.30:
	s_or_b64 exec, exec, s[8:9]
.LBB69_31:
	s_or_b64 exec, exec, s[6:7]
.LBB69_32:
	s_or_b64 exec, exec, s[4:5]
	v_mov_b32_e32 v22, 0
	ds_read_b64 v[22:23], v22 offset:16
	s_waitcnt lgkmcnt(0)
	v_mul_f64 v[22:23], v[46:47], v[22:23]
.LBB69_33:
	s_or_b64 exec, exec, s[12:13]
	v_cmp_lt_u32_e64 s[2:3], 1, v0
	ds_write_b64 v48, v[20:21]
	s_waitcnt lgkmcnt(0)
	; wave barrier
	s_and_saveexec_b64 s[12:13], s[2:3]
	s_cbranch_execz .LBB69_49
; %bb.34:
	s_andn2_b64 vcc, exec, s[14:15]
	s_cbranch_vccnz .LBB69_36
; %bb.35:
	v_cmp_eq_u32_e32 vcc, 1, v0
	v_cndmask_b32_e32 v46, v19, v21, vcc
	v_cmp_eq_u32_e64 s[4:5], 2, v0
	v_cndmask_b32_e64 v46, v46, v23, s[4:5]
	v_cmp_eq_u32_e64 s[6:7], 3, v0
	v_cndmask_b32_e64 v46, v46, v25, s[6:7]
	;; [unrolled: 2-line block ×4, first 2 shown]
	v_cndmask_b32_e32 v46, v18, v20, vcc
	ds_read_b64 v[49:50], v48
	v_cndmask_b32_e64 v46, v46, v22, s[4:5]
	v_cndmask_b32_e64 v46, v46, v24, s[6:7]
	;; [unrolled: 1-line block ×4, first 2 shown]
	s_waitcnt lgkmcnt(0)
	v_mul_f64 v[46:47], v[46:47], v[49:50]
	s_cbranch_execz .LBB69_37
	s_branch .LBB69_38
.LBB69_36:
                                        ; implicit-def: $vgpr46_vgpr47
.LBB69_37:
	ds_read_b64 v[46:47], v48
.LBB69_38:
	s_and_saveexec_b64 s[4:5], s[0:1]
	s_cbranch_execz .LBB69_48
; %bb.39:
	v_add_u32_e32 v50, -3, v0
	v_add_u32_e32 v49, -2, v0
	v_cmp_lt_u32_e32 vcc, 6, v50
	v_mov_b32_e32 v51, 2
	s_and_saveexec_b64 s[0:1], vcc
	s_cbranch_execz .LBB69_43
; %bb.40:
	v_and_b32_e32 v50, -8, v49
	v_sub_u32_e32 v50, 0, v50
	s_mov_b64 s[6:7], 9
	s_mov_b32 s10, 64
	s_mov_b64 s[8:9], 0
.LBB69_41:                              ; =>This Inner Loop Header: Depth=1
	s_lshl_b32 s11, s6, 1
	s_add_i32 s16, s11, -13
	v_mov_b32_e32 v63, s10
	s_add_i32 s17, s11, -14
	s_set_gpr_idx_on s16, gpr_idx(SRC0)
	v_mov_b32_e32 v56, v18
	s_set_gpr_idx_off
	s_set_gpr_idx_on s17, gpr_idx(SRC0)
	v_mov_b32_e32 v55, v18
	s_set_gpr_idx_off
	ds_read_b128 v[51:54], v63
	s_add_i32 s16, s11, -11
	s_add_i32 s17, s11, -12
	s_waitcnt lgkmcnt(0)
	v_fma_f64 v[46:47], v[55:56], v[51:52], v[46:47]
	ds_read_b128 v[55:58], v63 offset:16
	ds_read_b128 v[59:62], v63 offset:32
	;; [unrolled: 1-line block ×3, first 2 shown]
	s_set_gpr_idx_on s16, gpr_idx(SRC0)
	v_mov_b32_e32 v52, v18
	s_set_gpr_idx_off
	s_set_gpr_idx_on s17, gpr_idx(SRC0)
	v_mov_b32_e32 v51, v18
	s_set_gpr_idx_off
	s_add_i32 s16, s11, -9
	s_add_i32 s17, s11, -10
	v_fma_f64 v[46:47], v[51:52], v[53:54], v[46:47]
	s_set_gpr_idx_on s16, gpr_idx(SRC0)
	v_mov_b32_e32 v52, v18
	s_set_gpr_idx_off
	s_set_gpr_idx_on s17, gpr_idx(SRC0)
	v_mov_b32_e32 v51, v18
	s_set_gpr_idx_off
	s_add_i32 s16, s11, -7
	s_add_i32 s17, s11, -8
	s_waitcnt lgkmcnt(2)
	v_fma_f64 v[46:47], v[51:52], v[55:56], v[46:47]
	s_set_gpr_idx_on s16, gpr_idx(SRC0)
	v_mov_b32_e32 v52, v18
	s_set_gpr_idx_off
	s_set_gpr_idx_on s17, gpr_idx(SRC0)
	v_mov_b32_e32 v51, v18
	s_set_gpr_idx_off
	s_add_i32 s16, s11, -5
	s_add_i32 s17, s11, -6
	v_fma_f64 v[46:47], v[51:52], v[57:58], v[46:47]
	s_set_gpr_idx_on s16, gpr_idx(SRC0)
	v_mov_b32_e32 v52, v18
	s_set_gpr_idx_off
	s_set_gpr_idx_on s17, gpr_idx(SRC0)
	v_mov_b32_e32 v51, v18
	s_set_gpr_idx_off
	s_add_i32 s16, s11, -3
	s_add_i32 s17, s11, -4
	s_waitcnt lgkmcnt(1)
	v_fma_f64 v[46:47], v[51:52], v[59:60], v[46:47]
	s_set_gpr_idx_on s16, gpr_idx(SRC0)
	v_mov_b32_e32 v52, v18
	s_set_gpr_idx_off
	s_set_gpr_idx_on s17, gpr_idx(SRC0)
	v_mov_b32_e32 v51, v18
	s_set_gpr_idx_off
	s_add_i32 s16, s11, -1
	s_add_i32 s17, s11, -2
	s_add_u32 s6, s6, 8
	s_addc_u32 s7, s7, 0
	s_add_i32 s10, s10, 64
	v_fma_f64 v[46:47], v[51:52], v[61:62], v[46:47]
	s_set_gpr_idx_on s16, gpr_idx(SRC0)
	v_mov_b32_e32 v52, v18
	s_set_gpr_idx_off
	s_set_gpr_idx_on s17, gpr_idx(SRC0)
	v_mov_b32_e32 v51, v18
	s_set_gpr_idx_off
	s_waitcnt lgkmcnt(0)
	v_fma_f64 v[46:47], v[51:52], v[63:64], v[46:47]
	s_set_gpr_idx_on s11, gpr_idx(SRC0)
	v_mov_b32_e32 v52, v19
	v_mov_b32_e32 v51, v18
	s_set_gpr_idx_off
	s_add_i32 s11, s6, -7
	v_fma_f64 v[46:47], v[51:52], v[65:66], v[46:47]
	v_add_u32_e32 v51, s6, v50
	v_cmp_eq_u32_e32 vcc, 9, v51
	s_or_b64 s[8:9], vcc, s[8:9]
	v_mov_b32_e32 v51, s11
	s_andn2_b64 exec, exec, s[8:9]
	s_cbranch_execnz .LBB69_41
; %bb.42:
	s_or_b64 exec, exec, s[8:9]
.LBB69_43:
	s_or_b64 exec, exec, s[0:1]
	v_and_b32_e32 v30, 7, v49
	v_cmp_ne_u32_e32 vcc, 0, v30
	s_and_saveexec_b64 s[6:7], vcc
	s_cbranch_execz .LBB69_47
; %bb.44:
	v_lshl_add_u32 v31, v51, 3, 48
	v_mov_b32_e32 v32, 0
	s_mov_b64 s[8:9], 0
.LBB69_45:                              ; =>This Inner Loop Header: Depth=1
	v_cmp_eq_u32_e32 vcc, 1, v51
	v_cndmask_b32_e32 v33, v19, v21, vcc
	v_cmp_eq_u32_e64 s[0:1], 2, v51
	ds_read_b64 v[49:50], v31
	v_cndmask_b32_e64 v33, v33, v23, s[0:1]
	v_cndmask_b32_e32 v52, v18, v20, vcc
	v_cmp_eq_u32_e32 vcc, 3, v51
	v_cndmask_b32_e32 v33, v33, v25, vcc
	v_cndmask_b32_e64 v52, v52, v22, s[0:1]
	v_cmp_eq_u32_e64 s[0:1], 4, v51
	v_cndmask_b32_e64 v33, v33, v27, s[0:1]
	v_cndmask_b32_e32 v52, v52, v24, vcc
	v_cmp_eq_u32_e32 vcc, 5, v51
	v_cndmask_b32_e32 v53, v33, v29, vcc
	v_cndmask_b32_e64 v33, v52, v26, s[0:1]
	v_cndmask_b32_e32 v52, v33, v28, vcc
	s_waitcnt lgkmcnt(0)
	v_fma_f64 v[46:47], v[52:53], v[49:50], v[46:47]
	v_add_u32_e32 v30, -1, v30
	v_cmp_eq_u32_e32 vcc, 0, v30
	s_or_b64 s[8:9], vcc, s[8:9]
	v_add_co_u32_e32 v51, vcc, 1, v51
	v_add_u32_e32 v31, 8, v31
	v_addc_co_u32_e32 v32, vcc, 0, v32, vcc
	s_andn2_b64 exec, exec, s[8:9]
	s_cbranch_execnz .LBB69_45
; %bb.46:
	s_or_b64 exec, exec, s[8:9]
.LBB69_47:
	s_or_b64 exec, exec, s[6:7]
.LBB69_48:
	s_or_b64 exec, exec, s[4:5]
	v_mov_b32_e32 v20, 0
	ds_read_b64 v[20:21], v20 offset:8
	s_waitcnt lgkmcnt(0)
	v_mul_f64 v[20:21], v[46:47], v[20:21]
.LBB69_49:
	s_or_b64 exec, exec, s[12:13]
	v_cmp_ne_u32_e32 vcc, 0, v0
	ds_write_b64 v48, v[18:19]
	s_waitcnt lgkmcnt(0)
	; wave barrier
	s_and_saveexec_b64 s[10:11], vcc
	s_cbranch_execz .LBB69_65
; %bb.50:
	s_andn2_b64 vcc, exec, s[14:15]
	s_cbranch_vccnz .LBB69_52
; %bb.51:
	v_cmp_eq_u32_e32 vcc, 1, v0
	v_cndmask_b32_e32 v46, v19, v21, vcc
	v_cmp_eq_u32_e64 s[0:1], 2, v0
	v_cndmask_b32_e64 v46, v46, v23, s[0:1]
	v_cmp_eq_u32_e64 s[4:5], 3, v0
	v_cndmask_b32_e64 v46, v46, v25, s[4:5]
	;; [unrolled: 2-line block ×4, first 2 shown]
	v_cndmask_b32_e32 v46, v18, v20, vcc
	ds_read_b64 v[49:50], v48
	v_cndmask_b32_e64 v46, v46, v22, s[0:1]
	v_cndmask_b32_e64 v46, v46, v24, s[4:5]
	;; [unrolled: 1-line block ×4, first 2 shown]
	s_waitcnt lgkmcnt(0)
	v_mul_f64 v[46:47], v[46:47], v[49:50]
	s_cbranch_execz .LBB69_53
	s_branch .LBB69_54
.LBB69_52:
                                        ; implicit-def: $vgpr46_vgpr47
.LBB69_53:
	ds_read_b64 v[46:47], v48
.LBB69_54:
	s_and_saveexec_b64 s[4:5], s[2:3]
	s_cbranch_execz .LBB69_64
; %bb.55:
	v_add_u32_e32 v50, -2, v0
	v_add_u32_e32 v49, -1, v0
	v_cmp_lt_u32_e32 vcc, 6, v50
	v_mov_b32_e32 v51, 1
	s_and_saveexec_b64 s[0:1], vcc
	s_cbranch_execz .LBB69_59
; %bb.56:
	v_and_b32_e32 v50, -8, v49
	v_sub_u32_e32 v50, 0, v50
	s_mov_b64 s[2:3], 8
	s_mov_b32 s8, 56
	s_mov_b64 s[6:7], 0
.LBB69_57:                              ; =>This Inner Loop Header: Depth=1
	s_lshl_b32 s9, s2, 1
	s_add_i32 s12, s9, -13
	v_mov_b32_e32 v57, s8
	s_add_i32 s13, s9, -14
	s_set_gpr_idx_on s12, gpr_idx(SRC0)
	v_mov_b32_e32 v56, v18
	s_set_gpr_idx_off
	s_set_gpr_idx_on s13, gpr_idx(SRC0)
	v_mov_b32_e32 v55, v18
	s_set_gpr_idx_off
	ds_read2_b64 v[51:54], v57 offset1:1
	s_add_i32 s12, s9, -11
	s_add_i32 s13, s9, -12
	s_add_i32 s16, s9, -9
	s_add_i32 s17, s9, -10
	s_waitcnt lgkmcnt(0)
	v_fma_f64 v[46:47], v[55:56], v[51:52], v[46:47]
	s_set_gpr_idx_on s12, gpr_idx(SRC0)
	v_mov_b32_e32 v52, v18
	s_set_gpr_idx_off
	s_set_gpr_idx_on s13, gpr_idx(SRC0)
	v_mov_b32_e32 v51, v18
	s_set_gpr_idx_off
	s_add_i32 s12, s9, -7
	s_add_i32 s13, s9, -8
	v_fma_f64 v[46:47], v[51:52], v[53:54], v[46:47]
	s_set_gpr_idx_on s16, gpr_idx(SRC0)
	v_mov_b32_e32 v56, v18
	s_set_gpr_idx_off
	s_set_gpr_idx_on s17, gpr_idx(SRC0)
	v_mov_b32_e32 v55, v18
	s_set_gpr_idx_off
	ds_read2_b64 v[51:54], v57 offset0:2 offset1:3
	s_add_i32 s16, s9, -5
	s_add_i32 s17, s9, -6
	s_waitcnt lgkmcnt(0)
	v_fma_f64 v[46:47], v[55:56], v[51:52], v[46:47]
	s_set_gpr_idx_on s12, gpr_idx(SRC0)
	v_mov_b32_e32 v52, v18
	s_set_gpr_idx_off
	s_set_gpr_idx_on s13, gpr_idx(SRC0)
	v_mov_b32_e32 v51, v18
	s_set_gpr_idx_off
	s_add_i32 s12, s9, -3
	s_add_i32 s13, s9, -4
	v_fma_f64 v[46:47], v[51:52], v[53:54], v[46:47]
	s_set_gpr_idx_on s16, gpr_idx(SRC0)
	v_mov_b32_e32 v56, v18
	s_set_gpr_idx_off
	s_set_gpr_idx_on s17, gpr_idx(SRC0)
	v_mov_b32_e32 v55, v18
	s_set_gpr_idx_off
	ds_read2_b64 v[51:54], v57 offset0:4 offset1:5
	s_add_i32 s16, s9, -1
	s_add_i32 s17, s9, -2
	s_add_u32 s2, s2, 8
	s_addc_u32 s3, s3, 0
	s_waitcnt lgkmcnt(0)
	v_fma_f64 v[46:47], v[55:56], v[51:52], v[46:47]
	s_set_gpr_idx_on s12, gpr_idx(SRC0)
	v_mov_b32_e32 v52, v18
	s_set_gpr_idx_off
	s_set_gpr_idx_on s13, gpr_idx(SRC0)
	v_mov_b32_e32 v51, v18
	s_set_gpr_idx_off
	s_add_i32 s8, s8, 64
	v_fma_f64 v[46:47], v[51:52], v[53:54], v[46:47]
	s_set_gpr_idx_on s16, gpr_idx(SRC0)
	v_mov_b32_e32 v56, v18
	s_set_gpr_idx_off
	s_set_gpr_idx_on s17, gpr_idx(SRC0)
	v_mov_b32_e32 v55, v18
	s_set_gpr_idx_off
	ds_read2_b64 v[51:54], v57 offset0:6 offset1:7
	s_waitcnt lgkmcnt(0)
	v_fma_f64 v[46:47], v[55:56], v[51:52], v[46:47]
	s_set_gpr_idx_on s9, gpr_idx(SRC0)
	v_mov_b32_e32 v52, v19
	v_mov_b32_e32 v51, v18
	s_set_gpr_idx_off
	s_add_i32 s9, s2, -7
	v_fma_f64 v[46:47], v[51:52], v[53:54], v[46:47]
	v_add_u32_e32 v51, s2, v50
	v_cmp_eq_u32_e32 vcc, 8, v51
	s_or_b64 s[6:7], vcc, s[6:7]
	v_mov_b32_e32 v51, s9
	s_andn2_b64 exec, exec, s[6:7]
	s_cbranch_execnz .LBB69_57
; %bb.58:
	s_or_b64 exec, exec, s[6:7]
.LBB69_59:
	s_or_b64 exec, exec, s[0:1]
	v_and_b32_e32 v30, 7, v49
	v_cmp_ne_u32_e32 vcc, 0, v30
	s_and_saveexec_b64 s[2:3], vcc
	s_cbranch_execz .LBB69_63
; %bb.60:
	v_lshl_add_u32 v31, v51, 3, 48
	v_mov_b32_e32 v32, 0
	s_mov_b64 s[6:7], 0
.LBB69_61:                              ; =>This Inner Loop Header: Depth=1
	v_cmp_eq_u32_e32 vcc, 1, v51
	v_cndmask_b32_e32 v33, v19, v21, vcc
	v_cmp_eq_u32_e64 s[0:1], 2, v51
	ds_read_b64 v[49:50], v31
	v_cndmask_b32_e64 v33, v33, v23, s[0:1]
	v_cndmask_b32_e32 v52, v18, v20, vcc
	v_cmp_eq_u32_e32 vcc, 3, v51
	v_cndmask_b32_e32 v33, v33, v25, vcc
	v_cndmask_b32_e64 v52, v52, v22, s[0:1]
	v_cmp_eq_u32_e64 s[0:1], 4, v51
	v_cndmask_b32_e64 v33, v33, v27, s[0:1]
	v_cndmask_b32_e32 v52, v52, v24, vcc
	v_cmp_eq_u32_e32 vcc, 5, v51
	v_cndmask_b32_e32 v53, v33, v29, vcc
	v_cndmask_b32_e64 v33, v52, v26, s[0:1]
	v_cndmask_b32_e32 v52, v33, v28, vcc
	s_waitcnt lgkmcnt(0)
	v_fma_f64 v[46:47], v[52:53], v[49:50], v[46:47]
	v_add_u32_e32 v30, -1, v30
	v_cmp_eq_u32_e32 vcc, 0, v30
	s_or_b64 s[6:7], vcc, s[6:7]
	v_add_co_u32_e32 v51, vcc, 1, v51
	v_add_u32_e32 v31, 8, v31
	v_addc_co_u32_e32 v32, vcc, 0, v32, vcc
	s_andn2_b64 exec, exec, s[6:7]
	s_cbranch_execnz .LBB69_61
; %bb.62:
	s_or_b64 exec, exec, s[6:7]
.LBB69_63:
	s_or_b64 exec, exec, s[2:3]
.LBB69_64:
	s_or_b64 exec, exec, s[4:5]
	v_mov_b32_e32 v18, 0
	ds_read_b64 v[18:19], v18
	s_waitcnt lgkmcnt(0)
	v_mul_f64 v[18:19], v[46:47], v[18:19]
.LBB69_65:
	s_or_b64 exec, exec, s[10:11]
	s_branch .LBB69_107
.LBB69_66:
	v_cmp_eq_u32_e64 s[2:3], 0, v0
	s_waitcnt vmcnt(0) lgkmcnt(0)
	ds_write_b64 v48, v[4:5]
	s_waitcnt lgkmcnt(0)
	; wave barrier
	s_and_saveexec_b64 s[10:11], s[2:3]
	s_cbranch_execz .LBB69_72
; %bb.67:
	s_and_b64 vcc, exec, s[14:15]
	s_cbranch_vccz .LBB69_69
; %bb.68:
	v_cmp_eq_u32_e32 vcc, 1, v0
	v_cndmask_b32_e32 v5, v3, v5, vcc
	v_cmp_eq_u32_e64 s[0:1], 2, v0
	v_cndmask_b32_e32 v4, v2, v4, vcc
	ds_read_b64 v[14:15], v48
	v_cndmask_b32_e64 v5, v5, v7, s[0:1]
	v_cmp_eq_u32_e64 s[4:5], 3, v0
	v_cndmask_b32_e64 v4, v4, v6, s[0:1]
	v_cndmask_b32_e64 v5, v5, v9, s[4:5]
	v_cmp_eq_u32_e64 s[6:7], 4, v0
	v_cndmask_b32_e64 v4, v4, v8, s[4:5]
	v_cndmask_b32_e64 v5, v5, v11, s[6:7]
	v_cmp_eq_u32_e64 s[8:9], 5, v0
	v_cndmask_b32_e64 v4, v4, v10, s[6:7]
	v_cndmask_b32_e64 v5, v5, v13, s[8:9]
	v_cndmask_b32_e64 v4, v4, v12, s[8:9]
	s_waitcnt lgkmcnt(0)
	v_mul_f64 v[4:5], v[4:5], v[14:15]
	s_cbranch_execz .LBB69_70
	s_branch .LBB69_71
.LBB69_69:
                                        ; implicit-def: $vgpr4_vgpr5
.LBB69_70:
	ds_read_b64 v[4:5], v48
.LBB69_71:
	v_mov_b32_e32 v14, 0
	ds_read_b64 v[14:15], v14 offset:8
	s_waitcnt lgkmcnt(0)
	v_mul_f64 v[4:5], v[4:5], v[14:15]
.LBB69_72:
	s_or_b64 exec, exec, s[10:11]
	v_cndmask_b32_e64 v18, 0, 1, s[14:15]
	v_cmp_gt_u32_e32 vcc, 2, v0
	v_cmp_ne_u32_e64 s[0:1], 1, v18
	ds_write_b64 v48, v[6:7]
	s_waitcnt lgkmcnt(0)
	; wave barrier
	s_and_saveexec_b64 s[12:13], vcc
	s_cbranch_execz .LBB69_78
; %bb.73:
	s_and_b64 vcc, exec, s[0:1]
	s_cbranch_vccnz .LBB69_75
; %bb.74:
	v_cmp_eq_u32_e32 vcc, 1, v0
	v_cndmask_b32_e32 v14, v3, v5, vcc
	v_cmp_eq_u32_e64 s[4:5], 2, v0
	v_cndmask_b32_e64 v7, v14, v7, s[4:5]
	v_cndmask_b32_e32 v16, v2, v4, vcc
	ds_read_b64 v[14:15], v48
	v_cmp_eq_u32_e64 s[6:7], 3, v0
	v_cndmask_b32_e64 v6, v16, v6, s[4:5]
	v_cndmask_b32_e64 v7, v7, v9, s[6:7]
	v_cmp_eq_u32_e64 s[8:9], 4, v0
	v_cndmask_b32_e64 v6, v6, v8, s[6:7]
	v_cndmask_b32_e64 v7, v7, v11, s[8:9]
	;; [unrolled: 3-line block ×3, first 2 shown]
	v_cndmask_b32_e64 v6, v6, v12, s[10:11]
	s_waitcnt lgkmcnt(0)
	v_mul_f64 v[6:7], v[6:7], v[14:15]
	s_cbranch_execz .LBB69_76
	s_branch .LBB69_77
.LBB69_75:
                                        ; implicit-def: $vgpr6_vgpr7
.LBB69_76:
	ds_read_b64 v[6:7], v48
.LBB69_77:
	v_mov_b32_e32 v14, 0
	ds_read2_b64 v[14:17], v14 offset0:2 offset1:7
	s_waitcnt lgkmcnt(0)
	v_fma_f64 v[16:17], v[4:5], v[16:17], v[6:7]
	v_cndmask_b32_e64 v7, v7, v17, s[2:3]
	v_cndmask_b32_e64 v6, v6, v16, s[2:3]
	v_mul_f64 v[6:7], v[6:7], v[14:15]
.LBB69_78:
	s_or_b64 exec, exec, s[12:13]
	v_cmp_gt_u32_e32 vcc, 3, v0
	ds_write_b64 v48, v[8:9]
	s_waitcnt lgkmcnt(0)
	; wave barrier
	s_and_saveexec_b64 s[12:13], vcc
	s_cbranch_execz .LBB69_86
; %bb.79:
	s_and_b64 vcc, exec, s[0:1]
	s_cbranch_vccnz .LBB69_81
; %bb.80:
	v_cmp_eq_u32_e32 vcc, 1, v0
	v_cndmask_b32_e32 v14, v3, v5, vcc
	v_cmp_eq_u32_e64 s[4:5], 2, v0
	v_cndmask_b32_e64 v14, v14, v7, s[4:5]
	v_cmp_eq_u32_e64 s[6:7], 3, v0
	v_cndmask_b32_e64 v14, v14, v9, s[6:7]
	;; [unrolled: 2-line block ×4, first 2 shown]
	v_cndmask_b32_e32 v14, v2, v4, vcc
	ds_read_b64 v[16:17], v48
	v_cndmask_b32_e64 v14, v14, v6, s[4:5]
	v_cndmask_b32_e64 v14, v14, v8, s[6:7]
	;; [unrolled: 1-line block ×4, first 2 shown]
	s_waitcnt lgkmcnt(0)
	v_mul_f64 v[14:15], v[14:15], v[16:17]
	s_cbranch_execz .LBB69_82
	s_branch .LBB69_83
.LBB69_81:
                                        ; implicit-def: $vgpr14_vgpr15
.LBB69_82:
	ds_read_b64 v[14:15], v48
.LBB69_83:
	v_cmp_ne_u32_e32 vcc, 2, v0
	s_and_saveexec_b64 s[14:15], vcc
	s_cbranch_execz .LBB69_85
; %bb.84:
	v_add_u32_e32 v16, 1, v0
	v_cmp_eq_u32_e32 vcc, 1, v16
	v_cndmask_b32_e32 v17, v3, v5, vcc
	v_cmp_eq_u32_e64 s[4:5], 2, v16
	v_cmp_eq_u32_e64 s[6:7], 3, v16
	;; [unrolled: 1-line block ×4, first 2 shown]
	v_cndmask_b32_e32 v16, v2, v4, vcc
	v_cndmask_b32_e64 v17, v17, v7, s[4:5]
	v_cndmask_b32_e64 v16, v16, v6, s[4:5]
	;; [unrolled: 1-line block ×4, first 2 shown]
	ds_read_b64 v[16:17], v48 offset:8
	v_cndmask_b32_e64 v9, v9, v11, s[8:9]
	v_cndmask_b32_e64 v8, v8, v10, s[8:9]
	v_cndmask_b32_e64 v9, v9, v13, s[10:11]
	v_cndmask_b32_e64 v8, v8, v12, s[10:11]
	v_mov_b32_e32 v18, 0
	ds_read_b64 v[18:19], v18 offset:64
	s_waitcnt lgkmcnt(1)
	v_fma_f64 v[8:9], v[8:9], v[16:17], v[14:15]
	s_waitcnt lgkmcnt(0)
	v_fma_f64 v[14:15], v[6:7], v[18:19], v[8:9]
	v_cndmask_b32_e64 v15, v9, v15, s[2:3]
	v_cndmask_b32_e64 v14, v8, v14, s[2:3]
.LBB69_85:
	s_or_b64 exec, exec, s[14:15]
	v_mov_b32_e32 v8, 0
	ds_read_b64 v[8:9], v8 offset:24
	s_waitcnt lgkmcnt(0)
	v_mul_f64 v[8:9], v[14:15], v[8:9]
.LBB69_86:
	s_or_b64 exec, exec, s[12:13]
	v_cmp_gt_u32_e64 s[2:3], 4, v0
	ds_write_b64 v48, v[10:11]
	s_waitcnt lgkmcnt(0)
	; wave barrier
	s_and_saveexec_b64 s[12:13], s[2:3]
	s_cbranch_execz .LBB69_96
; %bb.87:
	s_and_b64 vcc, exec, s[0:1]
	s_cbranch_vccnz .LBB69_89
; %bb.88:
	v_cmp_eq_u32_e32 vcc, 1, v0
	v_cndmask_b32_e32 v14, v3, v5, vcc
	v_cmp_eq_u32_e64 s[4:5], 2, v0
	v_cndmask_b32_e64 v14, v14, v7, s[4:5]
	v_cmp_eq_u32_e64 s[6:7], 3, v0
	v_cndmask_b32_e64 v14, v14, v9, s[6:7]
	;; [unrolled: 2-line block ×4, first 2 shown]
	v_cndmask_b32_e32 v14, v2, v4, vcc
	ds_read_b64 v[16:17], v48
	v_cndmask_b32_e64 v14, v14, v6, s[4:5]
	v_cndmask_b32_e64 v14, v14, v8, s[6:7]
	;; [unrolled: 1-line block ×4, first 2 shown]
	s_waitcnt lgkmcnt(0)
	v_mul_f64 v[14:15], v[14:15], v[16:17]
	s_cbranch_execz .LBB69_90
	s_branch .LBB69_91
.LBB69_89:
                                        ; implicit-def: $vgpr14_vgpr15
.LBB69_90:
	ds_read_b64 v[14:15], v48
.LBB69_91:
	v_cmp_ne_u32_e32 vcc, 3, v0
	s_and_saveexec_b64 s[6:7], vcc
	s_cbranch_execz .LBB69_95
; %bb.92:
	v_mov_b32_e32 v17, v1
	v_lshl_add_u32 v18, v0, 3, 56
	s_mov_b64 s[8:9], 0
	v_mov_b32_e32 v16, v0
.LBB69_93:                              ; =>This Inner Loop Header: Depth=1
	v_add_co_u32_e32 v16, vcc, 1, v16
	v_addc_co_u32_e32 v17, vcc, 0, v17, vcc
	v_cmp_eq_u32_e32 vcc, 1, v16
	v_cndmask_b32_e32 v21, v3, v5, vcc
	v_cmp_eq_u32_e64 s[4:5], 2, v16
	ds_read_b64 v[19:20], v18
	v_cndmask_b32_e64 v21, v21, v7, s[4:5]
	v_cndmask_b32_e32 v22, v2, v4, vcc
	v_cmp_eq_u32_e32 vcc, 3, v16
	v_cndmask_b32_e32 v21, v21, v9, vcc
	v_cndmask_b32_e64 v22, v22, v6, s[4:5]
	v_cmp_eq_u32_e64 s[4:5], 4, v16
	v_cndmask_b32_e64 v21, v21, v11, s[4:5]
	v_cndmask_b32_e32 v23, v22, v8, vcc
	v_cmp_eq_u32_e32 vcc, 5, v16
	v_cndmask_b32_e32 v22, v21, v13, vcc
	v_cndmask_b32_e64 v21, v23, v10, s[4:5]
	v_cndmask_b32_e32 v21, v21, v12, vcc
	s_waitcnt lgkmcnt(0)
	v_fma_f64 v[14:15], v[21:22], v[19:20], v[14:15]
	v_cmp_lt_u32_e32 vcc, 2, v16
	s_or_b64 s[8:9], vcc, s[8:9]
	v_add_u32_e32 v18, 8, v18
	s_andn2_b64 exec, exec, s[8:9]
	s_cbranch_execnz .LBB69_93
; %bb.94:
	s_or_b64 exec, exec, s[8:9]
.LBB69_95:
	s_or_b64 exec, exec, s[6:7]
	v_mov_b32_e32 v10, 0
	ds_read_b64 v[10:11], v10 offset:32
	s_waitcnt lgkmcnt(0)
	v_mul_f64 v[10:11], v[14:15], v[10:11]
.LBB69_96:
	s_or_b64 exec, exec, s[12:13]
	v_cmp_ne_u32_e32 vcc, 5, v0
	ds_write_b64 v48, v[12:13]
	s_waitcnt lgkmcnt(0)
	; wave barrier
	s_and_saveexec_b64 s[10:11], vcc
	s_cbranch_execz .LBB69_106
; %bb.97:
	s_and_b64 vcc, exec, s[0:1]
	s_cbranch_vccnz .LBB69_99
; %bb.98:
	v_cmp_eq_u32_e32 vcc, 1, v0
	v_cndmask_b32_e32 v14, v3, v5, vcc
	v_cmp_eq_u32_e64 s[0:1], 2, v0
	v_cndmask_b32_e64 v14, v14, v7, s[0:1]
	v_cmp_eq_u32_e64 s[4:5], 3, v0
	v_cndmask_b32_e64 v14, v14, v9, s[4:5]
	;; [unrolled: 2-line block ×4, first 2 shown]
	v_cndmask_b32_e32 v14, v2, v4, vcc
	ds_read_b64 v[16:17], v48
	v_cndmask_b32_e64 v14, v14, v6, s[0:1]
	v_cndmask_b32_e64 v14, v14, v8, s[4:5]
	;; [unrolled: 1-line block ×4, first 2 shown]
	s_waitcnt lgkmcnt(0)
	v_mul_f64 v[14:15], v[14:15], v[16:17]
	s_cbranch_execz .LBB69_100
	s_branch .LBB69_101
.LBB69_99:
                                        ; implicit-def: $vgpr14_vgpr15
.LBB69_100:
	ds_read_b64 v[14:15], v48
.LBB69_101:
	s_and_saveexec_b64 s[4:5], s[2:3]
	s_cbranch_execz .LBB69_105
; %bb.102:
	v_lshl_add_u32 v16, v0, 3, 56
	s_mov_b64 s[2:3], 0
.LBB69_103:                             ; =>This Inner Loop Header: Depth=1
	v_add_co_u32_e32 v0, vcc, 1, v0
	v_addc_co_u32_e32 v1, vcc, 0, v1, vcc
	v_cmp_eq_u32_e32 vcc, 1, v0
	v_cndmask_b32_e32 v19, v3, v5, vcc
	v_cmp_eq_u32_e64 s[0:1], 2, v0
	ds_read_b64 v[17:18], v16
	v_cndmask_b32_e64 v19, v19, v7, s[0:1]
	v_cndmask_b32_e32 v20, v2, v4, vcc
	v_cmp_eq_u32_e32 vcc, 3, v0
	v_cndmask_b32_e32 v19, v19, v9, vcc
	v_cndmask_b32_e64 v20, v20, v6, s[0:1]
	v_cmp_eq_u32_e64 s[0:1], 4, v0
	v_cndmask_b32_e64 v19, v19, v11, s[0:1]
	v_cndmask_b32_e32 v21, v20, v8, vcc
	v_cmp_eq_u32_e32 vcc, 5, v0
	v_cndmask_b32_e32 v20, v19, v13, vcc
	v_cndmask_b32_e64 v19, v21, v10, s[0:1]
	v_cndmask_b32_e32 v19, v19, v12, vcc
	s_waitcnt lgkmcnt(0)
	v_fma_f64 v[14:15], v[19:20], v[17:18], v[14:15]
	v_cmp_lt_u32_e32 vcc, 3, v0
	s_or_b64 s[2:3], vcc, s[2:3]
	v_add_u32_e32 v16, 8, v16
	s_andn2_b64 exec, exec, s[2:3]
	s_cbranch_execnz .LBB69_103
; %bb.104:
	s_or_b64 exec, exec, s[2:3]
.LBB69_105:
	s_or_b64 exec, exec, s[4:5]
	v_mov_b32_e32 v0, 0
	ds_read_b64 v[0:1], v0 offset:40
	s_waitcnt lgkmcnt(0)
	v_mul_f64 v[12:13], v[14:15], v[0:1]
.LBB69_106:
	s_or_b64 exec, exec, s[10:11]
	v_mov_b32_e32 v33, v17
	v_mov_b32_e32 v32, v16
	;; [unrolled: 1-line block ×16, first 2 shown]
.LBB69_107:
	flat_store_dwordx2 v[34:35], v[18:19]
	flat_store_dwordx2 v[36:37], v[20:21]
	;; [unrolled: 1-line block ×6, first 2 shown]
.LBB69_108:
	s_endpgm
	.section	.rodata,"a",@progbits
	.p2align	6, 0x0
	.amdhsa_kernel _ZN9rocsolver6v33100L18trti2_kernel_smallILi6EdPKPdEEv13rocblas_fill_17rocblas_diagonal_T1_iil
		.amdhsa_group_segment_fixed_size 96
		.amdhsa_private_segment_fixed_size 0
		.amdhsa_kernarg_size 32
		.amdhsa_user_sgpr_count 6
		.amdhsa_user_sgpr_private_segment_buffer 1
		.amdhsa_user_sgpr_dispatch_ptr 0
		.amdhsa_user_sgpr_queue_ptr 0
		.amdhsa_user_sgpr_kernarg_segment_ptr 1
		.amdhsa_user_sgpr_dispatch_id 0
		.amdhsa_user_sgpr_flat_scratch_init 0
		.amdhsa_user_sgpr_private_segment_size 0
		.amdhsa_uses_dynamic_stack 0
		.amdhsa_system_sgpr_private_segment_wavefront_offset 0
		.amdhsa_system_sgpr_workgroup_id_x 1
		.amdhsa_system_sgpr_workgroup_id_y 0
		.amdhsa_system_sgpr_workgroup_id_z 0
		.amdhsa_system_sgpr_workgroup_info 0
		.amdhsa_system_vgpr_workitem_id 0
		.amdhsa_next_free_vgpr 67
		.amdhsa_next_free_sgpr 20
		.amdhsa_reserve_vcc 1
		.amdhsa_reserve_flat_scratch 0
		.amdhsa_float_round_mode_32 0
		.amdhsa_float_round_mode_16_64 0
		.amdhsa_float_denorm_mode_32 3
		.amdhsa_float_denorm_mode_16_64 3
		.amdhsa_dx10_clamp 1
		.amdhsa_ieee_mode 1
		.amdhsa_fp16_overflow 0
		.amdhsa_exception_fp_ieee_invalid_op 0
		.amdhsa_exception_fp_denorm_src 0
		.amdhsa_exception_fp_ieee_div_zero 0
		.amdhsa_exception_fp_ieee_overflow 0
		.amdhsa_exception_fp_ieee_underflow 0
		.amdhsa_exception_fp_ieee_inexact 0
		.amdhsa_exception_int_div_zero 0
	.end_amdhsa_kernel
	.section	.text._ZN9rocsolver6v33100L18trti2_kernel_smallILi6EdPKPdEEv13rocblas_fill_17rocblas_diagonal_T1_iil,"axG",@progbits,_ZN9rocsolver6v33100L18trti2_kernel_smallILi6EdPKPdEEv13rocblas_fill_17rocblas_diagonal_T1_iil,comdat
.Lfunc_end69:
	.size	_ZN9rocsolver6v33100L18trti2_kernel_smallILi6EdPKPdEEv13rocblas_fill_17rocblas_diagonal_T1_iil, .Lfunc_end69-_ZN9rocsolver6v33100L18trti2_kernel_smallILi6EdPKPdEEv13rocblas_fill_17rocblas_diagonal_T1_iil
                                        ; -- End function
	.set _ZN9rocsolver6v33100L18trti2_kernel_smallILi6EdPKPdEEv13rocblas_fill_17rocblas_diagonal_T1_iil.num_vgpr, 67
	.set _ZN9rocsolver6v33100L18trti2_kernel_smallILi6EdPKPdEEv13rocblas_fill_17rocblas_diagonal_T1_iil.num_agpr, 0
	.set _ZN9rocsolver6v33100L18trti2_kernel_smallILi6EdPKPdEEv13rocblas_fill_17rocblas_diagonal_T1_iil.numbered_sgpr, 20
	.set _ZN9rocsolver6v33100L18trti2_kernel_smallILi6EdPKPdEEv13rocblas_fill_17rocblas_diagonal_T1_iil.num_named_barrier, 0
	.set _ZN9rocsolver6v33100L18trti2_kernel_smallILi6EdPKPdEEv13rocblas_fill_17rocblas_diagonal_T1_iil.private_seg_size, 0
	.set _ZN9rocsolver6v33100L18trti2_kernel_smallILi6EdPKPdEEv13rocblas_fill_17rocblas_diagonal_T1_iil.uses_vcc, 1
	.set _ZN9rocsolver6v33100L18trti2_kernel_smallILi6EdPKPdEEv13rocblas_fill_17rocblas_diagonal_T1_iil.uses_flat_scratch, 0
	.set _ZN9rocsolver6v33100L18trti2_kernel_smallILi6EdPKPdEEv13rocblas_fill_17rocblas_diagonal_T1_iil.has_dyn_sized_stack, 0
	.set _ZN9rocsolver6v33100L18trti2_kernel_smallILi6EdPKPdEEv13rocblas_fill_17rocblas_diagonal_T1_iil.has_recursion, 0
	.set _ZN9rocsolver6v33100L18trti2_kernel_smallILi6EdPKPdEEv13rocblas_fill_17rocblas_diagonal_T1_iil.has_indirect_call, 0
	.section	.AMDGPU.csdata,"",@progbits
; Kernel info:
; codeLenInByte = 5444
; TotalNumSgprs: 24
; NumVgprs: 67
; ScratchSize: 0
; MemoryBound: 0
; FloatMode: 240
; IeeeMode: 1
; LDSByteSize: 96 bytes/workgroup (compile time only)
; SGPRBlocks: 2
; VGPRBlocks: 16
; NumSGPRsForWavesPerEU: 24
; NumVGPRsForWavesPerEU: 67
; Occupancy: 3
; WaveLimiterHint : 1
; COMPUTE_PGM_RSRC2:SCRATCH_EN: 0
; COMPUTE_PGM_RSRC2:USER_SGPR: 6
; COMPUTE_PGM_RSRC2:TRAP_HANDLER: 0
; COMPUTE_PGM_RSRC2:TGID_X_EN: 1
; COMPUTE_PGM_RSRC2:TGID_Y_EN: 0
; COMPUTE_PGM_RSRC2:TGID_Z_EN: 0
; COMPUTE_PGM_RSRC2:TIDIG_COMP_CNT: 0
	.section	.text._ZN9rocsolver6v33100L18trti2_kernel_smallILi7EdPKPdEEv13rocblas_fill_17rocblas_diagonal_T1_iil,"axG",@progbits,_ZN9rocsolver6v33100L18trti2_kernel_smallILi7EdPKPdEEv13rocblas_fill_17rocblas_diagonal_T1_iil,comdat
	.globl	_ZN9rocsolver6v33100L18trti2_kernel_smallILi7EdPKPdEEv13rocblas_fill_17rocblas_diagonal_T1_iil ; -- Begin function _ZN9rocsolver6v33100L18trti2_kernel_smallILi7EdPKPdEEv13rocblas_fill_17rocblas_diagonal_T1_iil
	.p2align	8
	.type	_ZN9rocsolver6v33100L18trti2_kernel_smallILi7EdPKPdEEv13rocblas_fill_17rocblas_diagonal_T1_iil,@function
_ZN9rocsolver6v33100L18trti2_kernel_smallILi7EdPKPdEEv13rocblas_fill_17rocblas_diagonal_T1_iil: ; @_ZN9rocsolver6v33100L18trti2_kernel_smallILi7EdPKPdEEv13rocblas_fill_17rocblas_diagonal_T1_iil
; %bb.0:
	v_cmp_gt_u32_e32 vcc, 7, v0
	s_and_saveexec_b64 s[0:1], vcc
	s_cbranch_execz .LBB70_134
; %bb.1:
	s_load_dwordx2 s[0:1], s[4:5], 0x10
	s_load_dwordx4 s[12:15], s[4:5], 0x0
	s_ashr_i32 s7, s6, 31
	s_lshl_b64 s[2:3], s[6:7], 3
	v_lshlrev_b32_e32 v20, 3, v0
	s_waitcnt lgkmcnt(0)
	s_ashr_i32 s5, s0, 31
	s_add_u32 s2, s14, s2
	s_addc_u32 s3, s15, s3
	s_load_dwordx2 s[2:3], s[2:3], 0x0
	s_mov_b32 s4, s0
	s_lshl_b64 s[4:5], s[4:5], 3
	v_mov_b32_e32 v18, 0
	v_mov_b32_e32 v19, 0xbff00000
	s_waitcnt lgkmcnt(0)
	s_add_u32 s0, s2, s4
	s_addc_u32 s4, s3, s5
	v_mov_b32_e32 v1, s4
	v_add_co_u32_e32 v34, vcc, s0, v20
	s_ashr_i32 s3, s1, 31
	s_mov_b32 s2, s1
	v_addc_co_u32_e32 v35, vcc, 0, v1, vcc
	s_lshl_b64 s[2:3], s[2:3], 3
	v_mov_b32_e32 v1, s3
	v_add_co_u32_e32 v36, vcc, s2, v34
	s_add_i32 s2, s1, s1
	v_addc_co_u32_e32 v37, vcc, v35, v1, vcc
	v_add_u32_e32 v1, s2, v0
	v_ashrrev_i32_e32 v2, 31, v1
	v_lshlrev_b64 v[2:3], 3, v[1:2]
	v_add_u32_e32 v1, s1, v1
	v_mov_b32_e32 v4, s4
	v_add_co_u32_e32 v38, vcc, s0, v2
	v_ashrrev_i32_e32 v2, 31, v1
	v_addc_co_u32_e32 v39, vcc, v4, v3, vcc
	v_lshlrev_b64 v[2:3], 3, v[1:2]
	v_add_u32_e32 v1, s1, v1
	v_add_co_u32_e32 v40, vcc, s0, v2
	v_ashrrev_i32_e32 v2, 31, v1
	v_addc_co_u32_e32 v41, vcc, v4, v3, vcc
	v_lshlrev_b64 v[2:3], 3, v[1:2]
	v_add_u32_e32 v1, s1, v1
	;; [unrolled: 5-line block ×3, first 2 shown]
	v_add_co_u32_e32 v44, vcc, s0, v2
	v_ashrrev_i32_e32 v2, 31, v1
	v_lshlrev_b64 v[1:2], 3, v[1:2]
	v_addc_co_u32_e32 v45, vcc, v4, v3, vcc
	v_mov_b32_e32 v3, s4
	v_add_co_u32_e32 v46, vcc, s0, v1
	v_addc_co_u32_e32 v47, vcc, v3, v2, vcc
	flat_load_dwordx2 v[2:3], v[34:35]
	flat_load_dwordx2 v[4:5], v[36:37]
	;; [unrolled: 1-line block ×7, first 2 shown]
	s_cmpk_lg_i32 s13, 0x84
	s_cselect_b64 s[14:15], -1, 0
	s_cmpk_eq_i32 s13, 0x84
	v_mov_b32_e32 v1, 0
	s_cbranch_scc1 .LBB70_3
; %bb.2:
	v_cmp_eq_u32_e64 s[0:1], 1, v0
	s_waitcnt vmcnt(0) lgkmcnt(0)
	v_cndmask_b32_e64 v16, v3, v5, s[0:1]
	v_cmp_eq_u32_e64 s[2:3], 2, v0
	v_cndmask_b32_e64 v16, v16, v7, s[2:3]
	v_cmp_eq_u32_e64 s[4:5], 3, v0
	;; [unrolled: 2-line block ×5, first 2 shown]
	v_cndmask_b32_e64 v17, v16, v15, s[10:11]
	v_cndmask_b32_e64 v16, v2, v4, s[0:1]
	;; [unrolled: 1-line block ×7, first 2 shown]
	v_div_scale_f64 v[18:19], s[16:17], v[16:17], v[16:17], 1.0
	v_rcp_f64_e32 v[21:22], v[18:19]
	v_fma_f64 v[23:24], -v[18:19], v[21:22], 1.0
	v_fma_f64 v[21:22], v[21:22], v[23:24], v[21:22]
	v_div_scale_f64 v[23:24], vcc, 1.0, v[16:17], 1.0
	v_fma_f64 v[25:26], -v[18:19], v[21:22], 1.0
	v_fma_f64 v[21:22], v[21:22], v[25:26], v[21:22]
	v_mul_f64 v[25:26], v[23:24], v[21:22]
	v_fma_f64 v[18:19], -v[18:19], v[25:26], v[23:24]
	v_div_fmas_f64 v[18:19], v[18:19], v[21:22], v[25:26]
	v_cmp_eq_u32_e32 vcc, 0, v0
	v_div_fixup_f64 v[18:19], v[18:19], v[16:17], 1.0
	v_cndmask_b32_e64 v15, v15, v19, s[10:11]
	v_cndmask_b32_e64 v14, v14, v18, s[10:11]
	;; [unrolled: 1-line block ×12, first 2 shown]
	v_cndmask_b32_e32 v3, v3, v19, vcc
	v_cndmask_b32_e32 v2, v2, v18, vcc
	v_xor_b32_e32 v19, 0x80000000, v19
.LBB70_3:
	s_cmpk_eq_i32 s12, 0x79
	v_add_u32_e32 v50, 64, v20
	ds_write_b64 v20, v[18:19]
	s_cbranch_scc1 .LBB70_7
; %bb.4:
	s_waitcnt vmcnt(0) lgkmcnt(0)
	v_mov_b32_e32 v33, v17
	v_mov_b32_e32 v32, v16
	;; [unrolled: 1-line block ×16, first 2 shown]
	v_cmp_eq_u32_e64 s[2:3], 6, v0
	ds_write_b64 v50, v[12:13]
	s_waitcnt lgkmcnt(0)
	; wave barrier
	s_and_saveexec_b64 s[12:13], s[2:3]
	s_cbranch_execz .LBB70_11
; %bb.5:
	s_and_b64 vcc, exec, s[14:15]
	s_cbranch_vccz .LBB70_8
; %bb.6:
	v_cmp_eq_u32_e32 vcc, 1, v0
	v_cndmask_b32_e32 v18, v3, v5, vcc
	v_cmp_eq_u32_e64 s[0:1], 2, v0
	v_cndmask_b32_e64 v18, v18, v7, s[0:1]
	v_cmp_eq_u32_e64 s[4:5], 3, v0
	v_cndmask_b32_e64 v18, v18, v9, s[4:5]
	;; [unrolled: 2-line block ×5, first 2 shown]
	v_cndmask_b32_e32 v18, v2, v4, vcc
	v_cndmask_b32_e64 v18, v18, v6, s[0:1]
	ds_read_b64 v[20:21], v50
	v_cndmask_b32_e64 v18, v18, v8, s[4:5]
	v_cndmask_b32_e64 v18, v18, v10, s[6:7]
	;; [unrolled: 1-line block ×4, first 2 shown]
	s_waitcnt lgkmcnt(0)
	v_mul_f64 v[22:23], v[18:19], v[20:21]
	s_cbranch_execz .LBB70_9
	s_branch .LBB70_10
.LBB70_7:
                                        ; implicit-def: $vgpr18_vgpr19_vgpr20_vgpr21_vgpr22_vgpr23_vgpr24_vgpr25_vgpr26_vgpr27_vgpr28_vgpr29_vgpr30_vgpr31_vgpr32_vgpr33
	s_cbranch_execnz .LBB70_82
	s_branch .LBB70_133
.LBB70_8:
                                        ; implicit-def: $vgpr22_vgpr23
.LBB70_9:
	ds_read_b64 v[22:23], v50
.LBB70_10:
	v_mov_b32_e32 v18, 0
	ds_read_b64 v[24:25], v18 offset:40
	v_mov_b32_e32 v18, v2
	v_mov_b32_e32 v19, v3
	;; [unrolled: 1-line block ×4, first 2 shown]
	s_waitcnt lgkmcnt(0)
	v_mul_f64 v[28:29], v[22:23], v[24:25]
	v_mov_b32_e32 v22, v6
	v_mov_b32_e32 v23, v7
	;; [unrolled: 1-line block ×8, first 2 shown]
.LBB70_11:
	s_or_b64 exec, exec, s[12:13]
	v_cmp_lt_u32_e64 s[0:1], 4, v0
	ds_write_b64 v50, v[26:27]
	s_waitcnt lgkmcnt(0)
	; wave barrier
	s_and_saveexec_b64 s[16:17], s[0:1]
	s_cbranch_execz .LBB70_17
; %bb.12:
	s_andn2_b64 vcc, exec, s[14:15]
	s_cbranch_vccnz .LBB70_14
; %bb.13:
	v_cmp_eq_u32_e32 vcc, 1, v0
	v_cndmask_b32_e32 v32, v19, v21, vcc
	v_cmp_eq_u32_e64 s[4:5], 2, v0
	v_cndmask_b32_e64 v32, v32, v23, s[4:5]
	v_cmp_eq_u32_e64 s[6:7], 3, v0
	v_cndmask_b32_e64 v32, v32, v25, s[6:7]
	;; [unrolled: 2-line block ×3, first 2 shown]
	v_cndmask_b32_e32 v32, v18, v20, vcc
	v_cndmask_b32_e64 v48, v32, v22, s[4:5]
	ds_read_b64 v[32:33], v50
	v_cndmask_b32_e64 v48, v48, v24, s[6:7]
	v_cmp_eq_u32_e64 s[10:11], 5, v0
	v_cndmask_b32_e64 v26, v48, v26, s[8:9]
	v_cndmask_b32_e64 v27, v27, v29, s[10:11]
	v_cmp_eq_u32_e64 s[12:13], 6, v0
	v_cndmask_b32_e64 v26, v26, v28, s[10:11]
	v_cndmask_b32_e64 v27, v27, v31, s[12:13]
	;; [unrolled: 1-line block ×3, first 2 shown]
	s_waitcnt lgkmcnt(0)
	v_mul_f64 v[26:27], v[26:27], v[32:33]
	s_cbranch_execz .LBB70_15
	s_branch .LBB70_16
.LBB70_14:
                                        ; implicit-def: $vgpr26_vgpr27
.LBB70_15:
	ds_read_b64 v[26:27], v50
.LBB70_16:
	v_mov_b32_e32 v32, 0
	ds_read2_b64 v[51:54], v32 offset0:4 offset1:13
	s_waitcnt lgkmcnt(0)
	v_fma_f64 v[32:33], v[28:29], v[53:54], v[26:27]
	v_cndmask_b32_e64 v27, v27, v33, s[2:3]
	v_cndmask_b32_e64 v26, v26, v32, s[2:3]
	v_mul_f64 v[26:27], v[26:27], v[51:52]
.LBB70_17:
	s_or_b64 exec, exec, s[16:17]
	v_cmp_lt_u32_e64 s[2:3], 3, v0
	ds_write_b64 v50, v[24:25]
	s_waitcnt lgkmcnt(0)
	; wave barrier
	s_and_saveexec_b64 s[16:17], s[2:3]
	s_cbranch_execz .LBB70_33
; %bb.18:
	s_andn2_b64 vcc, exec, s[14:15]
	s_cbranch_vccnz .LBB70_20
; %bb.19:
	v_cmp_eq_u32_e32 vcc, 1, v0
	v_cndmask_b32_e32 v48, v19, v21, vcc
	v_cmp_eq_u32_e64 s[4:5], 2, v0
	v_cndmask_b32_e64 v48, v48, v23, s[4:5]
	v_cmp_eq_u32_e64 s[6:7], 3, v0
	v_cndmask_b32_e64 v48, v48, v25, s[6:7]
	;; [unrolled: 2-line block ×5, first 2 shown]
	v_cndmask_b32_e32 v48, v18, v20, vcc
	v_cndmask_b32_e64 v48, v48, v22, s[4:5]
	ds_read_b64 v[51:52], v50
	v_cndmask_b32_e64 v48, v48, v24, s[6:7]
	v_cndmask_b32_e64 v48, v48, v26, s[8:9]
	;; [unrolled: 1-line block ×4, first 2 shown]
	s_waitcnt lgkmcnt(0)
	v_mul_f64 v[48:49], v[48:49], v[51:52]
	s_cbranch_execz .LBB70_21
	s_branch .LBB70_22
.LBB70_20:
                                        ; implicit-def: $vgpr48_vgpr49
.LBB70_21:
	ds_read_b64 v[48:49], v50
.LBB70_22:
	s_and_saveexec_b64 s[4:5], s[0:1]
	s_cbranch_execz .LBB70_32
; %bb.23:
	v_add_u32_e32 v52, -5, v0
	v_add_u32_e32 v51, -4, v0
	v_cmp_lt_u32_e32 vcc, 6, v52
	v_mov_b32_e32 v53, 4
	s_and_saveexec_b64 s[0:1], vcc
	s_cbranch_execz .LBB70_27
; %bb.24:
	v_and_b32_e32 v52, -8, v51
	v_sub_u32_e32 v52, 0, v52
	s_mov_b64 s[6:7], 5
	s_movk_i32 s10, 0x60
	s_mov_b64 s[8:9], 0
.LBB70_25:                              ; =>This Inner Loop Header: Depth=1
	s_lshl_b32 s11, s6, 1
	s_add_i32 s12, s11, -1
	v_mov_b32_e32 v65, s10
	s_add_i32 s13, s11, -2
	s_set_gpr_idx_on s12, gpr_idx(SRC0)
	v_mov_b32_e32 v58, v18
	s_set_gpr_idx_off
	s_set_gpr_idx_on s13, gpr_idx(SRC0)
	v_mov_b32_e32 v57, v18
	s_set_gpr_idx_off
	ds_read_b128 v[53:56], v65
	s_add_i32 s12, s11, 3
	s_add_i32 s13, s11, 2
	s_waitcnt lgkmcnt(0)
	v_fma_f64 v[48:49], v[57:58], v[53:54], v[48:49]
	ds_read_b128 v[57:60], v65 offset:16
	ds_read_b128 v[61:64], v65 offset:32
	;; [unrolled: 1-line block ×3, first 2 shown]
	s_set_gpr_idx_on s11, gpr_idx(SRC0)
	v_mov_b32_e32 v54, v19
	v_mov_b32_e32 v53, v18
	s_set_gpr_idx_off
	v_fma_f64 v[48:49], v[53:54], v[55:56], v[48:49]
	s_set_gpr_idx_on s12, gpr_idx(SRC0)
	v_mov_b32_e32 v54, v18
	s_set_gpr_idx_off
	s_set_gpr_idx_on s13, gpr_idx(SRC0)
	v_mov_b32_e32 v53, v18
	s_set_gpr_idx_off
	s_add_i32 s12, s11, 5
	s_add_i32 s13, s11, 4
	s_waitcnt lgkmcnt(2)
	v_fma_f64 v[48:49], v[53:54], v[57:58], v[48:49]
	s_set_gpr_idx_on s12, gpr_idx(SRC0)
	v_mov_b32_e32 v54, v18
	s_set_gpr_idx_off
	s_set_gpr_idx_on s13, gpr_idx(SRC0)
	v_mov_b32_e32 v53, v18
	s_set_gpr_idx_off
	s_add_i32 s12, s11, 7
	s_add_i32 s13, s11, 6
	v_fma_f64 v[48:49], v[53:54], v[59:60], v[48:49]
	s_set_gpr_idx_on s12, gpr_idx(SRC0)
	v_mov_b32_e32 v54, v18
	s_set_gpr_idx_off
	s_set_gpr_idx_on s13, gpr_idx(SRC0)
	v_mov_b32_e32 v53, v18
	s_set_gpr_idx_off
	s_add_i32 s12, s11, 9
	s_add_i32 s13, s11, 8
	s_waitcnt lgkmcnt(1)
	v_fma_f64 v[48:49], v[53:54], v[61:62], v[48:49]
	s_set_gpr_idx_on s12, gpr_idx(SRC0)
	v_mov_b32_e32 v54, v18
	s_set_gpr_idx_off
	s_set_gpr_idx_on s13, gpr_idx(SRC0)
	v_mov_b32_e32 v53, v18
	s_set_gpr_idx_off
	s_add_i32 s12, s11, 11
	s_add_i32 s13, s11, 10
	v_fma_f64 v[48:49], v[53:54], v[63:64], v[48:49]
	s_set_gpr_idx_on s12, gpr_idx(SRC0)
	v_mov_b32_e32 v54, v18
	s_set_gpr_idx_off
	s_set_gpr_idx_on s13, gpr_idx(SRC0)
	v_mov_b32_e32 v53, v18
	s_set_gpr_idx_off
	s_add_i32 s12, s11, 13
	s_add_i32 s11, s11, 12
	s_add_u32 s6, s6, 8
	s_addc_u32 s7, s7, 0
	s_add_i32 s10, s10, 64
	s_waitcnt lgkmcnt(0)
	v_fma_f64 v[48:49], v[53:54], v[65:66], v[48:49]
	s_set_gpr_idx_on s12, gpr_idx(SRC0)
	v_mov_b32_e32 v54, v18
	s_set_gpr_idx_off
	s_set_gpr_idx_on s11, gpr_idx(SRC0)
	v_mov_b32_e32 v53, v18
	s_set_gpr_idx_off
	s_add_i32 s11, s6, -1
	v_fma_f64 v[48:49], v[53:54], v[67:68], v[48:49]
	v_add_u32_e32 v53, s6, v52
	v_cmp_eq_u32_e32 vcc, 5, v53
	s_or_b64 s[8:9], vcc, s[8:9]
	v_mov_b32_e32 v53, s11
	s_andn2_b64 exec, exec, s[8:9]
	s_cbranch_execnz .LBB70_25
; %bb.26:
	s_or_b64 exec, exec, s[8:9]
.LBB70_27:
	s_or_b64 exec, exec, s[0:1]
	v_and_b32_e32 v32, 7, v51
	v_cmp_ne_u32_e32 vcc, 0, v32
	s_and_saveexec_b64 s[6:7], vcc
	s_cbranch_execz .LBB70_31
; %bb.28:
	v_lshl_add_u32 v33, v53, 3, 64
	v_mov_b32_e32 v51, 0
	s_mov_b64 s[8:9], 0
.LBB70_29:                              ; =>This Inner Loop Header: Depth=1
	v_cmp_eq_u32_e32 vcc, 1, v53
	v_cndmask_b32_e32 v52, v19, v21, vcc
	v_cmp_eq_u32_e64 s[0:1], 2, v53
	v_cndmask_b32_e64 v52, v52, v23, s[0:1]
	v_cndmask_b32_e32 v56, v18, v20, vcc
	v_cmp_eq_u32_e32 vcc, 3, v53
	ds_read_b64 v[54:55], v33
	v_cndmask_b32_e32 v52, v52, v25, vcc
	v_cndmask_b32_e64 v56, v56, v22, s[0:1]
	v_cmp_eq_u32_e64 s[0:1], 4, v53
	v_cndmask_b32_e64 v52, v52, v27, s[0:1]
	v_cndmask_b32_e32 v56, v56, v24, vcc
	v_cmp_eq_u32_e32 vcc, 5, v53
	v_cndmask_b32_e32 v52, v52, v29, vcc
	v_cndmask_b32_e64 v56, v56, v26, s[0:1]
	v_cmp_eq_u32_e64 s[0:1], 6, v53
	v_cndmask_b32_e64 v57, v52, v31, s[0:1]
	v_cndmask_b32_e32 v52, v56, v28, vcc
	v_cndmask_b32_e64 v56, v52, v30, s[0:1]
	s_waitcnt lgkmcnt(0)
	v_fma_f64 v[48:49], v[56:57], v[54:55], v[48:49]
	v_add_u32_e32 v32, -1, v32
	v_cmp_eq_u32_e32 vcc, 0, v32
	s_or_b64 s[8:9], vcc, s[8:9]
	v_add_co_u32_e32 v53, vcc, 1, v53
	v_add_u32_e32 v33, 8, v33
	v_addc_co_u32_e32 v51, vcc, 0, v51, vcc
	s_andn2_b64 exec, exec, s[8:9]
	s_cbranch_execnz .LBB70_29
; %bb.30:
	s_or_b64 exec, exec, s[8:9]
.LBB70_31:
	s_or_b64 exec, exec, s[6:7]
.LBB70_32:
	s_or_b64 exec, exec, s[4:5]
	v_mov_b32_e32 v24, 0
	ds_read_b64 v[24:25], v24 offset:24
	s_waitcnt lgkmcnt(0)
	v_mul_f64 v[24:25], v[48:49], v[24:25]
.LBB70_33:
	s_or_b64 exec, exec, s[16:17]
	v_cmp_lt_u32_e64 s[0:1], 2, v0
	ds_write_b64 v50, v[22:23]
	s_waitcnt lgkmcnt(0)
	; wave barrier
	s_and_saveexec_b64 s[16:17], s[0:1]
	s_cbranch_execz .LBB70_49
; %bb.34:
	s_andn2_b64 vcc, exec, s[14:15]
	s_cbranch_vccnz .LBB70_36
; %bb.35:
	v_cmp_eq_u32_e32 vcc, 1, v0
	v_cndmask_b32_e32 v48, v19, v21, vcc
	v_cmp_eq_u32_e64 s[4:5], 2, v0
	v_cndmask_b32_e64 v48, v48, v23, s[4:5]
	v_cmp_eq_u32_e64 s[6:7], 3, v0
	v_cndmask_b32_e64 v48, v48, v25, s[6:7]
	;; [unrolled: 2-line block ×5, first 2 shown]
	v_cndmask_b32_e32 v48, v18, v20, vcc
	v_cndmask_b32_e64 v48, v48, v22, s[4:5]
	ds_read_b64 v[51:52], v50
	v_cndmask_b32_e64 v48, v48, v24, s[6:7]
	v_cndmask_b32_e64 v48, v48, v26, s[8:9]
	;; [unrolled: 1-line block ×4, first 2 shown]
	s_waitcnt lgkmcnt(0)
	v_mul_f64 v[48:49], v[48:49], v[51:52]
	s_cbranch_execz .LBB70_37
	s_branch .LBB70_38
.LBB70_36:
                                        ; implicit-def: $vgpr48_vgpr49
.LBB70_37:
	ds_read_b64 v[48:49], v50
.LBB70_38:
	s_and_saveexec_b64 s[4:5], s[2:3]
	s_cbranch_execz .LBB70_48
; %bb.39:
	v_add_u32_e32 v52, -4, v0
	v_add_u32_e32 v51, -3, v0
	v_cmp_lt_u32_e32 vcc, 6, v52
	v_mov_b32_e32 v53, 3
	s_and_saveexec_b64 s[2:3], vcc
	s_cbranch_execz .LBB70_43
; %bb.40:
	v_and_b32_e32 v52, -8, v51
	v_sub_u32_e32 v52, 0, v52
	s_mov_b64 s[6:7], 10
	s_movk_i32 s10, 0x58
	s_mov_b64 s[8:9], 0
.LBB70_41:                              ; =>This Inner Loop Header: Depth=1
	s_lshl_b32 s11, s6, 1
	s_add_i32 s12, s11, -13
	v_mov_b32_e32 v59, s10
	s_add_i32 s13, s11, -14
	s_set_gpr_idx_on s12, gpr_idx(SRC0)
	v_mov_b32_e32 v58, v18
	s_set_gpr_idx_off
	s_set_gpr_idx_on s13, gpr_idx(SRC0)
	v_mov_b32_e32 v57, v18
	s_set_gpr_idx_off
	ds_read2_b64 v[53:56], v59 offset1:1
	s_add_i32 s12, s11, -11
	s_add_i32 s13, s11, -12
	;; [unrolled: 1-line block ×4, first 2 shown]
	s_waitcnt lgkmcnt(0)
	v_fma_f64 v[48:49], v[57:58], v[53:54], v[48:49]
	s_set_gpr_idx_on s12, gpr_idx(SRC0)
	v_mov_b32_e32 v54, v18
	s_set_gpr_idx_off
	s_set_gpr_idx_on s13, gpr_idx(SRC0)
	v_mov_b32_e32 v53, v18
	s_set_gpr_idx_off
	s_add_i32 s12, s11, -7
	s_add_i32 s13, s11, -8
	v_fma_f64 v[48:49], v[53:54], v[55:56], v[48:49]
	s_set_gpr_idx_on s18, gpr_idx(SRC0)
	v_mov_b32_e32 v58, v18
	s_set_gpr_idx_off
	s_set_gpr_idx_on s19, gpr_idx(SRC0)
	v_mov_b32_e32 v57, v18
	s_set_gpr_idx_off
	ds_read2_b64 v[53:56], v59 offset0:2 offset1:3
	s_add_i32 s18, s11, -5
	s_add_i32 s19, s11, -6
	s_waitcnt lgkmcnt(0)
	v_fma_f64 v[48:49], v[57:58], v[53:54], v[48:49]
	s_set_gpr_idx_on s12, gpr_idx(SRC0)
	v_mov_b32_e32 v54, v18
	s_set_gpr_idx_off
	s_set_gpr_idx_on s13, gpr_idx(SRC0)
	v_mov_b32_e32 v53, v18
	s_set_gpr_idx_off
	s_add_i32 s12, s11, -3
	s_add_i32 s13, s11, -4
	v_fma_f64 v[48:49], v[53:54], v[55:56], v[48:49]
	s_set_gpr_idx_on s18, gpr_idx(SRC0)
	v_mov_b32_e32 v58, v18
	s_set_gpr_idx_off
	s_set_gpr_idx_on s19, gpr_idx(SRC0)
	v_mov_b32_e32 v57, v18
	s_set_gpr_idx_off
	ds_read2_b64 v[53:56], v59 offset0:4 offset1:5
	s_add_i32 s18, s11, -1
	s_add_i32 s19, s11, -2
	s_add_u32 s6, s6, 8
	s_addc_u32 s7, s7, 0
	s_waitcnt lgkmcnt(0)
	v_fma_f64 v[48:49], v[57:58], v[53:54], v[48:49]
	s_set_gpr_idx_on s12, gpr_idx(SRC0)
	v_mov_b32_e32 v54, v18
	s_set_gpr_idx_off
	s_set_gpr_idx_on s13, gpr_idx(SRC0)
	v_mov_b32_e32 v53, v18
	s_set_gpr_idx_off
	s_add_i32 s10, s10, 64
	v_fma_f64 v[48:49], v[53:54], v[55:56], v[48:49]
	s_set_gpr_idx_on s18, gpr_idx(SRC0)
	v_mov_b32_e32 v58, v18
	s_set_gpr_idx_off
	s_set_gpr_idx_on s19, gpr_idx(SRC0)
	v_mov_b32_e32 v57, v18
	s_set_gpr_idx_off
	ds_read2_b64 v[53:56], v59 offset0:6 offset1:7
	s_waitcnt lgkmcnt(0)
	v_fma_f64 v[48:49], v[57:58], v[53:54], v[48:49]
	s_set_gpr_idx_on s11, gpr_idx(SRC0)
	v_mov_b32_e32 v54, v19
	v_mov_b32_e32 v53, v18
	s_set_gpr_idx_off
	s_add_i32 s11, s6, -7
	v_fma_f64 v[48:49], v[53:54], v[55:56], v[48:49]
	v_add_u32_e32 v53, s6, v52
	v_cmp_eq_u32_e32 vcc, 10, v53
	s_or_b64 s[8:9], vcc, s[8:9]
	v_mov_b32_e32 v53, s11
	s_andn2_b64 exec, exec, s[8:9]
	s_cbranch_execnz .LBB70_41
; %bb.42:
	s_or_b64 exec, exec, s[8:9]
.LBB70_43:
	s_or_b64 exec, exec, s[2:3]
	v_and_b32_e32 v32, 7, v51
	v_cmp_ne_u32_e32 vcc, 0, v32
	s_and_saveexec_b64 s[6:7], vcc
	s_cbranch_execz .LBB70_47
; %bb.44:
	v_lshl_add_u32 v33, v53, 3, 64
	v_mov_b32_e32 v51, 0
	s_mov_b64 s[8:9], 0
.LBB70_45:                              ; =>This Inner Loop Header: Depth=1
	v_cmp_eq_u32_e32 vcc, 1, v53
	v_cndmask_b32_e32 v52, v19, v21, vcc
	v_cmp_eq_u32_e64 s[2:3], 2, v53
	v_cndmask_b32_e64 v52, v52, v23, s[2:3]
	v_cndmask_b32_e32 v56, v18, v20, vcc
	v_cmp_eq_u32_e32 vcc, 3, v53
	ds_read_b64 v[54:55], v33
	v_cndmask_b32_e32 v52, v52, v25, vcc
	v_cndmask_b32_e64 v56, v56, v22, s[2:3]
	v_cmp_eq_u32_e64 s[2:3], 4, v53
	v_cndmask_b32_e64 v52, v52, v27, s[2:3]
	v_cndmask_b32_e32 v56, v56, v24, vcc
	v_cmp_eq_u32_e32 vcc, 5, v53
	v_cndmask_b32_e32 v52, v52, v29, vcc
	v_cndmask_b32_e64 v56, v56, v26, s[2:3]
	v_cmp_eq_u32_e64 s[2:3], 6, v53
	v_cndmask_b32_e64 v57, v52, v31, s[2:3]
	v_cndmask_b32_e32 v52, v56, v28, vcc
	v_cndmask_b32_e64 v56, v52, v30, s[2:3]
	s_waitcnt lgkmcnt(0)
	v_fma_f64 v[48:49], v[56:57], v[54:55], v[48:49]
	v_add_u32_e32 v32, -1, v32
	v_cmp_eq_u32_e32 vcc, 0, v32
	s_or_b64 s[8:9], vcc, s[8:9]
	v_add_co_u32_e32 v53, vcc, 1, v53
	v_add_u32_e32 v33, 8, v33
	v_addc_co_u32_e32 v51, vcc, 0, v51, vcc
	s_andn2_b64 exec, exec, s[8:9]
	s_cbranch_execnz .LBB70_45
; %bb.46:
	s_or_b64 exec, exec, s[8:9]
.LBB70_47:
	s_or_b64 exec, exec, s[6:7]
.LBB70_48:
	s_or_b64 exec, exec, s[4:5]
	v_mov_b32_e32 v22, 0
	ds_read_b64 v[22:23], v22 offset:16
	s_waitcnt lgkmcnt(0)
	v_mul_f64 v[22:23], v[48:49], v[22:23]
.LBB70_49:
	s_or_b64 exec, exec, s[16:17]
	v_cmp_lt_u32_e64 s[2:3], 1, v0
	ds_write_b64 v50, v[20:21]
	s_waitcnt lgkmcnt(0)
	; wave barrier
	s_and_saveexec_b64 s[16:17], s[2:3]
	s_cbranch_execz .LBB70_65
; %bb.50:
	s_andn2_b64 vcc, exec, s[14:15]
	s_cbranch_vccnz .LBB70_52
; %bb.51:
	v_cmp_eq_u32_e32 vcc, 1, v0
	v_cndmask_b32_e32 v48, v19, v21, vcc
	v_cmp_eq_u32_e64 s[4:5], 2, v0
	v_cndmask_b32_e64 v48, v48, v23, s[4:5]
	v_cmp_eq_u32_e64 s[6:7], 3, v0
	v_cndmask_b32_e64 v48, v48, v25, s[6:7]
	;; [unrolled: 2-line block ×5, first 2 shown]
	v_cndmask_b32_e32 v48, v18, v20, vcc
	v_cndmask_b32_e64 v48, v48, v22, s[4:5]
	ds_read_b64 v[51:52], v50
	v_cndmask_b32_e64 v48, v48, v24, s[6:7]
	v_cndmask_b32_e64 v48, v48, v26, s[8:9]
	;; [unrolled: 1-line block ×4, first 2 shown]
	s_waitcnt lgkmcnt(0)
	v_mul_f64 v[48:49], v[48:49], v[51:52]
	s_cbranch_execz .LBB70_53
	s_branch .LBB70_54
.LBB70_52:
                                        ; implicit-def: $vgpr48_vgpr49
.LBB70_53:
	ds_read_b64 v[48:49], v50
.LBB70_54:
	s_and_saveexec_b64 s[4:5], s[0:1]
	s_cbranch_execz .LBB70_64
; %bb.55:
	v_add_u32_e32 v52, -3, v0
	v_add_u32_e32 v51, -2, v0
	v_cmp_lt_u32_e32 vcc, 6, v52
	v_mov_b32_e32 v53, 2
	s_and_saveexec_b64 s[0:1], vcc
	s_cbranch_execz .LBB70_59
; %bb.56:
	v_and_b32_e32 v52, -8, v51
	v_sub_u32_e32 v52, 0, v52
	s_mov_b64 s[6:7], 9
	s_movk_i32 s10, 0x50
	s_mov_b64 s[8:9], 0
.LBB70_57:                              ; =>This Inner Loop Header: Depth=1
	s_lshl_b32 s11, s6, 1
	s_add_i32 s12, s11, -13
	v_mov_b32_e32 v65, s10
	s_add_i32 s13, s11, -14
	s_set_gpr_idx_on s12, gpr_idx(SRC0)
	v_mov_b32_e32 v62, v18
	s_set_gpr_idx_off
	s_set_gpr_idx_on s13, gpr_idx(SRC0)
	v_mov_b32_e32 v61, v18
	s_set_gpr_idx_off
	ds_read_b128 v[53:56], v65
	ds_read_b128 v[57:60], v65 offset:16
	s_add_i32 s12, s11, -11
	s_add_i32 s13, s11, -12
	s_waitcnt lgkmcnt(1)
	v_fma_f64 v[48:49], v[61:62], v[53:54], v[48:49]
	ds_read_b128 v[61:64], v65 offset:32
	ds_read_b128 v[65:68], v65 offset:48
	s_set_gpr_idx_on s12, gpr_idx(SRC0)
	v_mov_b32_e32 v54, v18
	s_set_gpr_idx_off
	s_set_gpr_idx_on s13, gpr_idx(SRC0)
	v_mov_b32_e32 v53, v18
	s_set_gpr_idx_off
	s_add_i32 s12, s11, -9
	s_add_i32 s13, s11, -10
	v_fma_f64 v[48:49], v[53:54], v[55:56], v[48:49]
	s_set_gpr_idx_on s12, gpr_idx(SRC0)
	v_mov_b32_e32 v54, v18
	s_set_gpr_idx_off
	s_set_gpr_idx_on s13, gpr_idx(SRC0)
	v_mov_b32_e32 v53, v18
	s_set_gpr_idx_off
	s_add_i32 s12, s11, -7
	s_add_i32 s13, s11, -8
	s_waitcnt lgkmcnt(2)
	v_fma_f64 v[48:49], v[53:54], v[57:58], v[48:49]
	s_set_gpr_idx_on s12, gpr_idx(SRC0)
	v_mov_b32_e32 v54, v18
	s_set_gpr_idx_off
	s_set_gpr_idx_on s13, gpr_idx(SRC0)
	v_mov_b32_e32 v53, v18
	s_set_gpr_idx_off
	s_add_i32 s12, s11, -5
	s_add_i32 s13, s11, -6
	v_fma_f64 v[48:49], v[53:54], v[59:60], v[48:49]
	s_set_gpr_idx_on s12, gpr_idx(SRC0)
	v_mov_b32_e32 v54, v18
	s_set_gpr_idx_off
	s_set_gpr_idx_on s13, gpr_idx(SRC0)
	v_mov_b32_e32 v53, v18
	s_set_gpr_idx_off
	s_add_i32 s12, s11, -3
	s_add_i32 s13, s11, -4
	s_waitcnt lgkmcnt(1)
	v_fma_f64 v[48:49], v[53:54], v[61:62], v[48:49]
	s_set_gpr_idx_on s12, gpr_idx(SRC0)
	v_mov_b32_e32 v54, v18
	s_set_gpr_idx_off
	s_set_gpr_idx_on s13, gpr_idx(SRC0)
	v_mov_b32_e32 v53, v18
	s_set_gpr_idx_off
	s_add_i32 s12, s11, -1
	s_add_i32 s13, s11, -2
	s_add_u32 s6, s6, 8
	s_addc_u32 s7, s7, 0
	s_add_i32 s10, s10, 64
	v_fma_f64 v[48:49], v[53:54], v[63:64], v[48:49]
	s_set_gpr_idx_on s12, gpr_idx(SRC0)
	v_mov_b32_e32 v54, v18
	s_set_gpr_idx_off
	s_set_gpr_idx_on s13, gpr_idx(SRC0)
	v_mov_b32_e32 v53, v18
	s_set_gpr_idx_off
	s_waitcnt lgkmcnt(0)
	v_fma_f64 v[48:49], v[53:54], v[65:66], v[48:49]
	s_set_gpr_idx_on s11, gpr_idx(SRC0)
	v_mov_b32_e32 v54, v19
	v_mov_b32_e32 v53, v18
	s_set_gpr_idx_off
	s_add_i32 s11, s6, -7
	v_fma_f64 v[48:49], v[53:54], v[67:68], v[48:49]
	v_add_u32_e32 v53, s6, v52
	v_cmp_eq_u32_e32 vcc, 9, v53
	s_or_b64 s[8:9], vcc, s[8:9]
	v_mov_b32_e32 v53, s11
	s_andn2_b64 exec, exec, s[8:9]
	s_cbranch_execnz .LBB70_57
; %bb.58:
	s_or_b64 exec, exec, s[8:9]
.LBB70_59:
	s_or_b64 exec, exec, s[0:1]
	v_and_b32_e32 v32, 7, v51
	v_cmp_ne_u32_e32 vcc, 0, v32
	s_and_saveexec_b64 s[6:7], vcc
	s_cbranch_execz .LBB70_63
; %bb.60:
	v_lshl_add_u32 v33, v53, 3, 64
	v_mov_b32_e32 v51, 0
	s_mov_b64 s[8:9], 0
.LBB70_61:                              ; =>This Inner Loop Header: Depth=1
	v_cmp_eq_u32_e32 vcc, 1, v53
	v_cndmask_b32_e32 v52, v19, v21, vcc
	v_cmp_eq_u32_e64 s[0:1], 2, v53
	v_cndmask_b32_e64 v52, v52, v23, s[0:1]
	v_cndmask_b32_e32 v56, v18, v20, vcc
	v_cmp_eq_u32_e32 vcc, 3, v53
	ds_read_b64 v[54:55], v33
	v_cndmask_b32_e32 v52, v52, v25, vcc
	v_cndmask_b32_e64 v56, v56, v22, s[0:1]
	v_cmp_eq_u32_e64 s[0:1], 4, v53
	v_cndmask_b32_e64 v52, v52, v27, s[0:1]
	v_cndmask_b32_e32 v56, v56, v24, vcc
	v_cmp_eq_u32_e32 vcc, 5, v53
	v_cndmask_b32_e32 v52, v52, v29, vcc
	v_cndmask_b32_e64 v56, v56, v26, s[0:1]
	v_cmp_eq_u32_e64 s[0:1], 6, v53
	v_cndmask_b32_e64 v57, v52, v31, s[0:1]
	v_cndmask_b32_e32 v52, v56, v28, vcc
	v_cndmask_b32_e64 v56, v52, v30, s[0:1]
	s_waitcnt lgkmcnt(0)
	v_fma_f64 v[48:49], v[56:57], v[54:55], v[48:49]
	v_add_u32_e32 v32, -1, v32
	v_cmp_eq_u32_e32 vcc, 0, v32
	s_or_b64 s[8:9], vcc, s[8:9]
	v_add_co_u32_e32 v53, vcc, 1, v53
	v_add_u32_e32 v33, 8, v33
	v_addc_co_u32_e32 v51, vcc, 0, v51, vcc
	s_andn2_b64 exec, exec, s[8:9]
	s_cbranch_execnz .LBB70_61
; %bb.62:
	s_or_b64 exec, exec, s[8:9]
.LBB70_63:
	s_or_b64 exec, exec, s[6:7]
.LBB70_64:
	s_or_b64 exec, exec, s[4:5]
	v_mov_b32_e32 v20, 0
	ds_read_b64 v[20:21], v20 offset:8
	s_waitcnt lgkmcnt(0)
	v_mul_f64 v[20:21], v[48:49], v[20:21]
.LBB70_65:
	s_or_b64 exec, exec, s[16:17]
	v_cmp_ne_u32_e32 vcc, 0, v0
	ds_write_b64 v50, v[18:19]
	s_waitcnt lgkmcnt(0)
	; wave barrier
	s_and_saveexec_b64 s[12:13], vcc
	s_cbranch_execz .LBB70_81
; %bb.66:
	s_andn2_b64 vcc, exec, s[14:15]
	s_cbranch_vccnz .LBB70_68
; %bb.67:
	v_cmp_eq_u32_e32 vcc, 1, v0
	v_cndmask_b32_e32 v48, v19, v21, vcc
	v_cmp_eq_u32_e64 s[0:1], 2, v0
	v_cndmask_b32_e64 v48, v48, v23, s[0:1]
	v_cmp_eq_u32_e64 s[4:5], 3, v0
	v_cndmask_b32_e64 v48, v48, v25, s[4:5]
	;; [unrolled: 2-line block ×5, first 2 shown]
	v_cndmask_b32_e32 v48, v18, v20, vcc
	v_cndmask_b32_e64 v48, v48, v22, s[0:1]
	ds_read_b64 v[51:52], v50
	v_cndmask_b32_e64 v48, v48, v24, s[4:5]
	v_cndmask_b32_e64 v48, v48, v26, s[6:7]
	;; [unrolled: 1-line block ×4, first 2 shown]
	s_waitcnt lgkmcnt(0)
	v_mul_f64 v[48:49], v[48:49], v[51:52]
	s_cbranch_execz .LBB70_69
	s_branch .LBB70_70
.LBB70_68:
                                        ; implicit-def: $vgpr48_vgpr49
.LBB70_69:
	ds_read_b64 v[48:49], v50
.LBB70_70:
	s_and_saveexec_b64 s[4:5], s[2:3]
	s_cbranch_execz .LBB70_80
; %bb.71:
	v_add_u32_e32 v52, -2, v0
	v_add_u32_e32 v51, -1, v0
	v_cmp_lt_u32_e32 vcc, 6, v52
	v_mov_b32_e32 v53, 1
	s_and_saveexec_b64 s[0:1], vcc
	s_cbranch_execz .LBB70_75
; %bb.72:
	v_and_b32_e32 v52, -8, v51
	v_sub_u32_e32 v52, 0, v52
	s_mov_b64 s[2:3], 8
	s_movk_i32 s8, 0x48
	s_mov_b64 s[6:7], 0
.LBB70_73:                              ; =>This Inner Loop Header: Depth=1
	s_lshl_b32 s9, s2, 1
	s_add_i32 s10, s9, -13
	v_mov_b32_e32 v59, s8
	s_add_i32 s11, s9, -14
	s_set_gpr_idx_on s10, gpr_idx(SRC0)
	v_mov_b32_e32 v58, v18
	s_set_gpr_idx_off
	s_set_gpr_idx_on s11, gpr_idx(SRC0)
	v_mov_b32_e32 v57, v18
	s_set_gpr_idx_off
	ds_read2_b64 v[53:56], v59 offset1:1
	s_add_i32 s10, s9, -11
	s_add_i32 s11, s9, -12
	;; [unrolled: 1-line block ×4, first 2 shown]
	s_waitcnt lgkmcnt(0)
	v_fma_f64 v[48:49], v[57:58], v[53:54], v[48:49]
	s_set_gpr_idx_on s10, gpr_idx(SRC0)
	v_mov_b32_e32 v54, v18
	s_set_gpr_idx_off
	s_set_gpr_idx_on s11, gpr_idx(SRC0)
	v_mov_b32_e32 v53, v18
	s_set_gpr_idx_off
	s_add_i32 s10, s9, -7
	s_add_i32 s11, s9, -8
	v_fma_f64 v[48:49], v[53:54], v[55:56], v[48:49]
	s_set_gpr_idx_on s16, gpr_idx(SRC0)
	v_mov_b32_e32 v58, v18
	s_set_gpr_idx_off
	s_set_gpr_idx_on s17, gpr_idx(SRC0)
	v_mov_b32_e32 v57, v18
	s_set_gpr_idx_off
	ds_read2_b64 v[53:56], v59 offset0:2 offset1:3
	s_add_i32 s16, s9, -5
	s_add_i32 s17, s9, -6
	s_waitcnt lgkmcnt(0)
	v_fma_f64 v[48:49], v[57:58], v[53:54], v[48:49]
	s_set_gpr_idx_on s10, gpr_idx(SRC0)
	v_mov_b32_e32 v54, v18
	s_set_gpr_idx_off
	s_set_gpr_idx_on s11, gpr_idx(SRC0)
	v_mov_b32_e32 v53, v18
	s_set_gpr_idx_off
	s_add_i32 s10, s9, -3
	s_add_i32 s11, s9, -4
	v_fma_f64 v[48:49], v[53:54], v[55:56], v[48:49]
	s_set_gpr_idx_on s16, gpr_idx(SRC0)
	v_mov_b32_e32 v58, v18
	s_set_gpr_idx_off
	s_set_gpr_idx_on s17, gpr_idx(SRC0)
	v_mov_b32_e32 v57, v18
	s_set_gpr_idx_off
	ds_read2_b64 v[53:56], v59 offset0:4 offset1:5
	s_add_i32 s16, s9, -1
	s_add_i32 s17, s9, -2
	s_add_u32 s2, s2, 8
	s_addc_u32 s3, s3, 0
	s_waitcnt lgkmcnt(0)
	v_fma_f64 v[48:49], v[57:58], v[53:54], v[48:49]
	s_set_gpr_idx_on s10, gpr_idx(SRC0)
	v_mov_b32_e32 v54, v18
	s_set_gpr_idx_off
	s_set_gpr_idx_on s11, gpr_idx(SRC0)
	v_mov_b32_e32 v53, v18
	s_set_gpr_idx_off
	s_add_i32 s8, s8, 64
	v_fma_f64 v[48:49], v[53:54], v[55:56], v[48:49]
	s_set_gpr_idx_on s16, gpr_idx(SRC0)
	v_mov_b32_e32 v58, v18
	s_set_gpr_idx_off
	s_set_gpr_idx_on s17, gpr_idx(SRC0)
	v_mov_b32_e32 v57, v18
	s_set_gpr_idx_off
	ds_read2_b64 v[53:56], v59 offset0:6 offset1:7
	s_waitcnt lgkmcnt(0)
	v_fma_f64 v[48:49], v[57:58], v[53:54], v[48:49]
	s_set_gpr_idx_on s9, gpr_idx(SRC0)
	v_mov_b32_e32 v54, v19
	v_mov_b32_e32 v53, v18
	s_set_gpr_idx_off
	s_add_i32 s9, s2, -7
	v_fma_f64 v[48:49], v[53:54], v[55:56], v[48:49]
	v_add_u32_e32 v53, s2, v52
	v_cmp_eq_u32_e32 vcc, 8, v53
	s_or_b64 s[6:7], vcc, s[6:7]
	v_mov_b32_e32 v53, s9
	s_andn2_b64 exec, exec, s[6:7]
	s_cbranch_execnz .LBB70_73
; %bb.74:
	s_or_b64 exec, exec, s[6:7]
.LBB70_75:
	s_or_b64 exec, exec, s[0:1]
	v_and_b32_e32 v32, 7, v51
	v_cmp_ne_u32_e32 vcc, 0, v32
	s_and_saveexec_b64 s[2:3], vcc
	s_cbranch_execz .LBB70_79
; %bb.76:
	v_lshl_add_u32 v33, v53, 3, 64
	v_mov_b32_e32 v51, 0
	s_mov_b64 s[6:7], 0
.LBB70_77:                              ; =>This Inner Loop Header: Depth=1
	v_cmp_eq_u32_e32 vcc, 1, v53
	v_cndmask_b32_e32 v52, v19, v21, vcc
	v_cmp_eq_u32_e64 s[0:1], 2, v53
	v_cndmask_b32_e64 v52, v52, v23, s[0:1]
	v_cndmask_b32_e32 v56, v18, v20, vcc
	v_cmp_eq_u32_e32 vcc, 3, v53
	ds_read_b64 v[54:55], v33
	v_cndmask_b32_e32 v52, v52, v25, vcc
	v_cndmask_b32_e64 v56, v56, v22, s[0:1]
	v_cmp_eq_u32_e64 s[0:1], 4, v53
	v_cndmask_b32_e64 v52, v52, v27, s[0:1]
	v_cndmask_b32_e32 v56, v56, v24, vcc
	v_cmp_eq_u32_e32 vcc, 5, v53
	v_cndmask_b32_e32 v52, v52, v29, vcc
	v_cndmask_b32_e64 v56, v56, v26, s[0:1]
	v_cmp_eq_u32_e64 s[0:1], 6, v53
	v_cndmask_b32_e64 v57, v52, v31, s[0:1]
	v_cndmask_b32_e32 v52, v56, v28, vcc
	v_cndmask_b32_e64 v56, v52, v30, s[0:1]
	s_waitcnt lgkmcnt(0)
	v_fma_f64 v[48:49], v[56:57], v[54:55], v[48:49]
	v_add_u32_e32 v32, -1, v32
	v_cmp_eq_u32_e32 vcc, 0, v32
	s_or_b64 s[6:7], vcc, s[6:7]
	v_add_co_u32_e32 v53, vcc, 1, v53
	v_add_u32_e32 v33, 8, v33
	v_addc_co_u32_e32 v51, vcc, 0, v51, vcc
	s_andn2_b64 exec, exec, s[6:7]
	s_cbranch_execnz .LBB70_77
; %bb.78:
	s_or_b64 exec, exec, s[6:7]
.LBB70_79:
	s_or_b64 exec, exec, s[2:3]
.LBB70_80:
	s_or_b64 exec, exec, s[4:5]
	v_mov_b32_e32 v18, 0
	ds_read_b64 v[18:19], v18
	s_waitcnt lgkmcnt(0)
	v_mul_f64 v[18:19], v[48:49], v[18:19]
.LBB70_81:
	s_or_b64 exec, exec, s[12:13]
	s_branch .LBB70_133
.LBB70_82:
	v_cmp_eq_u32_e64 s[2:3], 0, v0
	s_waitcnt vmcnt(0) lgkmcnt(0)
	ds_write_b64 v50, v[4:5]
	s_waitcnt lgkmcnt(0)
	; wave barrier
	s_and_saveexec_b64 s[12:13], s[2:3]
	s_cbranch_execz .LBB70_88
; %bb.83:
	s_and_b64 vcc, exec, s[14:15]
	s_cbranch_vccz .LBB70_85
; %bb.84:
	v_cmp_eq_u32_e32 vcc, 1, v0
	v_cndmask_b32_e32 v5, v3, v5, vcc
	v_cmp_eq_u32_e64 s[0:1], 2, v0
	v_cndmask_b32_e32 v4, v2, v4, vcc
	v_cndmask_b32_e64 v5, v5, v7, s[0:1]
	v_cmp_eq_u32_e64 s[4:5], 3, v0
	v_cndmask_b32_e64 v4, v4, v6, s[0:1]
	ds_read_b64 v[16:17], v50
	v_cndmask_b32_e64 v5, v5, v9, s[4:5]
	v_cmp_eq_u32_e64 s[6:7], 4, v0
	v_cndmask_b32_e64 v4, v4, v8, s[4:5]
	v_cndmask_b32_e64 v5, v5, v11, s[6:7]
	v_cmp_eq_u32_e64 s[8:9], 5, v0
	v_cndmask_b32_e64 v4, v4, v10, s[6:7]
	;; [unrolled: 3-line block ×3, first 2 shown]
	v_cndmask_b32_e64 v5, v5, v15, s[10:11]
	v_cndmask_b32_e64 v4, v4, v14, s[10:11]
	s_waitcnt lgkmcnt(0)
	v_mul_f64 v[4:5], v[4:5], v[16:17]
	s_cbranch_execz .LBB70_86
	s_branch .LBB70_87
.LBB70_85:
                                        ; implicit-def: $vgpr4_vgpr5
.LBB70_86:
	ds_read_b64 v[4:5], v50
.LBB70_87:
	v_mov_b32_e32 v16, 0
	ds_read_b64 v[16:17], v16 offset:8
	s_waitcnt lgkmcnt(0)
	v_mul_f64 v[4:5], v[4:5], v[16:17]
.LBB70_88:
	s_or_b64 exec, exec, s[12:13]
	v_cndmask_b32_e64 v18, 0, 1, s[14:15]
	v_cmp_gt_u32_e32 vcc, 2, v0
	v_cmp_ne_u32_e64 s[0:1], 1, v18
	ds_write_b64 v50, v[6:7]
	s_waitcnt lgkmcnt(0)
	; wave barrier
	s_and_saveexec_b64 s[14:15], vcc
	s_cbranch_execz .LBB70_94
; %bb.89:
	s_and_b64 vcc, exec, s[0:1]
	s_cbranch_vccnz .LBB70_91
; %bb.90:
	v_cmp_eq_u32_e32 vcc, 1, v0
	v_cndmask_b32_e32 v16, v3, v5, vcc
	v_cmp_eq_u32_e64 s[4:5], 2, v0
	v_cndmask_b32_e64 v7, v16, v7, s[4:5]
	v_cndmask_b32_e32 v16, v2, v4, vcc
	v_cmp_eq_u32_e64 s[6:7], 3, v0
	v_cndmask_b32_e64 v6, v16, v6, s[4:5]
	ds_read_b64 v[16:17], v50
	v_cndmask_b32_e64 v7, v7, v9, s[6:7]
	v_cmp_eq_u32_e64 s[8:9], 4, v0
	v_cndmask_b32_e64 v6, v6, v8, s[6:7]
	v_cndmask_b32_e64 v7, v7, v11, s[8:9]
	v_cmp_eq_u32_e64 s[10:11], 5, v0
	v_cndmask_b32_e64 v6, v6, v10, s[8:9]
	;; [unrolled: 3-line block ×3, first 2 shown]
	v_cndmask_b32_e64 v7, v7, v15, s[12:13]
	v_cndmask_b32_e64 v6, v6, v14, s[12:13]
	s_waitcnt lgkmcnt(0)
	v_mul_f64 v[6:7], v[6:7], v[16:17]
	s_cbranch_execz .LBB70_92
	s_branch .LBB70_93
.LBB70_91:
                                        ; implicit-def: $vgpr6_vgpr7
.LBB70_92:
	ds_read_b64 v[6:7], v50
.LBB70_93:
	v_mov_b32_e32 v16, 0
	ds_read2_b64 v[16:19], v16 offset0:2 offset1:9
	s_waitcnt lgkmcnt(0)
	v_fma_f64 v[18:19], v[4:5], v[18:19], v[6:7]
	v_cndmask_b32_e64 v7, v7, v19, s[2:3]
	v_cndmask_b32_e64 v6, v6, v18, s[2:3]
	v_mul_f64 v[6:7], v[6:7], v[16:17]
.LBB70_94:
	s_or_b64 exec, exec, s[14:15]
	v_cmp_gt_u32_e32 vcc, 3, v0
	ds_write_b64 v50, v[8:9]
	s_waitcnt lgkmcnt(0)
	; wave barrier
	s_and_saveexec_b64 s[14:15], vcc
	s_cbranch_execz .LBB70_102
; %bb.95:
	s_and_b64 vcc, exec, s[0:1]
	s_cbranch_vccnz .LBB70_97
; %bb.96:
	v_cmp_eq_u32_e32 vcc, 1, v0
	v_cndmask_b32_e32 v16, v3, v5, vcc
	v_cmp_eq_u32_e64 s[4:5], 2, v0
	v_cndmask_b32_e64 v16, v16, v7, s[4:5]
	v_cmp_eq_u32_e64 s[6:7], 3, v0
	v_cndmask_b32_e64 v16, v16, v9, s[6:7]
	;; [unrolled: 2-line block ×5, first 2 shown]
	v_cndmask_b32_e32 v16, v2, v4, vcc
	v_cndmask_b32_e64 v16, v16, v6, s[4:5]
	ds_read_b64 v[18:19], v50
	v_cndmask_b32_e64 v16, v16, v8, s[6:7]
	v_cndmask_b32_e64 v16, v16, v10, s[8:9]
	;; [unrolled: 1-line block ×4, first 2 shown]
	s_waitcnt lgkmcnt(0)
	v_mul_f64 v[16:17], v[16:17], v[18:19]
	s_cbranch_execz .LBB70_98
	s_branch .LBB70_99
.LBB70_97:
                                        ; implicit-def: $vgpr16_vgpr17
.LBB70_98:
	ds_read_b64 v[16:17], v50
.LBB70_99:
	v_cmp_ne_u32_e32 vcc, 2, v0
	s_and_saveexec_b64 s[16:17], vcc
	s_cbranch_execz .LBB70_101
; %bb.100:
	v_add_u32_e32 v18, 1, v0
	v_cmp_eq_u32_e32 vcc, 1, v18
	v_cndmask_b32_e32 v19, v3, v5, vcc
	v_cmp_eq_u32_e64 s[4:5], 2, v18
	v_cmp_eq_u32_e64 s[6:7], 3, v18
	;; [unrolled: 1-line block ×5, first 2 shown]
	v_cndmask_b32_e32 v18, v2, v4, vcc
	v_cndmask_b32_e64 v19, v19, v7, s[4:5]
	v_cndmask_b32_e64 v18, v18, v6, s[4:5]
	;; [unrolled: 1-line block ×4, first 2 shown]
	ds_read_b64 v[18:19], v50 offset:8
	v_cndmask_b32_e64 v9, v9, v11, s[8:9]
	v_cndmask_b32_e64 v8, v8, v10, s[8:9]
	;; [unrolled: 1-line block ×6, first 2 shown]
	v_mov_b32_e32 v20, 0
	ds_read_b64 v[20:21], v20 offset:80
	s_waitcnt lgkmcnt(1)
	v_fma_f64 v[8:9], v[8:9], v[18:19], v[16:17]
	s_waitcnt lgkmcnt(0)
	v_fma_f64 v[16:17], v[6:7], v[20:21], v[8:9]
	v_cndmask_b32_e64 v17, v9, v17, s[2:3]
	v_cndmask_b32_e64 v16, v8, v16, s[2:3]
.LBB70_101:
	s_or_b64 exec, exec, s[16:17]
	v_mov_b32_e32 v8, 0
	ds_read_b64 v[8:9], v8 offset:24
	s_waitcnt lgkmcnt(0)
	v_mul_f64 v[8:9], v[16:17], v[8:9]
.LBB70_102:
	s_or_b64 exec, exec, s[14:15]
	v_cmp_gt_u32_e32 vcc, 4, v0
	ds_write_b64 v50, v[10:11]
	s_waitcnt lgkmcnt(0)
	; wave barrier
	s_and_saveexec_b64 s[12:13], vcc
	s_cbranch_execz .LBB70_112
; %bb.103:
	s_and_b64 vcc, exec, s[0:1]
	s_cbranch_vccnz .LBB70_105
; %bb.104:
	v_cmp_eq_u32_e32 vcc, 1, v0
	v_cndmask_b32_e32 v16, v3, v5, vcc
	v_cmp_eq_u32_e64 s[2:3], 2, v0
	v_cndmask_b32_e64 v16, v16, v7, s[2:3]
	v_cmp_eq_u32_e64 s[4:5], 3, v0
	v_cndmask_b32_e64 v16, v16, v9, s[4:5]
	;; [unrolled: 2-line block ×5, first 2 shown]
	v_cndmask_b32_e32 v16, v2, v4, vcc
	v_cndmask_b32_e64 v16, v16, v6, s[2:3]
	ds_read_b64 v[18:19], v50
	v_cndmask_b32_e64 v16, v16, v8, s[4:5]
	v_cndmask_b32_e64 v16, v16, v10, s[6:7]
	v_cndmask_b32_e64 v16, v16, v12, s[8:9]
	v_cndmask_b32_e64 v16, v16, v14, s[10:11]
	s_waitcnt lgkmcnt(0)
	v_mul_f64 v[16:17], v[16:17], v[18:19]
	s_cbranch_execz .LBB70_106
	s_branch .LBB70_107
.LBB70_105:
                                        ; implicit-def: $vgpr16_vgpr17
.LBB70_106:
	ds_read_b64 v[16:17], v50
.LBB70_107:
	v_cmp_ne_u32_e32 vcc, 3, v0
	s_and_saveexec_b64 s[4:5], vcc
	s_cbranch_execz .LBB70_111
; %bb.108:
	v_mov_b32_e32 v18, 0x48
	v_lshl_add_u32 v20, v0, 3, v18
	v_mov_b32_e32 v19, v1
	s_mov_b64 s[6:7], 0
	v_mov_b32_e32 v18, v0
.LBB70_109:                             ; =>This Inner Loop Header: Depth=1
	v_add_co_u32_e32 v18, vcc, 1, v18
	v_addc_co_u32_e32 v19, vcc, 0, v19, vcc
	v_cmp_eq_u32_e32 vcc, 1, v18
	v_cndmask_b32_e32 v23, v3, v5, vcc
	v_cmp_eq_u32_e64 s[2:3], 2, v18
	v_cndmask_b32_e64 v23, v23, v7, s[2:3]
	v_cndmask_b32_e32 v24, v2, v4, vcc
	v_cmp_eq_u32_e32 vcc, 3, v18
	ds_read_b64 v[21:22], v20
	v_cndmask_b32_e32 v23, v23, v9, vcc
	v_cndmask_b32_e64 v24, v24, v6, s[2:3]
	v_cmp_eq_u32_e64 s[2:3], 4, v18
	v_cndmask_b32_e64 v23, v23, v11, s[2:3]
	v_cndmask_b32_e32 v24, v24, v8, vcc
	v_cmp_eq_u32_e32 vcc, 5, v18
	v_cndmask_b32_e32 v23, v23, v13, vcc
	v_cndmask_b32_e64 v25, v24, v10, s[2:3]
	v_cmp_eq_u32_e64 s[2:3], 6, v18
	v_cndmask_b32_e64 v24, v23, v15, s[2:3]
	v_cndmask_b32_e32 v23, v25, v12, vcc
	v_cndmask_b32_e64 v23, v23, v14, s[2:3]
	s_waitcnt lgkmcnt(0)
	v_fma_f64 v[16:17], v[23:24], v[21:22], v[16:17]
	v_cmp_lt_u32_e32 vcc, 2, v18
	s_or_b64 s[6:7], vcc, s[6:7]
	v_add_u32_e32 v20, 8, v20
	s_andn2_b64 exec, exec, s[6:7]
	s_cbranch_execnz .LBB70_109
; %bb.110:
	s_or_b64 exec, exec, s[6:7]
.LBB70_111:
	s_or_b64 exec, exec, s[4:5]
	v_mov_b32_e32 v10, 0
	ds_read_b64 v[10:11], v10 offset:32
	s_waitcnt lgkmcnt(0)
	v_mul_f64 v[10:11], v[16:17], v[10:11]
.LBB70_112:
	s_or_b64 exec, exec, s[12:13]
	v_cmp_gt_u32_e64 s[2:3], 5, v0
	ds_write_b64 v50, v[12:13]
	s_waitcnt lgkmcnt(0)
	; wave barrier
	s_and_saveexec_b64 s[14:15], s[2:3]
	s_cbranch_execz .LBB70_122
; %bb.113:
	s_and_b64 vcc, exec, s[0:1]
	s_cbranch_vccnz .LBB70_115
; %bb.114:
	v_cmp_eq_u32_e32 vcc, 1, v0
	v_cndmask_b32_e32 v16, v3, v5, vcc
	v_cmp_eq_u32_e64 s[4:5], 2, v0
	v_cndmask_b32_e64 v16, v16, v7, s[4:5]
	v_cmp_eq_u32_e64 s[6:7], 3, v0
	v_cndmask_b32_e64 v16, v16, v9, s[6:7]
	;; [unrolled: 2-line block ×5, first 2 shown]
	v_cndmask_b32_e32 v16, v2, v4, vcc
	v_cndmask_b32_e64 v16, v16, v6, s[4:5]
	ds_read_b64 v[18:19], v50
	v_cndmask_b32_e64 v16, v16, v8, s[6:7]
	v_cndmask_b32_e64 v16, v16, v10, s[8:9]
	v_cndmask_b32_e64 v16, v16, v12, s[10:11]
	v_cndmask_b32_e64 v16, v16, v14, s[12:13]
	s_waitcnt lgkmcnt(0)
	v_mul_f64 v[16:17], v[16:17], v[18:19]
	s_cbranch_execz .LBB70_116
	s_branch .LBB70_117
.LBB70_115:
                                        ; implicit-def: $vgpr16_vgpr17
.LBB70_116:
	ds_read_b64 v[16:17], v50
.LBB70_117:
	v_cmp_ne_u32_e32 vcc, 4, v0
	s_and_saveexec_b64 s[6:7], vcc
	s_cbranch_execz .LBB70_121
; %bb.118:
	v_mov_b32_e32 v18, 0x48
	v_lshl_add_u32 v20, v0, 3, v18
	v_mov_b32_e32 v19, v1
	s_mov_b64 s[8:9], 0
	v_mov_b32_e32 v18, v0
.LBB70_119:                             ; =>This Inner Loop Header: Depth=1
	v_add_co_u32_e32 v18, vcc, 1, v18
	v_addc_co_u32_e32 v19, vcc, 0, v19, vcc
	v_cmp_eq_u32_e32 vcc, 1, v18
	v_cndmask_b32_e32 v23, v3, v5, vcc
	v_cmp_eq_u32_e64 s[4:5], 2, v18
	v_cndmask_b32_e64 v23, v23, v7, s[4:5]
	v_cndmask_b32_e32 v24, v2, v4, vcc
	v_cmp_eq_u32_e32 vcc, 3, v18
	ds_read_b64 v[21:22], v20
	v_cndmask_b32_e32 v23, v23, v9, vcc
	v_cndmask_b32_e64 v24, v24, v6, s[4:5]
	v_cmp_eq_u32_e64 s[4:5], 4, v18
	v_cndmask_b32_e64 v23, v23, v11, s[4:5]
	v_cndmask_b32_e32 v24, v24, v8, vcc
	v_cmp_eq_u32_e32 vcc, 5, v18
	v_cndmask_b32_e32 v23, v23, v13, vcc
	v_cndmask_b32_e64 v25, v24, v10, s[4:5]
	v_cmp_eq_u32_e64 s[4:5], 6, v18
	v_cndmask_b32_e64 v24, v23, v15, s[4:5]
	v_cndmask_b32_e32 v23, v25, v12, vcc
	v_cndmask_b32_e64 v23, v23, v14, s[4:5]
	s_waitcnt lgkmcnt(0)
	v_fma_f64 v[16:17], v[23:24], v[21:22], v[16:17]
	v_cmp_lt_u32_e32 vcc, 3, v18
	s_or_b64 s[8:9], vcc, s[8:9]
	v_add_u32_e32 v20, 8, v20
	s_andn2_b64 exec, exec, s[8:9]
	s_cbranch_execnz .LBB70_119
; %bb.120:
	s_or_b64 exec, exec, s[8:9]
.LBB70_121:
	s_or_b64 exec, exec, s[6:7]
	v_mov_b32_e32 v12, 0
	ds_read_b64 v[12:13], v12 offset:40
	s_waitcnt lgkmcnt(0)
	v_mul_f64 v[12:13], v[16:17], v[12:13]
.LBB70_122:
	s_or_b64 exec, exec, s[14:15]
	v_cmp_ne_u32_e32 vcc, 6, v0
	ds_write_b64 v50, v[14:15]
	s_waitcnt lgkmcnt(0)
	; wave barrier
	s_and_saveexec_b64 s[12:13], vcc
	s_cbranch_execz .LBB70_132
; %bb.123:
	s_and_b64 vcc, exec, s[0:1]
	s_cbranch_vccnz .LBB70_125
; %bb.124:
	v_cmp_eq_u32_e32 vcc, 1, v0
	v_cndmask_b32_e32 v16, v3, v5, vcc
	v_cmp_eq_u32_e64 s[0:1], 2, v0
	v_cndmask_b32_e64 v16, v16, v7, s[0:1]
	v_cmp_eq_u32_e64 s[4:5], 3, v0
	v_cndmask_b32_e64 v16, v16, v9, s[4:5]
	;; [unrolled: 2-line block ×5, first 2 shown]
	v_cndmask_b32_e32 v16, v2, v4, vcc
	v_cndmask_b32_e64 v16, v16, v6, s[0:1]
	ds_read_b64 v[18:19], v50
	v_cndmask_b32_e64 v16, v16, v8, s[4:5]
	v_cndmask_b32_e64 v16, v16, v10, s[6:7]
	;; [unrolled: 1-line block ×4, first 2 shown]
	s_waitcnt lgkmcnt(0)
	v_mul_f64 v[16:17], v[16:17], v[18:19]
	s_cbranch_execz .LBB70_126
	s_branch .LBB70_127
.LBB70_125:
                                        ; implicit-def: $vgpr16_vgpr17
.LBB70_126:
	ds_read_b64 v[16:17], v50
.LBB70_127:
	s_and_saveexec_b64 s[4:5], s[2:3]
	s_cbranch_execz .LBB70_131
; %bb.128:
	v_mov_b32_e32 v18, 0x48
	v_lshl_add_u32 v18, v0, 3, v18
	s_mov_b64 s[2:3], 0
.LBB70_129:                             ; =>This Inner Loop Header: Depth=1
	v_add_co_u32_e32 v0, vcc, 1, v0
	v_addc_co_u32_e32 v1, vcc, 0, v1, vcc
	v_cmp_eq_u32_e32 vcc, 1, v0
	v_cndmask_b32_e32 v21, v3, v5, vcc
	v_cmp_eq_u32_e64 s[0:1], 2, v0
	v_cndmask_b32_e64 v21, v21, v7, s[0:1]
	v_cndmask_b32_e32 v22, v2, v4, vcc
	v_cmp_eq_u32_e32 vcc, 3, v0
	ds_read_b64 v[19:20], v18
	v_cndmask_b32_e32 v21, v21, v9, vcc
	v_cndmask_b32_e64 v22, v22, v6, s[0:1]
	v_cmp_eq_u32_e64 s[0:1], 4, v0
	v_cndmask_b32_e64 v21, v21, v11, s[0:1]
	v_cndmask_b32_e32 v22, v22, v8, vcc
	v_cmp_eq_u32_e32 vcc, 5, v0
	v_cndmask_b32_e32 v21, v21, v13, vcc
	v_cndmask_b32_e64 v23, v22, v10, s[0:1]
	v_cmp_eq_u32_e64 s[0:1], 6, v0
	v_cndmask_b32_e64 v22, v21, v15, s[0:1]
	v_cndmask_b32_e32 v21, v23, v12, vcc
	v_cndmask_b32_e64 v21, v21, v14, s[0:1]
	s_waitcnt lgkmcnt(0)
	v_fma_f64 v[16:17], v[21:22], v[19:20], v[16:17]
	v_cmp_lt_u32_e32 vcc, 4, v0
	s_or_b64 s[2:3], vcc, s[2:3]
	v_add_u32_e32 v18, 8, v18
	s_andn2_b64 exec, exec, s[2:3]
	s_cbranch_execnz .LBB70_129
; %bb.130:
	s_or_b64 exec, exec, s[2:3]
.LBB70_131:
	s_or_b64 exec, exec, s[4:5]
	v_mov_b32_e32 v0, 0
	ds_read_b64 v[0:1], v0 offset:48
	s_waitcnt lgkmcnt(0)
	v_mul_f64 v[14:15], v[16:17], v[0:1]
.LBB70_132:
	s_or_b64 exec, exec, s[12:13]
	v_mov_b32_e32 v33, v17
	v_mov_b32_e32 v32, v16
	;; [unrolled: 1-line block ×16, first 2 shown]
.LBB70_133:
	flat_store_dwordx2 v[34:35], v[18:19]
	flat_store_dwordx2 v[36:37], v[20:21]
	;; [unrolled: 1-line block ×7, first 2 shown]
.LBB70_134:
	s_endpgm
	.section	.rodata,"a",@progbits
	.p2align	6, 0x0
	.amdhsa_kernel _ZN9rocsolver6v33100L18trti2_kernel_smallILi7EdPKPdEEv13rocblas_fill_17rocblas_diagonal_T1_iil
		.amdhsa_group_segment_fixed_size 120
		.amdhsa_private_segment_fixed_size 0
		.amdhsa_kernarg_size 32
		.amdhsa_user_sgpr_count 6
		.amdhsa_user_sgpr_private_segment_buffer 1
		.amdhsa_user_sgpr_dispatch_ptr 0
		.amdhsa_user_sgpr_queue_ptr 0
		.amdhsa_user_sgpr_kernarg_segment_ptr 1
		.amdhsa_user_sgpr_dispatch_id 0
		.amdhsa_user_sgpr_flat_scratch_init 0
		.amdhsa_user_sgpr_private_segment_size 0
		.amdhsa_uses_dynamic_stack 0
		.amdhsa_system_sgpr_private_segment_wavefront_offset 0
		.amdhsa_system_sgpr_workgroup_id_x 1
		.amdhsa_system_sgpr_workgroup_id_y 0
		.amdhsa_system_sgpr_workgroup_id_z 0
		.amdhsa_system_sgpr_workgroup_info 0
		.amdhsa_system_vgpr_workitem_id 0
		.amdhsa_next_free_vgpr 69
		.amdhsa_next_free_sgpr 20
		.amdhsa_reserve_vcc 1
		.amdhsa_reserve_flat_scratch 0
		.amdhsa_float_round_mode_32 0
		.amdhsa_float_round_mode_16_64 0
		.amdhsa_float_denorm_mode_32 3
		.amdhsa_float_denorm_mode_16_64 3
		.amdhsa_dx10_clamp 1
		.amdhsa_ieee_mode 1
		.amdhsa_fp16_overflow 0
		.amdhsa_exception_fp_ieee_invalid_op 0
		.amdhsa_exception_fp_denorm_src 0
		.amdhsa_exception_fp_ieee_div_zero 0
		.amdhsa_exception_fp_ieee_overflow 0
		.amdhsa_exception_fp_ieee_underflow 0
		.amdhsa_exception_fp_ieee_inexact 0
		.amdhsa_exception_int_div_zero 0
	.end_amdhsa_kernel
	.section	.text._ZN9rocsolver6v33100L18trti2_kernel_smallILi7EdPKPdEEv13rocblas_fill_17rocblas_diagonal_T1_iil,"axG",@progbits,_ZN9rocsolver6v33100L18trti2_kernel_smallILi7EdPKPdEEv13rocblas_fill_17rocblas_diagonal_T1_iil,comdat
.Lfunc_end70:
	.size	_ZN9rocsolver6v33100L18trti2_kernel_smallILi7EdPKPdEEv13rocblas_fill_17rocblas_diagonal_T1_iil, .Lfunc_end70-_ZN9rocsolver6v33100L18trti2_kernel_smallILi7EdPKPdEEv13rocblas_fill_17rocblas_diagonal_T1_iil
                                        ; -- End function
	.set _ZN9rocsolver6v33100L18trti2_kernel_smallILi7EdPKPdEEv13rocblas_fill_17rocblas_diagonal_T1_iil.num_vgpr, 69
	.set _ZN9rocsolver6v33100L18trti2_kernel_smallILi7EdPKPdEEv13rocblas_fill_17rocblas_diagonal_T1_iil.num_agpr, 0
	.set _ZN9rocsolver6v33100L18trti2_kernel_smallILi7EdPKPdEEv13rocblas_fill_17rocblas_diagonal_T1_iil.numbered_sgpr, 20
	.set _ZN9rocsolver6v33100L18trti2_kernel_smallILi7EdPKPdEEv13rocblas_fill_17rocblas_diagonal_T1_iil.num_named_barrier, 0
	.set _ZN9rocsolver6v33100L18trti2_kernel_smallILi7EdPKPdEEv13rocblas_fill_17rocblas_diagonal_T1_iil.private_seg_size, 0
	.set _ZN9rocsolver6v33100L18trti2_kernel_smallILi7EdPKPdEEv13rocblas_fill_17rocblas_diagonal_T1_iil.uses_vcc, 1
	.set _ZN9rocsolver6v33100L18trti2_kernel_smallILi7EdPKPdEEv13rocblas_fill_17rocblas_diagonal_T1_iil.uses_flat_scratch, 0
	.set _ZN9rocsolver6v33100L18trti2_kernel_smallILi7EdPKPdEEv13rocblas_fill_17rocblas_diagonal_T1_iil.has_dyn_sized_stack, 0
	.set _ZN9rocsolver6v33100L18trti2_kernel_smallILi7EdPKPdEEv13rocblas_fill_17rocblas_diagonal_T1_iil.has_recursion, 0
	.set _ZN9rocsolver6v33100L18trti2_kernel_smallILi7EdPKPdEEv13rocblas_fill_17rocblas_diagonal_T1_iil.has_indirect_call, 0
	.section	.AMDGPU.csdata,"",@progbits
; Kernel info:
; codeLenInByte = 7260
; TotalNumSgprs: 24
; NumVgprs: 69
; ScratchSize: 0
; MemoryBound: 0
; FloatMode: 240
; IeeeMode: 1
; LDSByteSize: 120 bytes/workgroup (compile time only)
; SGPRBlocks: 2
; VGPRBlocks: 17
; NumSGPRsForWavesPerEU: 24
; NumVGPRsForWavesPerEU: 69
; Occupancy: 3
; WaveLimiterHint : 1
; COMPUTE_PGM_RSRC2:SCRATCH_EN: 0
; COMPUTE_PGM_RSRC2:USER_SGPR: 6
; COMPUTE_PGM_RSRC2:TRAP_HANDLER: 0
; COMPUTE_PGM_RSRC2:TGID_X_EN: 1
; COMPUTE_PGM_RSRC2:TGID_Y_EN: 0
; COMPUTE_PGM_RSRC2:TGID_Z_EN: 0
; COMPUTE_PGM_RSRC2:TIDIG_COMP_CNT: 0
	.section	.text._ZN9rocsolver6v33100L18trti2_kernel_smallILi8EdPKPdEEv13rocblas_fill_17rocblas_diagonal_T1_iil,"axG",@progbits,_ZN9rocsolver6v33100L18trti2_kernel_smallILi8EdPKPdEEv13rocblas_fill_17rocblas_diagonal_T1_iil,comdat
	.globl	_ZN9rocsolver6v33100L18trti2_kernel_smallILi8EdPKPdEEv13rocblas_fill_17rocblas_diagonal_T1_iil ; -- Begin function _ZN9rocsolver6v33100L18trti2_kernel_smallILi8EdPKPdEEv13rocblas_fill_17rocblas_diagonal_T1_iil
	.p2align	8
	.type	_ZN9rocsolver6v33100L18trti2_kernel_smallILi8EdPKPdEEv13rocblas_fill_17rocblas_diagonal_T1_iil,@function
_ZN9rocsolver6v33100L18trti2_kernel_smallILi8EdPKPdEEv13rocblas_fill_17rocblas_diagonal_T1_iil: ; @_ZN9rocsolver6v33100L18trti2_kernel_smallILi8EdPKPdEEv13rocblas_fill_17rocblas_diagonal_T1_iil
; %bb.0:
	v_cmp_gt_u32_e32 vcc, 8, v0
	s_and_saveexec_b64 s[0:1], vcc
	s_cbranch_execz .LBB71_160
; %bb.1:
	s_load_dwordx2 s[0:1], s[4:5], 0x10
	s_load_dwordx4 s[16:19], s[4:5], 0x0
	s_ashr_i32 s7, s6, 31
	s_lshl_b64 s[2:3], s[6:7], 3
	v_lshlrev_b32_e32 v20, 3, v0
	s_waitcnt lgkmcnt(0)
	s_ashr_i32 s5, s0, 31
	s_add_u32 s2, s18, s2
	s_addc_u32 s3, s19, s3
	s_load_dwordx2 s[2:3], s[2:3], 0x0
	s_mov_b32 s4, s0
	s_lshl_b64 s[4:5], s[4:5], 3
	v_mov_b32_e32 v18, 0
	v_mov_b32_e32 v19, 0xbff00000
	s_waitcnt lgkmcnt(0)
	s_add_u32 s0, s2, s4
	s_addc_u32 s4, s3, s5
	v_mov_b32_e32 v1, s4
	v_add_co_u32_e32 v34, vcc, s0, v20
	s_add_i32 s5, s1, s1
	v_addc_co_u32_e32 v35, vcc, 0, v1, vcc
	v_add_u32_e32 v1, s5, v0
	v_ashrrev_i32_e32 v2, 31, v1
	v_lshlrev_b64 v[2:3], 3, v[1:2]
	v_add_u32_e32 v1, s1, v1
	v_mov_b32_e32 v4, s4
	v_add_co_u32_e32 v36, vcc, s0, v2
	v_ashrrev_i32_e32 v2, 31, v1
	v_addc_co_u32_e32 v37, vcc, v4, v3, vcc
	v_lshlrev_b64 v[2:3], 3, v[1:2]
	v_add_u32_e32 v1, s1, v1
	v_add_co_u32_e32 v38, vcc, s0, v2
	v_ashrrev_i32_e32 v2, 31, v1
	v_addc_co_u32_e32 v39, vcc, v4, v3, vcc
	v_lshlrev_b64 v[2:3], 3, v[1:2]
	v_add_u32_e32 v1, s1, v1
	;; [unrolled: 5-line block ×4, first 2 shown]
	v_add_co_u32_e32 v44, vcc, s0, v2
	v_ashrrev_i32_e32 v2, 31, v1
	v_lshlrev_b64 v[1:2], 3, v[1:2]
	v_addc_co_u32_e32 v45, vcc, v4, v3, vcc
	s_ashr_i32 s3, s1, 31
	s_mov_b32 s2, s1
	v_mov_b32_e32 v3, s4
	v_add_co_u32_e32 v46, vcc, s0, v1
	s_lshl_b64 s[2:3], s[2:3], 3
	v_addc_co_u32_e32 v47, vcc, v3, v2, vcc
	v_mov_b32_e32 v1, s3
	v_add_co_u32_e32 v48, vcc, s2, v34
	v_addc_co_u32_e32 v49, vcc, v35, v1, vcc
	flat_load_dwordx2 v[2:3], v[34:35]
	flat_load_dwordx2 v[4:5], v[48:49]
	;; [unrolled: 1-line block ×8, first 2 shown]
	s_cmpk_lg_i32 s17, 0x84
	s_cselect_b64 s[18:19], -1, 0
	s_cmpk_eq_i32 s17, 0x84
	v_mov_b32_e32 v1, 0
	s_cbranch_scc1 .LBB71_3
; %bb.2:
	v_cmp_eq_u32_e64 s[0:1], 1, v0
	s_waitcnt vmcnt(0) lgkmcnt(0)
	v_cndmask_b32_e64 v18, v3, v5, s[0:1]
	v_cmp_eq_u32_e64 s[2:3], 2, v0
	v_cndmask_b32_e64 v18, v18, v7, s[2:3]
	v_cmp_eq_u32_e64 s[4:5], 3, v0
	v_cndmask_b32_e64 v18, v18, v9, s[4:5]
	v_cmp_eq_u32_e64 s[6:7], 4, v0
	v_cndmask_b32_e64 v18, v18, v11, s[6:7]
	v_cmp_eq_u32_e64 s[8:9], 5, v0
	v_cndmask_b32_e64 v18, v18, v13, s[8:9]
	v_cmp_eq_u32_e64 s[10:11], 6, v0
	v_cndmask_b32_e64 v18, v18, v15, s[10:11]
	v_cmp_eq_u32_e64 s[12:13], 7, v0
	v_cndmask_b32_e64 v19, v18, v17, s[12:13]
	v_cndmask_b32_e64 v18, v2, v4, s[0:1]
	;; [unrolled: 1-line block ×8, first 2 shown]
	v_div_scale_f64 v[21:22], s[14:15], v[18:19], v[18:19], 1.0
	v_rcp_f64_e32 v[23:24], v[21:22]
	v_fma_f64 v[25:26], -v[21:22], v[23:24], 1.0
	v_fma_f64 v[23:24], v[23:24], v[25:26], v[23:24]
	v_div_scale_f64 v[25:26], vcc, 1.0, v[18:19], 1.0
	v_fma_f64 v[27:28], -v[21:22], v[23:24], 1.0
	v_fma_f64 v[23:24], v[23:24], v[27:28], v[23:24]
	v_mul_f64 v[27:28], v[25:26], v[23:24]
	v_fma_f64 v[21:22], -v[21:22], v[27:28], v[25:26]
	v_div_fmas_f64 v[21:22], v[21:22], v[23:24], v[27:28]
	v_cmp_eq_u32_e32 vcc, 0, v0
	v_div_fixup_f64 v[18:19], v[21:22], v[18:19], 1.0
	v_cndmask_b32_e64 v17, v17, v19, s[12:13]
	v_cndmask_b32_e64 v16, v16, v18, s[12:13]
	;; [unrolled: 1-line block ×14, first 2 shown]
	v_cndmask_b32_e32 v3, v3, v19, vcc
	v_cndmask_b32_e32 v2, v2, v18, vcc
	v_xor_b32_e32 v19, 0x80000000, v19
.LBB71_3:
	s_cmpk_eq_i32 s16, 0x79
	v_add_u32_e32 v52, 64, v20
	ds_write_b64 v20, v[18:19]
	s_cbranch_scc1 .LBB71_7
; %bb.4:
	s_waitcnt vmcnt(0) lgkmcnt(0)
	v_mov_b32_e32 v33, v17
	v_mov_b32_e32 v32, v16
	v_mov_b32_e32 v31, v15
	v_mov_b32_e32 v30, v14
	v_mov_b32_e32 v29, v13
	v_mov_b32_e32 v28, v12
	v_mov_b32_e32 v27, v11
	v_mov_b32_e32 v26, v10
	v_mov_b32_e32 v25, v9
	v_mov_b32_e32 v24, v8
	v_mov_b32_e32 v23, v7
	v_mov_b32_e32 v22, v6
	v_mov_b32_e32 v21, v5
	v_mov_b32_e32 v20, v4
	v_mov_b32_e32 v19, v3
	v_mov_b32_e32 v18, v2
	v_cmp_eq_u32_e64 s[0:1], 7, v0
	ds_write_b64 v52, v[14:15]
	s_waitcnt lgkmcnt(0)
	; wave barrier
	s_and_saveexec_b64 s[14:15], s[0:1]
	s_cbranch_execz .LBB71_11
; %bb.5:
	s_and_b64 vcc, exec, s[18:19]
	s_cbranch_vccz .LBB71_8
; %bb.6:
	v_cmp_eq_u32_e32 vcc, 1, v0
	v_cndmask_b32_e32 v18, v3, v5, vcc
	v_cmp_eq_u32_e64 s[2:3], 2, v0
	v_cndmask_b32_e64 v18, v18, v7, s[2:3]
	v_cmp_eq_u32_e64 s[4:5], 3, v0
	v_cndmask_b32_e64 v18, v18, v9, s[4:5]
	;; [unrolled: 2-line block ×6, first 2 shown]
	v_cndmask_b32_e32 v18, v2, v4, vcc
	v_cndmask_b32_e64 v18, v18, v6, s[2:3]
	v_cndmask_b32_e64 v18, v18, v8, s[4:5]
	ds_read_b64 v[20:21], v52
	v_cndmask_b32_e64 v18, v18, v10, s[6:7]
	v_cndmask_b32_e64 v18, v18, v12, s[8:9]
	;; [unrolled: 1-line block ×4, first 2 shown]
	s_waitcnt lgkmcnt(0)
	v_mul_f64 v[18:19], v[18:19], v[20:21]
	s_cbranch_execz .LBB71_9
	s_branch .LBB71_10
.LBB71_7:
                                        ; implicit-def: $vgpr18_vgpr19_vgpr20_vgpr21_vgpr22_vgpr23_vgpr24_vgpr25_vgpr26_vgpr27_vgpr28_vgpr29_vgpr30_vgpr31_vgpr32_vgpr33
	s_cbranch_execnz .LBB71_98
	s_branch .LBB71_159
.LBB71_8:
                                        ; implicit-def: $vgpr18_vgpr19
.LBB71_9:
	ds_read_b64 v[18:19], v52
.LBB71_10:
	v_mov_b32_e32 v20, 0
	ds_read_b64 v[20:21], v20 offset:48
	s_waitcnt lgkmcnt(0)
	v_mul_f64 v[50:51], v[18:19], v[20:21]
	v_mov_b32_e32 v33, v17
	v_mov_b32_e32 v31, v15
	;; [unrolled: 1-line block ×18, first 2 shown]
.LBB71_11:
	s_or_b64 exec, exec, s[14:15]
	v_cmp_lt_u32_e64 s[2:3], 5, v0
	ds_write_b64 v52, v[28:29]
	s_waitcnt lgkmcnt(0)
	; wave barrier
	s_and_saveexec_b64 s[16:17], s[2:3]
	s_cbranch_execz .LBB71_17
; %bb.12:
	s_andn2_b64 vcc, exec, s[18:19]
	s_cbranch_vccnz .LBB71_14
; %bb.13:
	v_cmp_eq_u32_e32 vcc, 1, v0
	v_cndmask_b32_e32 v50, v19, v21, vcc
	v_cmp_eq_u32_e64 s[4:5], 2, v0
	v_cndmask_b32_e64 v50, v50, v23, s[4:5]
	v_cmp_eq_u32_e64 s[6:7], 3, v0
	v_cndmask_b32_e64 v50, v50, v25, s[6:7]
	;; [unrolled: 2-line block ×4, first 2 shown]
	v_cndmask_b32_e32 v50, v18, v20, vcc
	v_cndmask_b32_e64 v50, v50, v22, s[4:5]
	v_cndmask_b32_e64 v53, v50, v24, s[6:7]
	ds_read_b64 v[50:51], v52
	v_cndmask_b32_e64 v53, v53, v26, s[8:9]
	v_cmp_eq_u32_e64 s[12:13], 6, v0
	v_cndmask_b32_e64 v28, v53, v28, s[10:11]
	v_cndmask_b32_e64 v29, v29, v31, s[12:13]
	v_cmp_eq_u32_e64 s[14:15], 7, v0
	v_cndmask_b32_e64 v28, v28, v30, s[12:13]
	v_cndmask_b32_e64 v29, v29, v33, s[14:15]
	;; [unrolled: 1-line block ×3, first 2 shown]
	s_waitcnt lgkmcnt(0)
	v_mul_f64 v[28:29], v[28:29], v[50:51]
	s_cbranch_execz .LBB71_15
	s_branch .LBB71_16
.LBB71_14:
                                        ; implicit-def: $vgpr28_vgpr29
.LBB71_15:
	ds_read_b64 v[28:29], v52
.LBB71_16:
	v_mov_b32_e32 v50, 0
	ds_read2_b64 v[53:56], v50 offset0:5 offset1:14
	s_waitcnt lgkmcnt(0)
	v_fma_f64 v[50:51], v[30:31], v[55:56], v[28:29]
	v_cndmask_b32_e64 v29, v29, v51, s[0:1]
	v_cndmask_b32_e64 v28, v28, v50, s[0:1]
	v_mul_f64 v[28:29], v[28:29], v[53:54]
.LBB71_17:
	s_or_b64 exec, exec, s[16:17]
	v_cmp_lt_u32_e64 s[0:1], 4, v0
	ds_write_b64 v52, v[26:27]
	s_waitcnt lgkmcnt(0)
	; wave barrier
	s_and_saveexec_b64 s[16:17], s[0:1]
	s_cbranch_execz .LBB71_33
; %bb.18:
	s_andn2_b64 vcc, exec, s[18:19]
	s_cbranch_vccnz .LBB71_20
; %bb.19:
	v_cmp_eq_u32_e32 vcc, 1, v0
	v_cndmask_b32_e32 v50, v19, v21, vcc
	v_cmp_eq_u32_e64 s[4:5], 2, v0
	v_cndmask_b32_e64 v50, v50, v23, s[4:5]
	v_cmp_eq_u32_e64 s[6:7], 3, v0
	v_cndmask_b32_e64 v50, v50, v25, s[6:7]
	;; [unrolled: 2-line block ×6, first 2 shown]
	v_cndmask_b32_e32 v50, v18, v20, vcc
	v_cndmask_b32_e64 v50, v50, v22, s[4:5]
	v_cndmask_b32_e64 v50, v50, v24, s[6:7]
	ds_read_b64 v[53:54], v52
	v_cndmask_b32_e64 v50, v50, v26, s[8:9]
	v_cndmask_b32_e64 v50, v50, v28, s[10:11]
	;; [unrolled: 1-line block ×4, first 2 shown]
	s_waitcnt lgkmcnt(0)
	v_mul_f64 v[50:51], v[50:51], v[53:54]
	s_cbranch_execz .LBB71_21
	s_branch .LBB71_22
.LBB71_20:
                                        ; implicit-def: $vgpr50_vgpr51
.LBB71_21:
	ds_read_b64 v[50:51], v52
.LBB71_22:
	s_and_saveexec_b64 s[4:5], s[2:3]
	s_cbranch_execz .LBB71_32
; %bb.23:
	v_add_u32_e32 v54, -6, v0
	v_add_u32_e32 v53, -5, v0
	v_cmp_lt_u32_e32 vcc, 6, v54
	v_mov_b32_e32 v55, 5
	s_and_saveexec_b64 s[2:3], vcc
	s_cbranch_execz .LBB71_27
; %bb.24:
	v_and_b32_e32 v54, -8, v53
	v_sub_u32_e32 v54, 0, v54
	s_mov_b64 s[6:7], 12
	s_movk_i32 s10, 0x68
	s_mov_b64 s[8:9], 0
.LBB71_25:                              ; =>This Inner Loop Header: Depth=1
	s_lshl_b32 s11, s6, 1
	s_add_i32 s12, s11, -13
	v_mov_b32_e32 v61, s10
	s_add_i32 s13, s11, -14
	s_set_gpr_idx_on s12, gpr_idx(SRC0)
	v_mov_b32_e32 v60, v18
	s_set_gpr_idx_off
	s_set_gpr_idx_on s13, gpr_idx(SRC0)
	v_mov_b32_e32 v59, v18
	s_set_gpr_idx_off
	ds_read2_b64 v[55:58], v61 offset1:1
	s_add_i32 s12, s11, -11
	s_add_i32 s13, s11, -12
	s_add_i32 s14, s11, -9
	s_add_i32 s15, s11, -10
	s_waitcnt lgkmcnt(0)
	v_fma_f64 v[50:51], v[59:60], v[55:56], v[50:51]
	s_set_gpr_idx_on s12, gpr_idx(SRC0)
	v_mov_b32_e32 v56, v18
	s_set_gpr_idx_off
	s_set_gpr_idx_on s13, gpr_idx(SRC0)
	v_mov_b32_e32 v55, v18
	s_set_gpr_idx_off
	s_add_i32 s12, s11, -7
	s_add_i32 s13, s11, -8
	v_fma_f64 v[50:51], v[55:56], v[57:58], v[50:51]
	s_set_gpr_idx_on s14, gpr_idx(SRC0)
	v_mov_b32_e32 v60, v18
	s_set_gpr_idx_off
	s_set_gpr_idx_on s15, gpr_idx(SRC0)
	v_mov_b32_e32 v59, v18
	s_set_gpr_idx_off
	ds_read2_b64 v[55:58], v61 offset0:2 offset1:3
	s_add_i32 s14, s11, -5
	s_add_i32 s15, s11, -6
	s_waitcnt lgkmcnt(0)
	v_fma_f64 v[50:51], v[59:60], v[55:56], v[50:51]
	s_set_gpr_idx_on s12, gpr_idx(SRC0)
	v_mov_b32_e32 v56, v18
	s_set_gpr_idx_off
	s_set_gpr_idx_on s13, gpr_idx(SRC0)
	v_mov_b32_e32 v55, v18
	s_set_gpr_idx_off
	s_add_i32 s12, s11, -3
	s_add_i32 s13, s11, -4
	v_fma_f64 v[50:51], v[55:56], v[57:58], v[50:51]
	s_set_gpr_idx_on s14, gpr_idx(SRC0)
	v_mov_b32_e32 v60, v18
	s_set_gpr_idx_off
	s_set_gpr_idx_on s15, gpr_idx(SRC0)
	v_mov_b32_e32 v59, v18
	s_set_gpr_idx_off
	ds_read2_b64 v[55:58], v61 offset0:4 offset1:5
	s_add_i32 s14, s11, -1
	s_add_i32 s15, s11, -2
	s_add_u32 s6, s6, 8
	s_addc_u32 s7, s7, 0
	s_waitcnt lgkmcnt(0)
	v_fma_f64 v[50:51], v[59:60], v[55:56], v[50:51]
	s_set_gpr_idx_on s12, gpr_idx(SRC0)
	v_mov_b32_e32 v56, v18
	s_set_gpr_idx_off
	s_set_gpr_idx_on s13, gpr_idx(SRC0)
	v_mov_b32_e32 v55, v18
	s_set_gpr_idx_off
	s_add_i32 s10, s10, 64
	v_fma_f64 v[50:51], v[55:56], v[57:58], v[50:51]
	s_set_gpr_idx_on s14, gpr_idx(SRC0)
	v_mov_b32_e32 v60, v18
	s_set_gpr_idx_off
	s_set_gpr_idx_on s15, gpr_idx(SRC0)
	v_mov_b32_e32 v59, v18
	s_set_gpr_idx_off
	ds_read2_b64 v[55:58], v61 offset0:6 offset1:7
	s_waitcnt lgkmcnt(0)
	v_fma_f64 v[50:51], v[59:60], v[55:56], v[50:51]
	s_set_gpr_idx_on s11, gpr_idx(SRC0)
	v_mov_b32_e32 v56, v19
	v_mov_b32_e32 v55, v18
	s_set_gpr_idx_off
	s_add_i32 s11, s6, -7
	v_fma_f64 v[50:51], v[55:56], v[57:58], v[50:51]
	v_add_u32_e32 v55, s6, v54
	v_cmp_eq_u32_e32 vcc, 12, v55
	s_or_b64 s[8:9], vcc, s[8:9]
	v_mov_b32_e32 v55, s11
	s_andn2_b64 exec, exec, s[8:9]
	s_cbranch_execnz .LBB71_25
; %bb.26:
	s_or_b64 exec, exec, s[8:9]
.LBB71_27:
	s_or_b64 exec, exec, s[2:3]
	v_and_b32_e32 v53, 7, v53
	v_cmp_ne_u32_e32 vcc, 0, v53
	s_and_saveexec_b64 s[6:7], vcc
	s_cbranch_execz .LBB71_31
; %bb.28:
	v_lshl_add_u32 v54, v55, 3, 64
	v_mov_b32_e32 v56, 0
	s_mov_b64 s[8:9], 0
.LBB71_29:                              ; =>This Inner Loop Header: Depth=1
	v_cmp_eq_u32_e32 vcc, 1, v55
	v_cndmask_b32_e32 v59, v19, v21, vcc
	v_cmp_eq_u32_e64 s[2:3], 2, v55
	v_cndmask_b32_e64 v59, v59, v23, s[2:3]
	v_cndmask_b32_e32 v60, v18, v20, vcc
	v_cmp_eq_u32_e32 vcc, 3, v55
	v_cndmask_b32_e32 v59, v59, v25, vcc
	v_cndmask_b32_e64 v60, v60, v22, s[2:3]
	v_cmp_eq_u32_e64 s[2:3], 4, v55
	ds_read_b64 v[57:58], v54
	v_cndmask_b32_e64 v59, v59, v27, s[2:3]
	v_cndmask_b32_e32 v60, v60, v24, vcc
	v_cmp_eq_u32_e32 vcc, 5, v55
	v_cndmask_b32_e32 v59, v59, v29, vcc
	v_cndmask_b32_e64 v60, v60, v26, s[2:3]
	v_cmp_eq_u32_e64 s[2:3], 6, v55
	v_cndmask_b32_e64 v59, v59, v31, s[2:3]
	v_cndmask_b32_e32 v61, v60, v28, vcc
	v_cmp_eq_u32_e32 vcc, 7, v55
	v_cndmask_b32_e32 v60, v59, v33, vcc
	v_cndmask_b32_e64 v59, v61, v30, s[2:3]
	v_cndmask_b32_e32 v59, v59, v32, vcc
	s_waitcnt lgkmcnt(0)
	v_fma_f64 v[50:51], v[59:60], v[57:58], v[50:51]
	v_add_u32_e32 v53, -1, v53
	v_cmp_eq_u32_e32 vcc, 0, v53
	s_or_b64 s[8:9], vcc, s[8:9]
	v_add_co_u32_e32 v55, vcc, 1, v55
	v_add_u32_e32 v54, 8, v54
	v_addc_co_u32_e32 v56, vcc, 0, v56, vcc
	s_andn2_b64 exec, exec, s[8:9]
	s_cbranch_execnz .LBB71_29
; %bb.30:
	s_or_b64 exec, exec, s[8:9]
.LBB71_31:
	s_or_b64 exec, exec, s[6:7]
.LBB71_32:
	s_or_b64 exec, exec, s[4:5]
	v_mov_b32_e32 v26, 0
	ds_read_b64 v[26:27], v26 offset:32
	s_waitcnt lgkmcnt(0)
	v_mul_f64 v[26:27], v[50:51], v[26:27]
.LBB71_33:
	s_or_b64 exec, exec, s[16:17]
	v_cmp_lt_u32_e64 s[2:3], 3, v0
	ds_write_b64 v52, v[24:25]
	s_waitcnt lgkmcnt(0)
	; wave barrier
	s_and_saveexec_b64 s[16:17], s[2:3]
	s_cbranch_execz .LBB71_49
; %bb.34:
	s_andn2_b64 vcc, exec, s[18:19]
	s_cbranch_vccnz .LBB71_36
; %bb.35:
	v_cmp_eq_u32_e32 vcc, 1, v0
	v_cndmask_b32_e32 v50, v19, v21, vcc
	v_cmp_eq_u32_e64 s[4:5], 2, v0
	v_cndmask_b32_e64 v50, v50, v23, s[4:5]
	v_cmp_eq_u32_e64 s[6:7], 3, v0
	v_cndmask_b32_e64 v50, v50, v25, s[6:7]
	v_cmp_eq_u32_e64 s[8:9], 4, v0
	v_cndmask_b32_e64 v50, v50, v27, s[8:9]
	v_cmp_eq_u32_e64 s[10:11], 5, v0
	v_cndmask_b32_e64 v50, v50, v29, s[10:11]
	v_cmp_eq_u32_e64 s[12:13], 6, v0
	v_cndmask_b32_e64 v50, v50, v31, s[12:13]
	v_cmp_eq_u32_e64 s[14:15], 7, v0
	v_cndmask_b32_e64 v51, v50, v33, s[14:15]
	v_cndmask_b32_e32 v50, v18, v20, vcc
	v_cndmask_b32_e64 v50, v50, v22, s[4:5]
	v_cndmask_b32_e64 v50, v50, v24, s[6:7]
	ds_read_b64 v[53:54], v52
	v_cndmask_b32_e64 v50, v50, v26, s[8:9]
	v_cndmask_b32_e64 v50, v50, v28, s[10:11]
	;; [unrolled: 1-line block ×4, first 2 shown]
	s_waitcnt lgkmcnt(0)
	v_mul_f64 v[50:51], v[50:51], v[53:54]
	s_cbranch_execz .LBB71_37
	s_branch .LBB71_38
.LBB71_36:
                                        ; implicit-def: $vgpr50_vgpr51
.LBB71_37:
	ds_read_b64 v[50:51], v52
.LBB71_38:
	s_and_saveexec_b64 s[4:5], s[0:1]
	s_cbranch_execz .LBB71_48
; %bb.39:
	v_add_u32_e32 v54, -5, v0
	v_add_u32_e32 v53, -4, v0
	v_cmp_lt_u32_e32 vcc, 6, v54
	v_mov_b32_e32 v55, 4
	s_and_saveexec_b64 s[0:1], vcc
	s_cbranch_execz .LBB71_43
; %bb.40:
	v_and_b32_e32 v54, -8, v53
	v_sub_u32_e32 v54, 0, v54
	s_mov_b64 s[6:7], 5
	s_movk_i32 s10, 0x60
	s_mov_b64 s[8:9], 0
.LBB71_41:                              ; =>This Inner Loop Header: Depth=1
	s_lshl_b32 s11, s6, 1
	s_add_i32 s12, s11, -1
	v_mov_b32_e32 v67, s10
	s_add_i32 s13, s11, -2
	s_set_gpr_idx_on s12, gpr_idx(SRC0)
	v_mov_b32_e32 v60, v18
	s_set_gpr_idx_off
	s_set_gpr_idx_on s13, gpr_idx(SRC0)
	v_mov_b32_e32 v59, v18
	s_set_gpr_idx_off
	ds_read_b128 v[55:58], v67
	s_add_i32 s12, s11, 3
	s_add_i32 s13, s11, 2
	s_waitcnt lgkmcnt(0)
	v_fma_f64 v[50:51], v[59:60], v[55:56], v[50:51]
	ds_read_b128 v[59:62], v67 offset:16
	ds_read_b128 v[63:66], v67 offset:32
	;; [unrolled: 1-line block ×3, first 2 shown]
	s_set_gpr_idx_on s11, gpr_idx(SRC0)
	v_mov_b32_e32 v56, v19
	v_mov_b32_e32 v55, v18
	s_set_gpr_idx_off
	v_fma_f64 v[50:51], v[55:56], v[57:58], v[50:51]
	s_set_gpr_idx_on s12, gpr_idx(SRC0)
	v_mov_b32_e32 v56, v18
	s_set_gpr_idx_off
	s_set_gpr_idx_on s13, gpr_idx(SRC0)
	v_mov_b32_e32 v55, v18
	s_set_gpr_idx_off
	s_add_i32 s12, s11, 5
	s_add_i32 s13, s11, 4
	s_waitcnt lgkmcnt(2)
	v_fma_f64 v[50:51], v[55:56], v[59:60], v[50:51]
	s_set_gpr_idx_on s12, gpr_idx(SRC0)
	v_mov_b32_e32 v56, v18
	s_set_gpr_idx_off
	s_set_gpr_idx_on s13, gpr_idx(SRC0)
	v_mov_b32_e32 v55, v18
	s_set_gpr_idx_off
	s_add_i32 s12, s11, 7
	s_add_i32 s13, s11, 6
	v_fma_f64 v[50:51], v[55:56], v[61:62], v[50:51]
	s_set_gpr_idx_on s12, gpr_idx(SRC0)
	v_mov_b32_e32 v56, v18
	s_set_gpr_idx_off
	s_set_gpr_idx_on s13, gpr_idx(SRC0)
	v_mov_b32_e32 v55, v18
	s_set_gpr_idx_off
	s_add_i32 s12, s11, 9
	s_add_i32 s13, s11, 8
	s_waitcnt lgkmcnt(1)
	v_fma_f64 v[50:51], v[55:56], v[63:64], v[50:51]
	s_set_gpr_idx_on s12, gpr_idx(SRC0)
	v_mov_b32_e32 v56, v18
	s_set_gpr_idx_off
	s_set_gpr_idx_on s13, gpr_idx(SRC0)
	v_mov_b32_e32 v55, v18
	s_set_gpr_idx_off
	s_add_i32 s12, s11, 11
	s_add_i32 s13, s11, 10
	v_fma_f64 v[50:51], v[55:56], v[65:66], v[50:51]
	s_set_gpr_idx_on s12, gpr_idx(SRC0)
	v_mov_b32_e32 v56, v18
	s_set_gpr_idx_off
	s_set_gpr_idx_on s13, gpr_idx(SRC0)
	v_mov_b32_e32 v55, v18
	s_set_gpr_idx_off
	s_add_i32 s12, s11, 13
	s_add_i32 s11, s11, 12
	s_add_u32 s6, s6, 8
	s_addc_u32 s7, s7, 0
	s_add_i32 s10, s10, 64
	s_waitcnt lgkmcnt(0)
	v_fma_f64 v[50:51], v[55:56], v[67:68], v[50:51]
	s_set_gpr_idx_on s12, gpr_idx(SRC0)
	v_mov_b32_e32 v56, v18
	s_set_gpr_idx_off
	s_set_gpr_idx_on s11, gpr_idx(SRC0)
	v_mov_b32_e32 v55, v18
	s_set_gpr_idx_off
	s_add_i32 s11, s6, -1
	v_fma_f64 v[50:51], v[55:56], v[69:70], v[50:51]
	v_add_u32_e32 v55, s6, v54
	v_cmp_eq_u32_e32 vcc, 5, v55
	s_or_b64 s[8:9], vcc, s[8:9]
	v_mov_b32_e32 v55, s11
	s_andn2_b64 exec, exec, s[8:9]
	s_cbranch_execnz .LBB71_41
; %bb.42:
	s_or_b64 exec, exec, s[8:9]
.LBB71_43:
	s_or_b64 exec, exec, s[0:1]
	v_and_b32_e32 v53, 7, v53
	v_cmp_ne_u32_e32 vcc, 0, v53
	s_and_saveexec_b64 s[6:7], vcc
	s_cbranch_execz .LBB71_47
; %bb.44:
	v_lshl_add_u32 v54, v55, 3, 64
	v_mov_b32_e32 v56, 0
	s_mov_b64 s[8:9], 0
.LBB71_45:                              ; =>This Inner Loop Header: Depth=1
	v_cmp_eq_u32_e32 vcc, 1, v55
	v_cndmask_b32_e32 v59, v19, v21, vcc
	v_cmp_eq_u32_e64 s[0:1], 2, v55
	v_cndmask_b32_e64 v59, v59, v23, s[0:1]
	v_cndmask_b32_e32 v60, v18, v20, vcc
	v_cmp_eq_u32_e32 vcc, 3, v55
	v_cndmask_b32_e32 v59, v59, v25, vcc
	v_cndmask_b32_e64 v60, v60, v22, s[0:1]
	v_cmp_eq_u32_e64 s[0:1], 4, v55
	ds_read_b64 v[57:58], v54
	v_cndmask_b32_e64 v59, v59, v27, s[0:1]
	v_cndmask_b32_e32 v60, v60, v24, vcc
	v_cmp_eq_u32_e32 vcc, 5, v55
	v_cndmask_b32_e32 v59, v59, v29, vcc
	v_cndmask_b32_e64 v60, v60, v26, s[0:1]
	v_cmp_eq_u32_e64 s[0:1], 6, v55
	v_cndmask_b32_e64 v59, v59, v31, s[0:1]
	v_cndmask_b32_e32 v61, v60, v28, vcc
	v_cmp_eq_u32_e32 vcc, 7, v55
	v_cndmask_b32_e32 v60, v59, v33, vcc
	v_cndmask_b32_e64 v59, v61, v30, s[0:1]
	v_cndmask_b32_e32 v59, v59, v32, vcc
	s_waitcnt lgkmcnt(0)
	v_fma_f64 v[50:51], v[59:60], v[57:58], v[50:51]
	v_add_u32_e32 v53, -1, v53
	v_cmp_eq_u32_e32 vcc, 0, v53
	s_or_b64 s[8:9], vcc, s[8:9]
	v_add_co_u32_e32 v55, vcc, 1, v55
	v_add_u32_e32 v54, 8, v54
	v_addc_co_u32_e32 v56, vcc, 0, v56, vcc
	s_andn2_b64 exec, exec, s[8:9]
	s_cbranch_execnz .LBB71_45
; %bb.46:
	s_or_b64 exec, exec, s[8:9]
.LBB71_47:
	s_or_b64 exec, exec, s[6:7]
.LBB71_48:
	s_or_b64 exec, exec, s[4:5]
	v_mov_b32_e32 v24, 0
	ds_read_b64 v[24:25], v24 offset:24
	s_waitcnt lgkmcnt(0)
	v_mul_f64 v[24:25], v[50:51], v[24:25]
.LBB71_49:
	s_or_b64 exec, exec, s[16:17]
	v_cmp_lt_u32_e64 s[0:1], 2, v0
	ds_write_b64 v52, v[22:23]
	s_waitcnt lgkmcnt(0)
	; wave barrier
	s_and_saveexec_b64 s[16:17], s[0:1]
	s_cbranch_execz .LBB71_65
; %bb.50:
	s_andn2_b64 vcc, exec, s[18:19]
	s_cbranch_vccnz .LBB71_52
; %bb.51:
	v_cmp_eq_u32_e32 vcc, 1, v0
	v_cndmask_b32_e32 v50, v19, v21, vcc
	v_cmp_eq_u32_e64 s[4:5], 2, v0
	v_cndmask_b32_e64 v50, v50, v23, s[4:5]
	v_cmp_eq_u32_e64 s[6:7], 3, v0
	v_cndmask_b32_e64 v50, v50, v25, s[6:7]
	;; [unrolled: 2-line block ×6, first 2 shown]
	v_cndmask_b32_e32 v50, v18, v20, vcc
	v_cndmask_b32_e64 v50, v50, v22, s[4:5]
	v_cndmask_b32_e64 v50, v50, v24, s[6:7]
	ds_read_b64 v[53:54], v52
	v_cndmask_b32_e64 v50, v50, v26, s[8:9]
	v_cndmask_b32_e64 v50, v50, v28, s[10:11]
	;; [unrolled: 1-line block ×4, first 2 shown]
	s_waitcnt lgkmcnt(0)
	v_mul_f64 v[50:51], v[50:51], v[53:54]
	s_cbranch_execz .LBB71_53
	s_branch .LBB71_54
.LBB71_52:
                                        ; implicit-def: $vgpr50_vgpr51
.LBB71_53:
	ds_read_b64 v[50:51], v52
.LBB71_54:
	s_and_saveexec_b64 s[4:5], s[2:3]
	s_cbranch_execz .LBB71_64
; %bb.55:
	v_add_u32_e32 v54, -4, v0
	v_add_u32_e32 v53, -3, v0
	v_cmp_lt_u32_e32 vcc, 6, v54
	v_mov_b32_e32 v55, 3
	s_and_saveexec_b64 s[2:3], vcc
	s_cbranch_execz .LBB71_59
; %bb.56:
	v_and_b32_e32 v54, -8, v53
	v_sub_u32_e32 v54, 0, v54
	s_mov_b64 s[6:7], 10
	s_movk_i32 s10, 0x58
	s_mov_b64 s[8:9], 0
.LBB71_57:                              ; =>This Inner Loop Header: Depth=1
	s_lshl_b32 s11, s6, 1
	s_add_i32 s12, s11, -13
	v_mov_b32_e32 v61, s10
	s_add_i32 s13, s11, -14
	s_set_gpr_idx_on s12, gpr_idx(SRC0)
	v_mov_b32_e32 v60, v18
	s_set_gpr_idx_off
	s_set_gpr_idx_on s13, gpr_idx(SRC0)
	v_mov_b32_e32 v59, v18
	s_set_gpr_idx_off
	ds_read2_b64 v[55:58], v61 offset1:1
	s_add_i32 s12, s11, -11
	s_add_i32 s13, s11, -12
	;; [unrolled: 1-line block ×4, first 2 shown]
	s_waitcnt lgkmcnt(0)
	v_fma_f64 v[50:51], v[59:60], v[55:56], v[50:51]
	s_set_gpr_idx_on s12, gpr_idx(SRC0)
	v_mov_b32_e32 v56, v18
	s_set_gpr_idx_off
	s_set_gpr_idx_on s13, gpr_idx(SRC0)
	v_mov_b32_e32 v55, v18
	s_set_gpr_idx_off
	s_add_i32 s12, s11, -7
	s_add_i32 s13, s11, -8
	v_fma_f64 v[50:51], v[55:56], v[57:58], v[50:51]
	s_set_gpr_idx_on s14, gpr_idx(SRC0)
	v_mov_b32_e32 v60, v18
	s_set_gpr_idx_off
	s_set_gpr_idx_on s15, gpr_idx(SRC0)
	v_mov_b32_e32 v59, v18
	s_set_gpr_idx_off
	ds_read2_b64 v[55:58], v61 offset0:2 offset1:3
	s_add_i32 s14, s11, -5
	s_add_i32 s15, s11, -6
	s_waitcnt lgkmcnt(0)
	v_fma_f64 v[50:51], v[59:60], v[55:56], v[50:51]
	s_set_gpr_idx_on s12, gpr_idx(SRC0)
	v_mov_b32_e32 v56, v18
	s_set_gpr_idx_off
	s_set_gpr_idx_on s13, gpr_idx(SRC0)
	v_mov_b32_e32 v55, v18
	s_set_gpr_idx_off
	s_add_i32 s12, s11, -3
	s_add_i32 s13, s11, -4
	v_fma_f64 v[50:51], v[55:56], v[57:58], v[50:51]
	s_set_gpr_idx_on s14, gpr_idx(SRC0)
	v_mov_b32_e32 v60, v18
	s_set_gpr_idx_off
	s_set_gpr_idx_on s15, gpr_idx(SRC0)
	v_mov_b32_e32 v59, v18
	s_set_gpr_idx_off
	ds_read2_b64 v[55:58], v61 offset0:4 offset1:5
	s_add_i32 s14, s11, -1
	s_add_i32 s15, s11, -2
	s_add_u32 s6, s6, 8
	s_addc_u32 s7, s7, 0
	s_waitcnt lgkmcnt(0)
	v_fma_f64 v[50:51], v[59:60], v[55:56], v[50:51]
	s_set_gpr_idx_on s12, gpr_idx(SRC0)
	v_mov_b32_e32 v56, v18
	s_set_gpr_idx_off
	s_set_gpr_idx_on s13, gpr_idx(SRC0)
	v_mov_b32_e32 v55, v18
	s_set_gpr_idx_off
	s_add_i32 s10, s10, 64
	v_fma_f64 v[50:51], v[55:56], v[57:58], v[50:51]
	s_set_gpr_idx_on s14, gpr_idx(SRC0)
	v_mov_b32_e32 v60, v18
	s_set_gpr_idx_off
	s_set_gpr_idx_on s15, gpr_idx(SRC0)
	v_mov_b32_e32 v59, v18
	s_set_gpr_idx_off
	ds_read2_b64 v[55:58], v61 offset0:6 offset1:7
	s_waitcnt lgkmcnt(0)
	v_fma_f64 v[50:51], v[59:60], v[55:56], v[50:51]
	s_set_gpr_idx_on s11, gpr_idx(SRC0)
	v_mov_b32_e32 v56, v19
	v_mov_b32_e32 v55, v18
	s_set_gpr_idx_off
	s_add_i32 s11, s6, -7
	v_fma_f64 v[50:51], v[55:56], v[57:58], v[50:51]
	v_add_u32_e32 v55, s6, v54
	v_cmp_eq_u32_e32 vcc, 10, v55
	s_or_b64 s[8:9], vcc, s[8:9]
	v_mov_b32_e32 v55, s11
	s_andn2_b64 exec, exec, s[8:9]
	s_cbranch_execnz .LBB71_57
; %bb.58:
	s_or_b64 exec, exec, s[8:9]
.LBB71_59:
	s_or_b64 exec, exec, s[2:3]
	v_and_b32_e32 v53, 7, v53
	v_cmp_ne_u32_e32 vcc, 0, v53
	s_and_saveexec_b64 s[6:7], vcc
	s_cbranch_execz .LBB71_63
; %bb.60:
	v_lshl_add_u32 v54, v55, 3, 64
	v_mov_b32_e32 v56, 0
	s_mov_b64 s[8:9], 0
.LBB71_61:                              ; =>This Inner Loop Header: Depth=1
	v_cmp_eq_u32_e32 vcc, 1, v55
	v_cndmask_b32_e32 v59, v19, v21, vcc
	v_cmp_eq_u32_e64 s[2:3], 2, v55
	v_cndmask_b32_e64 v59, v59, v23, s[2:3]
	v_cndmask_b32_e32 v60, v18, v20, vcc
	v_cmp_eq_u32_e32 vcc, 3, v55
	v_cndmask_b32_e32 v59, v59, v25, vcc
	v_cndmask_b32_e64 v60, v60, v22, s[2:3]
	v_cmp_eq_u32_e64 s[2:3], 4, v55
	ds_read_b64 v[57:58], v54
	v_cndmask_b32_e64 v59, v59, v27, s[2:3]
	v_cndmask_b32_e32 v60, v60, v24, vcc
	v_cmp_eq_u32_e32 vcc, 5, v55
	v_cndmask_b32_e32 v59, v59, v29, vcc
	v_cndmask_b32_e64 v60, v60, v26, s[2:3]
	v_cmp_eq_u32_e64 s[2:3], 6, v55
	v_cndmask_b32_e64 v59, v59, v31, s[2:3]
	v_cndmask_b32_e32 v61, v60, v28, vcc
	v_cmp_eq_u32_e32 vcc, 7, v55
	v_cndmask_b32_e32 v60, v59, v33, vcc
	v_cndmask_b32_e64 v59, v61, v30, s[2:3]
	v_cndmask_b32_e32 v59, v59, v32, vcc
	s_waitcnt lgkmcnt(0)
	v_fma_f64 v[50:51], v[59:60], v[57:58], v[50:51]
	v_add_u32_e32 v53, -1, v53
	v_cmp_eq_u32_e32 vcc, 0, v53
	s_or_b64 s[8:9], vcc, s[8:9]
	v_add_co_u32_e32 v55, vcc, 1, v55
	v_add_u32_e32 v54, 8, v54
	v_addc_co_u32_e32 v56, vcc, 0, v56, vcc
	s_andn2_b64 exec, exec, s[8:9]
	s_cbranch_execnz .LBB71_61
; %bb.62:
	s_or_b64 exec, exec, s[8:9]
.LBB71_63:
	s_or_b64 exec, exec, s[6:7]
.LBB71_64:
	s_or_b64 exec, exec, s[4:5]
	v_mov_b32_e32 v22, 0
	ds_read_b64 v[22:23], v22 offset:16
	s_waitcnt lgkmcnt(0)
	v_mul_f64 v[22:23], v[50:51], v[22:23]
.LBB71_65:
	s_or_b64 exec, exec, s[16:17]
	v_cmp_lt_u32_e64 s[2:3], 1, v0
	ds_write_b64 v52, v[20:21]
	s_waitcnt lgkmcnt(0)
	; wave barrier
	s_and_saveexec_b64 s[16:17], s[2:3]
	s_cbranch_execz .LBB71_81
; %bb.66:
	s_andn2_b64 vcc, exec, s[18:19]
	s_cbranch_vccnz .LBB71_68
; %bb.67:
	v_cmp_eq_u32_e32 vcc, 1, v0
	v_cndmask_b32_e32 v50, v19, v21, vcc
	v_cmp_eq_u32_e64 s[4:5], 2, v0
	v_cndmask_b32_e64 v50, v50, v23, s[4:5]
	v_cmp_eq_u32_e64 s[6:7], 3, v0
	v_cndmask_b32_e64 v50, v50, v25, s[6:7]
	;; [unrolled: 2-line block ×6, first 2 shown]
	v_cndmask_b32_e32 v50, v18, v20, vcc
	v_cndmask_b32_e64 v50, v50, v22, s[4:5]
	v_cndmask_b32_e64 v50, v50, v24, s[6:7]
	ds_read_b64 v[53:54], v52
	v_cndmask_b32_e64 v50, v50, v26, s[8:9]
	v_cndmask_b32_e64 v50, v50, v28, s[10:11]
	;; [unrolled: 1-line block ×4, first 2 shown]
	s_waitcnt lgkmcnt(0)
	v_mul_f64 v[50:51], v[50:51], v[53:54]
	s_cbranch_execz .LBB71_69
	s_branch .LBB71_70
.LBB71_68:
                                        ; implicit-def: $vgpr50_vgpr51
.LBB71_69:
	ds_read_b64 v[50:51], v52
.LBB71_70:
	s_and_saveexec_b64 s[4:5], s[0:1]
	s_cbranch_execz .LBB71_80
; %bb.71:
	v_add_u32_e32 v54, -3, v0
	v_add_u32_e32 v53, -2, v0
	v_cmp_lt_u32_e32 vcc, 6, v54
	v_mov_b32_e32 v55, 2
	s_and_saveexec_b64 s[0:1], vcc
	s_cbranch_execz .LBB71_75
; %bb.72:
	v_and_b32_e32 v54, -8, v53
	v_sub_u32_e32 v54, 0, v54
	s_mov_b64 s[6:7], 9
	s_movk_i32 s10, 0x50
	s_mov_b64 s[8:9], 0
.LBB71_73:                              ; =>This Inner Loop Header: Depth=1
	s_lshl_b32 s11, s6, 1
	s_add_i32 s12, s11, -13
	v_mov_b32_e32 v67, s10
	s_add_i32 s13, s11, -14
	s_set_gpr_idx_on s12, gpr_idx(SRC0)
	v_mov_b32_e32 v64, v18
	s_set_gpr_idx_off
	s_set_gpr_idx_on s13, gpr_idx(SRC0)
	v_mov_b32_e32 v63, v18
	s_set_gpr_idx_off
	ds_read_b128 v[55:58], v67
	ds_read_b128 v[59:62], v67 offset:16
	s_add_i32 s12, s11, -11
	s_add_i32 s13, s11, -12
	s_waitcnt lgkmcnt(1)
	v_fma_f64 v[50:51], v[63:64], v[55:56], v[50:51]
	ds_read_b128 v[63:66], v67 offset:32
	ds_read_b128 v[67:70], v67 offset:48
	s_set_gpr_idx_on s12, gpr_idx(SRC0)
	v_mov_b32_e32 v56, v18
	s_set_gpr_idx_off
	s_set_gpr_idx_on s13, gpr_idx(SRC0)
	v_mov_b32_e32 v55, v18
	s_set_gpr_idx_off
	s_add_i32 s12, s11, -9
	s_add_i32 s13, s11, -10
	v_fma_f64 v[50:51], v[55:56], v[57:58], v[50:51]
	s_set_gpr_idx_on s12, gpr_idx(SRC0)
	v_mov_b32_e32 v56, v18
	s_set_gpr_idx_off
	s_set_gpr_idx_on s13, gpr_idx(SRC0)
	v_mov_b32_e32 v55, v18
	s_set_gpr_idx_off
	s_add_i32 s12, s11, -7
	s_add_i32 s13, s11, -8
	s_waitcnt lgkmcnt(2)
	v_fma_f64 v[50:51], v[55:56], v[59:60], v[50:51]
	s_set_gpr_idx_on s12, gpr_idx(SRC0)
	v_mov_b32_e32 v56, v18
	s_set_gpr_idx_off
	s_set_gpr_idx_on s13, gpr_idx(SRC0)
	v_mov_b32_e32 v55, v18
	s_set_gpr_idx_off
	s_add_i32 s12, s11, -5
	s_add_i32 s13, s11, -6
	v_fma_f64 v[50:51], v[55:56], v[61:62], v[50:51]
	s_set_gpr_idx_on s12, gpr_idx(SRC0)
	v_mov_b32_e32 v56, v18
	s_set_gpr_idx_off
	s_set_gpr_idx_on s13, gpr_idx(SRC0)
	v_mov_b32_e32 v55, v18
	s_set_gpr_idx_off
	s_add_i32 s12, s11, -3
	s_add_i32 s13, s11, -4
	s_waitcnt lgkmcnt(1)
	v_fma_f64 v[50:51], v[55:56], v[63:64], v[50:51]
	s_set_gpr_idx_on s12, gpr_idx(SRC0)
	v_mov_b32_e32 v56, v18
	s_set_gpr_idx_off
	s_set_gpr_idx_on s13, gpr_idx(SRC0)
	v_mov_b32_e32 v55, v18
	s_set_gpr_idx_off
	s_add_i32 s12, s11, -1
	s_add_i32 s13, s11, -2
	s_add_u32 s6, s6, 8
	s_addc_u32 s7, s7, 0
	s_add_i32 s10, s10, 64
	v_fma_f64 v[50:51], v[55:56], v[65:66], v[50:51]
	s_set_gpr_idx_on s12, gpr_idx(SRC0)
	v_mov_b32_e32 v56, v18
	s_set_gpr_idx_off
	s_set_gpr_idx_on s13, gpr_idx(SRC0)
	v_mov_b32_e32 v55, v18
	s_set_gpr_idx_off
	s_waitcnt lgkmcnt(0)
	v_fma_f64 v[50:51], v[55:56], v[67:68], v[50:51]
	s_set_gpr_idx_on s11, gpr_idx(SRC0)
	v_mov_b32_e32 v56, v19
	v_mov_b32_e32 v55, v18
	s_set_gpr_idx_off
	s_add_i32 s11, s6, -7
	v_fma_f64 v[50:51], v[55:56], v[69:70], v[50:51]
	v_add_u32_e32 v55, s6, v54
	v_cmp_eq_u32_e32 vcc, 9, v55
	s_or_b64 s[8:9], vcc, s[8:9]
	v_mov_b32_e32 v55, s11
	s_andn2_b64 exec, exec, s[8:9]
	s_cbranch_execnz .LBB71_73
; %bb.74:
	s_or_b64 exec, exec, s[8:9]
.LBB71_75:
	s_or_b64 exec, exec, s[0:1]
	v_and_b32_e32 v53, 7, v53
	v_cmp_ne_u32_e32 vcc, 0, v53
	s_and_saveexec_b64 s[6:7], vcc
	s_cbranch_execz .LBB71_79
; %bb.76:
	v_lshl_add_u32 v54, v55, 3, 64
	v_mov_b32_e32 v56, 0
	s_mov_b64 s[8:9], 0
.LBB71_77:                              ; =>This Inner Loop Header: Depth=1
	v_cmp_eq_u32_e32 vcc, 1, v55
	v_cndmask_b32_e32 v59, v19, v21, vcc
	v_cmp_eq_u32_e64 s[0:1], 2, v55
	v_cndmask_b32_e64 v59, v59, v23, s[0:1]
	v_cndmask_b32_e32 v60, v18, v20, vcc
	v_cmp_eq_u32_e32 vcc, 3, v55
	v_cndmask_b32_e32 v59, v59, v25, vcc
	v_cndmask_b32_e64 v60, v60, v22, s[0:1]
	v_cmp_eq_u32_e64 s[0:1], 4, v55
	ds_read_b64 v[57:58], v54
	v_cndmask_b32_e64 v59, v59, v27, s[0:1]
	v_cndmask_b32_e32 v60, v60, v24, vcc
	v_cmp_eq_u32_e32 vcc, 5, v55
	v_cndmask_b32_e32 v59, v59, v29, vcc
	v_cndmask_b32_e64 v60, v60, v26, s[0:1]
	v_cmp_eq_u32_e64 s[0:1], 6, v55
	v_cndmask_b32_e64 v59, v59, v31, s[0:1]
	v_cndmask_b32_e32 v61, v60, v28, vcc
	v_cmp_eq_u32_e32 vcc, 7, v55
	v_cndmask_b32_e32 v60, v59, v33, vcc
	v_cndmask_b32_e64 v59, v61, v30, s[0:1]
	v_cndmask_b32_e32 v59, v59, v32, vcc
	s_waitcnt lgkmcnt(0)
	v_fma_f64 v[50:51], v[59:60], v[57:58], v[50:51]
	v_add_u32_e32 v53, -1, v53
	v_cmp_eq_u32_e32 vcc, 0, v53
	s_or_b64 s[8:9], vcc, s[8:9]
	v_add_co_u32_e32 v55, vcc, 1, v55
	v_add_u32_e32 v54, 8, v54
	v_addc_co_u32_e32 v56, vcc, 0, v56, vcc
	s_andn2_b64 exec, exec, s[8:9]
	s_cbranch_execnz .LBB71_77
; %bb.78:
	s_or_b64 exec, exec, s[8:9]
.LBB71_79:
	s_or_b64 exec, exec, s[6:7]
.LBB71_80:
	s_or_b64 exec, exec, s[4:5]
	v_mov_b32_e32 v20, 0
	ds_read_b64 v[20:21], v20 offset:8
	s_waitcnt lgkmcnt(0)
	v_mul_f64 v[20:21], v[50:51], v[20:21]
.LBB71_81:
	s_or_b64 exec, exec, s[16:17]
	v_cmp_ne_u32_e32 vcc, 0, v0
	ds_write_b64 v52, v[18:19]
	s_waitcnt lgkmcnt(0)
	; wave barrier
	s_and_saveexec_b64 s[14:15], vcc
	s_cbranch_execz .LBB71_97
; %bb.82:
	s_andn2_b64 vcc, exec, s[18:19]
	s_cbranch_vccnz .LBB71_84
; %bb.83:
	v_cmp_eq_u32_e32 vcc, 1, v0
	v_cndmask_b32_e32 v50, v19, v21, vcc
	v_cmp_eq_u32_e64 s[0:1], 2, v0
	v_cndmask_b32_e64 v50, v50, v23, s[0:1]
	v_cmp_eq_u32_e64 s[4:5], 3, v0
	v_cndmask_b32_e64 v50, v50, v25, s[4:5]
	;; [unrolled: 2-line block ×6, first 2 shown]
	v_cndmask_b32_e32 v50, v18, v20, vcc
	v_cndmask_b32_e64 v50, v50, v22, s[0:1]
	v_cndmask_b32_e64 v50, v50, v24, s[4:5]
	ds_read_b64 v[53:54], v52
	v_cndmask_b32_e64 v50, v50, v26, s[6:7]
	v_cndmask_b32_e64 v50, v50, v28, s[8:9]
	v_cndmask_b32_e64 v50, v50, v30, s[10:11]
	v_cndmask_b32_e64 v50, v50, v32, s[12:13]
	s_waitcnt lgkmcnt(0)
	v_mul_f64 v[50:51], v[50:51], v[53:54]
	s_cbranch_execz .LBB71_85
	s_branch .LBB71_86
.LBB71_84:
                                        ; implicit-def: $vgpr50_vgpr51
.LBB71_85:
	ds_read_b64 v[50:51], v52
.LBB71_86:
	s_and_saveexec_b64 s[4:5], s[2:3]
	s_cbranch_execz .LBB71_96
; %bb.87:
	v_add_u32_e32 v54, -2, v0
	v_add_u32_e32 v53, -1, v0
	v_cmp_lt_u32_e32 vcc, 6, v54
	v_mov_b32_e32 v55, 1
	s_and_saveexec_b64 s[0:1], vcc
	s_cbranch_execz .LBB71_91
; %bb.88:
	v_and_b32_e32 v54, -8, v53
	v_sub_u32_e32 v54, 0, v54
	s_mov_b64 s[2:3], 8
	s_movk_i32 s8, 0x48
	s_mov_b64 s[6:7], 0
.LBB71_89:                              ; =>This Inner Loop Header: Depth=1
	s_lshl_b32 s9, s2, 1
	s_add_i32 s10, s9, -13
	v_mov_b32_e32 v61, s8
	s_add_i32 s11, s9, -14
	s_set_gpr_idx_on s10, gpr_idx(SRC0)
	v_mov_b32_e32 v60, v18
	s_set_gpr_idx_off
	s_set_gpr_idx_on s11, gpr_idx(SRC0)
	v_mov_b32_e32 v59, v18
	s_set_gpr_idx_off
	ds_read2_b64 v[55:58], v61 offset1:1
	s_add_i32 s10, s9, -11
	s_add_i32 s11, s9, -12
	;; [unrolled: 1-line block ×4, first 2 shown]
	s_waitcnt lgkmcnt(0)
	v_fma_f64 v[50:51], v[59:60], v[55:56], v[50:51]
	s_set_gpr_idx_on s10, gpr_idx(SRC0)
	v_mov_b32_e32 v56, v18
	s_set_gpr_idx_off
	s_set_gpr_idx_on s11, gpr_idx(SRC0)
	v_mov_b32_e32 v55, v18
	s_set_gpr_idx_off
	s_add_i32 s10, s9, -7
	s_add_i32 s11, s9, -8
	v_fma_f64 v[50:51], v[55:56], v[57:58], v[50:51]
	s_set_gpr_idx_on s12, gpr_idx(SRC0)
	v_mov_b32_e32 v60, v18
	s_set_gpr_idx_off
	s_set_gpr_idx_on s13, gpr_idx(SRC0)
	v_mov_b32_e32 v59, v18
	s_set_gpr_idx_off
	ds_read2_b64 v[55:58], v61 offset0:2 offset1:3
	s_add_i32 s12, s9, -5
	s_add_i32 s13, s9, -6
	s_waitcnt lgkmcnt(0)
	v_fma_f64 v[50:51], v[59:60], v[55:56], v[50:51]
	s_set_gpr_idx_on s10, gpr_idx(SRC0)
	v_mov_b32_e32 v56, v18
	s_set_gpr_idx_off
	s_set_gpr_idx_on s11, gpr_idx(SRC0)
	v_mov_b32_e32 v55, v18
	s_set_gpr_idx_off
	s_add_i32 s10, s9, -3
	s_add_i32 s11, s9, -4
	v_fma_f64 v[50:51], v[55:56], v[57:58], v[50:51]
	s_set_gpr_idx_on s12, gpr_idx(SRC0)
	v_mov_b32_e32 v60, v18
	s_set_gpr_idx_off
	s_set_gpr_idx_on s13, gpr_idx(SRC0)
	v_mov_b32_e32 v59, v18
	s_set_gpr_idx_off
	ds_read2_b64 v[55:58], v61 offset0:4 offset1:5
	s_add_i32 s12, s9, -1
	s_add_i32 s13, s9, -2
	s_add_u32 s2, s2, 8
	s_addc_u32 s3, s3, 0
	s_waitcnt lgkmcnt(0)
	v_fma_f64 v[50:51], v[59:60], v[55:56], v[50:51]
	s_set_gpr_idx_on s10, gpr_idx(SRC0)
	v_mov_b32_e32 v56, v18
	s_set_gpr_idx_off
	s_set_gpr_idx_on s11, gpr_idx(SRC0)
	v_mov_b32_e32 v55, v18
	s_set_gpr_idx_off
	s_add_i32 s8, s8, 64
	v_fma_f64 v[50:51], v[55:56], v[57:58], v[50:51]
	s_set_gpr_idx_on s12, gpr_idx(SRC0)
	v_mov_b32_e32 v60, v18
	s_set_gpr_idx_off
	s_set_gpr_idx_on s13, gpr_idx(SRC0)
	v_mov_b32_e32 v59, v18
	s_set_gpr_idx_off
	ds_read2_b64 v[55:58], v61 offset0:6 offset1:7
	s_waitcnt lgkmcnt(0)
	v_fma_f64 v[50:51], v[59:60], v[55:56], v[50:51]
	s_set_gpr_idx_on s9, gpr_idx(SRC0)
	v_mov_b32_e32 v56, v19
	v_mov_b32_e32 v55, v18
	s_set_gpr_idx_off
	s_add_i32 s9, s2, -7
	v_fma_f64 v[50:51], v[55:56], v[57:58], v[50:51]
	v_add_u32_e32 v55, s2, v54
	v_cmp_eq_u32_e32 vcc, 8, v55
	s_or_b64 s[6:7], vcc, s[6:7]
	v_mov_b32_e32 v55, s9
	s_andn2_b64 exec, exec, s[6:7]
	s_cbranch_execnz .LBB71_89
; %bb.90:
	s_or_b64 exec, exec, s[6:7]
.LBB71_91:
	s_or_b64 exec, exec, s[0:1]
	v_and_b32_e32 v53, 7, v53
	v_cmp_ne_u32_e32 vcc, 0, v53
	s_and_saveexec_b64 s[2:3], vcc
	s_cbranch_execz .LBB71_95
; %bb.92:
	v_lshl_add_u32 v54, v55, 3, 64
	v_mov_b32_e32 v56, 0
	s_mov_b64 s[6:7], 0
.LBB71_93:                              ; =>This Inner Loop Header: Depth=1
	v_cmp_eq_u32_e32 vcc, 1, v55
	v_cndmask_b32_e32 v59, v19, v21, vcc
	v_cmp_eq_u32_e64 s[0:1], 2, v55
	v_cndmask_b32_e64 v59, v59, v23, s[0:1]
	v_cndmask_b32_e32 v60, v18, v20, vcc
	v_cmp_eq_u32_e32 vcc, 3, v55
	v_cndmask_b32_e32 v59, v59, v25, vcc
	v_cndmask_b32_e64 v60, v60, v22, s[0:1]
	v_cmp_eq_u32_e64 s[0:1], 4, v55
	ds_read_b64 v[57:58], v54
	v_cndmask_b32_e64 v59, v59, v27, s[0:1]
	v_cndmask_b32_e32 v60, v60, v24, vcc
	v_cmp_eq_u32_e32 vcc, 5, v55
	v_cndmask_b32_e32 v59, v59, v29, vcc
	v_cndmask_b32_e64 v60, v60, v26, s[0:1]
	v_cmp_eq_u32_e64 s[0:1], 6, v55
	v_cndmask_b32_e64 v59, v59, v31, s[0:1]
	v_cndmask_b32_e32 v61, v60, v28, vcc
	v_cmp_eq_u32_e32 vcc, 7, v55
	v_cndmask_b32_e32 v60, v59, v33, vcc
	v_cndmask_b32_e64 v59, v61, v30, s[0:1]
	v_cndmask_b32_e32 v59, v59, v32, vcc
	s_waitcnt lgkmcnt(0)
	v_fma_f64 v[50:51], v[59:60], v[57:58], v[50:51]
	v_add_u32_e32 v53, -1, v53
	v_cmp_eq_u32_e32 vcc, 0, v53
	s_or_b64 s[6:7], vcc, s[6:7]
	v_add_co_u32_e32 v55, vcc, 1, v55
	v_add_u32_e32 v54, 8, v54
	v_addc_co_u32_e32 v56, vcc, 0, v56, vcc
	s_andn2_b64 exec, exec, s[6:7]
	s_cbranch_execnz .LBB71_93
; %bb.94:
	s_or_b64 exec, exec, s[6:7]
.LBB71_95:
	s_or_b64 exec, exec, s[2:3]
.LBB71_96:
	s_or_b64 exec, exec, s[4:5]
	v_mov_b32_e32 v18, 0
	ds_read_b64 v[18:19], v18
	s_waitcnt lgkmcnt(0)
	v_mul_f64 v[18:19], v[50:51], v[18:19]
.LBB71_97:
	s_or_b64 exec, exec, s[14:15]
	s_branch .LBB71_159
.LBB71_98:
	v_cmp_eq_u32_e64 s[2:3], 0, v0
	s_waitcnt vmcnt(0) lgkmcnt(0)
	ds_write_b64 v52, v[4:5]
	s_waitcnt lgkmcnt(0)
	; wave barrier
	s_and_saveexec_b64 s[14:15], s[2:3]
	s_cbranch_execz .LBB71_104
; %bb.99:
	s_and_b64 vcc, exec, s[18:19]
	s_cbranch_vccz .LBB71_101
; %bb.100:
	v_cmp_eq_u32_e32 vcc, 1, v0
	v_cndmask_b32_e32 v5, v3, v5, vcc
	v_cmp_eq_u32_e64 s[0:1], 2, v0
	v_cndmask_b32_e32 v4, v2, v4, vcc
	v_cndmask_b32_e64 v5, v5, v7, s[0:1]
	v_cmp_eq_u32_e64 s[4:5], 3, v0
	v_cndmask_b32_e64 v4, v4, v6, s[0:1]
	v_cndmask_b32_e64 v5, v5, v9, s[4:5]
	v_cmp_eq_u32_e64 s[6:7], 4, v0
	v_cndmask_b32_e64 v4, v4, v8, s[4:5]
	ds_read_b64 v[18:19], v52
	v_cndmask_b32_e64 v5, v5, v11, s[6:7]
	v_cmp_eq_u32_e64 s[8:9], 5, v0
	v_cndmask_b32_e64 v4, v4, v10, s[6:7]
	v_cndmask_b32_e64 v5, v5, v13, s[8:9]
	v_cmp_eq_u32_e64 s[10:11], 6, v0
	v_cndmask_b32_e64 v4, v4, v12, s[8:9]
	;; [unrolled: 3-line block ×3, first 2 shown]
	v_cndmask_b32_e64 v5, v5, v17, s[12:13]
	v_cndmask_b32_e64 v4, v4, v16, s[12:13]
	s_waitcnt lgkmcnt(0)
	v_mul_f64 v[4:5], v[4:5], v[18:19]
	s_cbranch_execz .LBB71_102
	s_branch .LBB71_103
.LBB71_101:
                                        ; implicit-def: $vgpr4_vgpr5
.LBB71_102:
	ds_read_b64 v[4:5], v52
.LBB71_103:
	v_mov_b32_e32 v18, 0
	ds_read_b64 v[18:19], v18 offset:8
	s_waitcnt lgkmcnt(0)
	v_mul_f64 v[4:5], v[4:5], v[18:19]
.LBB71_104:
	s_or_b64 exec, exec, s[14:15]
	v_cndmask_b32_e64 v18, 0, 1, s[18:19]
	v_cmp_gt_u32_e32 vcc, 2, v0
	v_cmp_ne_u32_e64 s[0:1], 1, v18
	ds_write_b64 v52, v[6:7]
	s_waitcnt lgkmcnt(0)
	; wave barrier
	s_and_saveexec_b64 s[16:17], vcc
	s_cbranch_execz .LBB71_110
; %bb.105:
	s_and_b64 vcc, exec, s[0:1]
	s_cbranch_vccnz .LBB71_107
; %bb.106:
	v_cmp_eq_u32_e32 vcc, 1, v0
	v_cndmask_b32_e32 v18, v3, v5, vcc
	v_cmp_eq_u32_e64 s[4:5], 2, v0
	v_cndmask_b32_e64 v7, v18, v7, s[4:5]
	v_cndmask_b32_e32 v18, v2, v4, vcc
	v_cmp_eq_u32_e64 s[6:7], 3, v0
	v_cndmask_b32_e64 v6, v18, v6, s[4:5]
	v_cndmask_b32_e64 v7, v7, v9, s[6:7]
	v_cmp_eq_u32_e64 s[8:9], 4, v0
	v_cndmask_b32_e64 v6, v6, v8, s[6:7]
	ds_read_b64 v[18:19], v52
	v_cndmask_b32_e64 v7, v7, v11, s[8:9]
	v_cmp_eq_u32_e64 s[10:11], 5, v0
	v_cndmask_b32_e64 v6, v6, v10, s[8:9]
	v_cndmask_b32_e64 v7, v7, v13, s[10:11]
	v_cmp_eq_u32_e64 s[12:13], 6, v0
	v_cndmask_b32_e64 v6, v6, v12, s[10:11]
	;; [unrolled: 3-line block ×3, first 2 shown]
	v_cndmask_b32_e64 v7, v7, v17, s[14:15]
	v_cndmask_b32_e64 v6, v6, v16, s[14:15]
	s_waitcnt lgkmcnt(0)
	v_mul_f64 v[6:7], v[6:7], v[18:19]
	s_cbranch_execz .LBB71_108
	s_branch .LBB71_109
.LBB71_107:
                                        ; implicit-def: $vgpr6_vgpr7
.LBB71_108:
	ds_read_b64 v[6:7], v52
.LBB71_109:
	v_mov_b32_e32 v18, 0
	ds_read2_b64 v[18:21], v18 offset0:2 offset1:9
	s_waitcnt lgkmcnt(0)
	v_fma_f64 v[20:21], v[4:5], v[20:21], v[6:7]
	v_cndmask_b32_e64 v7, v7, v21, s[2:3]
	v_cndmask_b32_e64 v6, v6, v20, s[2:3]
	v_mul_f64 v[6:7], v[6:7], v[18:19]
.LBB71_110:
	s_or_b64 exec, exec, s[16:17]
	v_cmp_gt_u32_e32 vcc, 3, v0
	ds_write_b64 v52, v[8:9]
	s_waitcnt lgkmcnt(0)
	; wave barrier
	s_and_saveexec_b64 s[16:17], vcc
	s_cbranch_execz .LBB71_118
; %bb.111:
	s_and_b64 vcc, exec, s[0:1]
	s_cbranch_vccnz .LBB71_113
; %bb.112:
	v_cmp_eq_u32_e32 vcc, 1, v0
	v_cndmask_b32_e32 v18, v3, v5, vcc
	v_cmp_eq_u32_e64 s[4:5], 2, v0
	v_cndmask_b32_e64 v18, v18, v7, s[4:5]
	v_cmp_eq_u32_e64 s[6:7], 3, v0
	v_cndmask_b32_e64 v18, v18, v9, s[6:7]
	;; [unrolled: 2-line block ×6, first 2 shown]
	v_cndmask_b32_e32 v18, v2, v4, vcc
	v_cndmask_b32_e64 v18, v18, v6, s[4:5]
	v_cndmask_b32_e64 v18, v18, v8, s[6:7]
	ds_read_b64 v[20:21], v52
	v_cndmask_b32_e64 v18, v18, v10, s[8:9]
	v_cndmask_b32_e64 v18, v18, v12, s[10:11]
	;; [unrolled: 1-line block ×4, first 2 shown]
	s_waitcnt lgkmcnt(0)
	v_mul_f64 v[18:19], v[18:19], v[20:21]
	s_cbranch_execz .LBB71_114
	s_branch .LBB71_115
.LBB71_113:
                                        ; implicit-def: $vgpr18_vgpr19
.LBB71_114:
	ds_read_b64 v[18:19], v52
.LBB71_115:
	v_cmp_ne_u32_e32 vcc, 2, v0
	s_and_saveexec_b64 s[18:19], vcc
	s_cbranch_execz .LBB71_117
; %bb.116:
	v_add_u32_e32 v20, 1, v0
	v_cmp_eq_u32_e32 vcc, 1, v20
	v_cndmask_b32_e32 v21, v3, v5, vcc
	v_cmp_eq_u32_e64 s[4:5], 2, v20
	v_cmp_eq_u32_e64 s[6:7], 3, v20
	;; [unrolled: 1-line block ×6, first 2 shown]
	v_cndmask_b32_e32 v20, v2, v4, vcc
	v_cndmask_b32_e64 v21, v21, v7, s[4:5]
	v_cndmask_b32_e64 v20, v20, v6, s[4:5]
	;; [unrolled: 1-line block ×4, first 2 shown]
	ds_read_b64 v[20:21], v52 offset:8
	v_cndmask_b32_e64 v9, v9, v11, s[8:9]
	v_cndmask_b32_e64 v8, v8, v10, s[8:9]
	;; [unrolled: 1-line block ×8, first 2 shown]
	v_mov_b32_e32 v22, 0
	ds_read_b64 v[22:23], v22 offset:80
	s_waitcnt lgkmcnt(1)
	v_fma_f64 v[8:9], v[8:9], v[20:21], v[18:19]
	s_waitcnt lgkmcnt(0)
	v_fma_f64 v[18:19], v[6:7], v[22:23], v[8:9]
	v_cndmask_b32_e64 v19, v9, v19, s[2:3]
	v_cndmask_b32_e64 v18, v8, v18, s[2:3]
.LBB71_117:
	s_or_b64 exec, exec, s[18:19]
	v_mov_b32_e32 v8, 0
	ds_read_b64 v[8:9], v8 offset:24
	s_waitcnt lgkmcnt(0)
	v_mul_f64 v[8:9], v[18:19], v[8:9]
.LBB71_118:
	s_or_b64 exec, exec, s[16:17]
	v_cmp_gt_u32_e32 vcc, 4, v0
	ds_write_b64 v52, v[10:11]
	s_waitcnt lgkmcnt(0)
	; wave barrier
	s_and_saveexec_b64 s[14:15], vcc
	s_cbranch_execz .LBB71_128
; %bb.119:
	s_and_b64 vcc, exec, s[0:1]
	s_cbranch_vccnz .LBB71_121
; %bb.120:
	v_cmp_eq_u32_e32 vcc, 1, v0
	v_cndmask_b32_e32 v18, v3, v5, vcc
	v_cmp_eq_u32_e64 s[2:3], 2, v0
	v_cndmask_b32_e64 v18, v18, v7, s[2:3]
	v_cmp_eq_u32_e64 s[4:5], 3, v0
	v_cndmask_b32_e64 v18, v18, v9, s[4:5]
	;; [unrolled: 2-line block ×6, first 2 shown]
	v_cndmask_b32_e32 v18, v2, v4, vcc
	v_cndmask_b32_e64 v18, v18, v6, s[2:3]
	v_cndmask_b32_e64 v18, v18, v8, s[4:5]
	ds_read_b64 v[20:21], v52
	v_cndmask_b32_e64 v18, v18, v10, s[6:7]
	v_cndmask_b32_e64 v18, v18, v12, s[8:9]
	v_cndmask_b32_e64 v18, v18, v14, s[10:11]
	v_cndmask_b32_e64 v18, v18, v16, s[12:13]
	s_waitcnt lgkmcnt(0)
	v_mul_f64 v[18:19], v[18:19], v[20:21]
	s_cbranch_execz .LBB71_122
	s_branch .LBB71_123
.LBB71_121:
                                        ; implicit-def: $vgpr18_vgpr19
.LBB71_122:
	ds_read_b64 v[18:19], v52
.LBB71_123:
	v_cmp_ne_u32_e32 vcc, 3, v0
	s_and_saveexec_b64 s[4:5], vcc
	s_cbranch_execz .LBB71_127
; %bb.124:
	v_mov_b32_e32 v20, 0x48
	v_lshl_add_u32 v22, v0, 3, v20
	v_mov_b32_e32 v21, v1
	s_mov_b64 s[6:7], 0
	v_mov_b32_e32 v20, v0
.LBB71_125:                             ; =>This Inner Loop Header: Depth=1
	v_add_co_u32_e32 v20, vcc, 1, v20
	v_addc_co_u32_e32 v21, vcc, 0, v21, vcc
	v_cmp_eq_u32_e32 vcc, 1, v20
	v_cndmask_b32_e32 v25, v3, v5, vcc
	v_cmp_eq_u32_e64 s[2:3], 2, v20
	v_cndmask_b32_e64 v25, v25, v7, s[2:3]
	v_cndmask_b32_e32 v26, v2, v4, vcc
	v_cmp_eq_u32_e32 vcc, 3, v20
	v_cndmask_b32_e32 v25, v25, v9, vcc
	v_cndmask_b32_e64 v26, v26, v6, s[2:3]
	v_cmp_eq_u32_e64 s[2:3], 4, v20
	ds_read_b64 v[23:24], v22
	v_cndmask_b32_e64 v25, v25, v11, s[2:3]
	v_cndmask_b32_e32 v26, v26, v8, vcc
	v_cmp_eq_u32_e32 vcc, 5, v20
	v_cndmask_b32_e32 v25, v25, v13, vcc
	v_cndmask_b32_e64 v26, v26, v10, s[2:3]
	v_cmp_eq_u32_e64 s[2:3], 6, v20
	v_cndmask_b32_e64 v25, v25, v15, s[2:3]
	v_cndmask_b32_e32 v27, v26, v12, vcc
	v_cmp_eq_u32_e32 vcc, 7, v20
	v_cndmask_b32_e32 v26, v25, v17, vcc
	v_cndmask_b32_e64 v25, v27, v14, s[2:3]
	v_cndmask_b32_e32 v25, v25, v16, vcc
	s_waitcnt lgkmcnt(0)
	v_fma_f64 v[18:19], v[25:26], v[23:24], v[18:19]
	v_cmp_lt_u32_e32 vcc, 2, v20
	s_or_b64 s[6:7], vcc, s[6:7]
	v_add_u32_e32 v22, 8, v22
	s_andn2_b64 exec, exec, s[6:7]
	s_cbranch_execnz .LBB71_125
; %bb.126:
	s_or_b64 exec, exec, s[6:7]
.LBB71_127:
	s_or_b64 exec, exec, s[4:5]
	v_mov_b32_e32 v10, 0
	ds_read_b64 v[10:11], v10 offset:32
	s_waitcnt lgkmcnt(0)
	v_mul_f64 v[10:11], v[18:19], v[10:11]
.LBB71_128:
	s_or_b64 exec, exec, s[14:15]
	v_cmp_gt_u32_e32 vcc, 5, v0
	ds_write_b64 v52, v[12:13]
	s_waitcnt lgkmcnt(0)
	; wave barrier
	s_and_saveexec_b64 s[14:15], vcc
	s_cbranch_execz .LBB71_138
; %bb.129:
	s_and_b64 vcc, exec, s[0:1]
	s_cbranch_vccnz .LBB71_131
; %bb.130:
	v_cmp_eq_u32_e32 vcc, 1, v0
	v_cndmask_b32_e32 v18, v3, v5, vcc
	v_cmp_eq_u32_e64 s[2:3], 2, v0
	v_cndmask_b32_e64 v18, v18, v7, s[2:3]
	v_cmp_eq_u32_e64 s[4:5], 3, v0
	v_cndmask_b32_e64 v18, v18, v9, s[4:5]
	;; [unrolled: 2-line block ×6, first 2 shown]
	v_cndmask_b32_e32 v18, v2, v4, vcc
	v_cndmask_b32_e64 v18, v18, v6, s[2:3]
	v_cndmask_b32_e64 v18, v18, v8, s[4:5]
	ds_read_b64 v[20:21], v52
	v_cndmask_b32_e64 v18, v18, v10, s[6:7]
	v_cndmask_b32_e64 v18, v18, v12, s[8:9]
	;; [unrolled: 1-line block ×4, first 2 shown]
	s_waitcnt lgkmcnt(0)
	v_mul_f64 v[18:19], v[18:19], v[20:21]
	s_cbranch_execz .LBB71_132
	s_branch .LBB71_133
.LBB71_131:
                                        ; implicit-def: $vgpr18_vgpr19
.LBB71_132:
	ds_read_b64 v[18:19], v52
.LBB71_133:
	v_cmp_ne_u32_e32 vcc, 4, v0
	s_and_saveexec_b64 s[4:5], vcc
	s_cbranch_execz .LBB71_137
; %bb.134:
	v_mov_b32_e32 v20, 0x48
	v_lshl_add_u32 v22, v0, 3, v20
	v_mov_b32_e32 v21, v1
	s_mov_b64 s[6:7], 0
	v_mov_b32_e32 v20, v0
.LBB71_135:                             ; =>This Inner Loop Header: Depth=1
	v_add_co_u32_e32 v20, vcc, 1, v20
	v_addc_co_u32_e32 v21, vcc, 0, v21, vcc
	v_cmp_eq_u32_e32 vcc, 1, v20
	v_cndmask_b32_e32 v25, v3, v5, vcc
	v_cmp_eq_u32_e64 s[2:3], 2, v20
	v_cndmask_b32_e64 v25, v25, v7, s[2:3]
	v_cndmask_b32_e32 v26, v2, v4, vcc
	v_cmp_eq_u32_e32 vcc, 3, v20
	v_cndmask_b32_e32 v25, v25, v9, vcc
	v_cndmask_b32_e64 v26, v26, v6, s[2:3]
	v_cmp_eq_u32_e64 s[2:3], 4, v20
	ds_read_b64 v[23:24], v22
	v_cndmask_b32_e64 v25, v25, v11, s[2:3]
	v_cndmask_b32_e32 v26, v26, v8, vcc
	v_cmp_eq_u32_e32 vcc, 5, v20
	v_cndmask_b32_e32 v25, v25, v13, vcc
	v_cndmask_b32_e64 v26, v26, v10, s[2:3]
	v_cmp_eq_u32_e64 s[2:3], 6, v20
	v_cndmask_b32_e64 v25, v25, v15, s[2:3]
	v_cndmask_b32_e32 v27, v26, v12, vcc
	v_cmp_eq_u32_e32 vcc, 7, v20
	v_cndmask_b32_e32 v26, v25, v17, vcc
	v_cndmask_b32_e64 v25, v27, v14, s[2:3]
	v_cndmask_b32_e32 v25, v25, v16, vcc
	s_waitcnt lgkmcnt(0)
	v_fma_f64 v[18:19], v[25:26], v[23:24], v[18:19]
	v_cmp_lt_u32_e32 vcc, 3, v20
	s_or_b64 s[6:7], vcc, s[6:7]
	v_add_u32_e32 v22, 8, v22
	s_andn2_b64 exec, exec, s[6:7]
	s_cbranch_execnz .LBB71_135
; %bb.136:
	s_or_b64 exec, exec, s[6:7]
.LBB71_137:
	s_or_b64 exec, exec, s[4:5]
	v_mov_b32_e32 v12, 0
	ds_read_b64 v[12:13], v12 offset:40
	s_waitcnt lgkmcnt(0)
	v_mul_f64 v[12:13], v[18:19], v[12:13]
.LBB71_138:
	s_or_b64 exec, exec, s[14:15]
	v_cmp_gt_u32_e64 s[2:3], 6, v0
	ds_write_b64 v52, v[14:15]
	s_waitcnt lgkmcnt(0)
	; wave barrier
	s_and_saveexec_b64 s[16:17], s[2:3]
	s_cbranch_execz .LBB71_148
; %bb.139:
	s_and_b64 vcc, exec, s[0:1]
	s_cbranch_vccnz .LBB71_141
; %bb.140:
	v_cmp_eq_u32_e32 vcc, 1, v0
	v_cndmask_b32_e32 v18, v3, v5, vcc
	v_cmp_eq_u32_e64 s[4:5], 2, v0
	v_cndmask_b32_e64 v18, v18, v7, s[4:5]
	v_cmp_eq_u32_e64 s[6:7], 3, v0
	v_cndmask_b32_e64 v18, v18, v9, s[6:7]
	;; [unrolled: 2-line block ×6, first 2 shown]
	v_cndmask_b32_e32 v18, v2, v4, vcc
	v_cndmask_b32_e64 v18, v18, v6, s[4:5]
	v_cndmask_b32_e64 v18, v18, v8, s[6:7]
	ds_read_b64 v[20:21], v52
	v_cndmask_b32_e64 v18, v18, v10, s[8:9]
	v_cndmask_b32_e64 v18, v18, v12, s[10:11]
	;; [unrolled: 1-line block ×4, first 2 shown]
	s_waitcnt lgkmcnt(0)
	v_mul_f64 v[18:19], v[18:19], v[20:21]
	s_cbranch_execz .LBB71_142
	s_branch .LBB71_143
.LBB71_141:
                                        ; implicit-def: $vgpr18_vgpr19
.LBB71_142:
	ds_read_b64 v[18:19], v52
.LBB71_143:
	v_cmp_ne_u32_e32 vcc, 5, v0
	s_and_saveexec_b64 s[6:7], vcc
	s_cbranch_execz .LBB71_147
; %bb.144:
	v_mov_b32_e32 v20, 0x48
	v_lshl_add_u32 v22, v0, 3, v20
	v_mov_b32_e32 v21, v1
	s_mov_b64 s[8:9], 0
	v_mov_b32_e32 v20, v0
.LBB71_145:                             ; =>This Inner Loop Header: Depth=1
	v_add_co_u32_e32 v20, vcc, 1, v20
	v_addc_co_u32_e32 v21, vcc, 0, v21, vcc
	v_cmp_eq_u32_e32 vcc, 1, v20
	v_cndmask_b32_e32 v25, v3, v5, vcc
	v_cmp_eq_u32_e64 s[4:5], 2, v20
	v_cndmask_b32_e64 v25, v25, v7, s[4:5]
	v_cndmask_b32_e32 v26, v2, v4, vcc
	v_cmp_eq_u32_e32 vcc, 3, v20
	v_cndmask_b32_e32 v25, v25, v9, vcc
	v_cndmask_b32_e64 v26, v26, v6, s[4:5]
	v_cmp_eq_u32_e64 s[4:5], 4, v20
	ds_read_b64 v[23:24], v22
	v_cndmask_b32_e64 v25, v25, v11, s[4:5]
	v_cndmask_b32_e32 v26, v26, v8, vcc
	v_cmp_eq_u32_e32 vcc, 5, v20
	v_cndmask_b32_e32 v25, v25, v13, vcc
	v_cndmask_b32_e64 v26, v26, v10, s[4:5]
	v_cmp_eq_u32_e64 s[4:5], 6, v20
	v_cndmask_b32_e64 v25, v25, v15, s[4:5]
	v_cndmask_b32_e32 v27, v26, v12, vcc
	v_cmp_eq_u32_e32 vcc, 7, v20
	v_cndmask_b32_e32 v26, v25, v17, vcc
	v_cndmask_b32_e64 v25, v27, v14, s[4:5]
	v_cndmask_b32_e32 v25, v25, v16, vcc
	s_waitcnt lgkmcnt(0)
	v_fma_f64 v[18:19], v[25:26], v[23:24], v[18:19]
	v_cmp_lt_u32_e32 vcc, 4, v20
	s_or_b64 s[8:9], vcc, s[8:9]
	v_add_u32_e32 v22, 8, v22
	s_andn2_b64 exec, exec, s[8:9]
	s_cbranch_execnz .LBB71_145
; %bb.146:
	s_or_b64 exec, exec, s[8:9]
.LBB71_147:
	s_or_b64 exec, exec, s[6:7]
	v_mov_b32_e32 v14, 0
	ds_read_b64 v[14:15], v14 offset:48
	s_waitcnt lgkmcnt(0)
	v_mul_f64 v[14:15], v[18:19], v[14:15]
.LBB71_148:
	s_or_b64 exec, exec, s[16:17]
	v_cmp_ne_u32_e32 vcc, 7, v0
	ds_write_b64 v52, v[16:17]
	s_waitcnt lgkmcnt(0)
	; wave barrier
	s_and_saveexec_b64 s[14:15], vcc
	s_cbranch_execz .LBB71_158
; %bb.149:
	s_and_b64 vcc, exec, s[0:1]
	s_cbranch_vccnz .LBB71_151
; %bb.150:
	v_cmp_eq_u32_e32 vcc, 1, v0
	v_cndmask_b32_e32 v18, v3, v5, vcc
	v_cmp_eq_u32_e64 s[0:1], 2, v0
	v_cndmask_b32_e64 v18, v18, v7, s[0:1]
	v_cmp_eq_u32_e64 s[4:5], 3, v0
	v_cndmask_b32_e64 v18, v18, v9, s[4:5]
	;; [unrolled: 2-line block ×6, first 2 shown]
	v_cndmask_b32_e32 v18, v2, v4, vcc
	v_cndmask_b32_e64 v18, v18, v6, s[0:1]
	v_cndmask_b32_e64 v18, v18, v8, s[4:5]
	ds_read_b64 v[20:21], v52
	v_cndmask_b32_e64 v18, v18, v10, s[6:7]
	v_cndmask_b32_e64 v18, v18, v12, s[8:9]
	;; [unrolled: 1-line block ×4, first 2 shown]
	s_waitcnt lgkmcnt(0)
	v_mul_f64 v[18:19], v[18:19], v[20:21]
	s_cbranch_execz .LBB71_152
	s_branch .LBB71_153
.LBB71_151:
                                        ; implicit-def: $vgpr18_vgpr19
.LBB71_152:
	ds_read_b64 v[18:19], v52
.LBB71_153:
	s_and_saveexec_b64 s[4:5], s[2:3]
	s_cbranch_execz .LBB71_157
; %bb.154:
	v_mov_b32_e32 v20, 0x48
	v_lshl_add_u32 v20, v0, 3, v20
	s_mov_b64 s[2:3], 0
.LBB71_155:                             ; =>This Inner Loop Header: Depth=1
	v_add_co_u32_e32 v0, vcc, 1, v0
	v_addc_co_u32_e32 v1, vcc, 0, v1, vcc
	v_cmp_eq_u32_e32 vcc, 1, v0
	v_cndmask_b32_e32 v23, v3, v5, vcc
	v_cmp_eq_u32_e64 s[0:1], 2, v0
	v_cndmask_b32_e64 v23, v23, v7, s[0:1]
	v_cndmask_b32_e32 v24, v2, v4, vcc
	v_cmp_eq_u32_e32 vcc, 3, v0
	v_cndmask_b32_e32 v23, v23, v9, vcc
	v_cndmask_b32_e64 v24, v24, v6, s[0:1]
	v_cmp_eq_u32_e64 s[0:1], 4, v0
	ds_read_b64 v[21:22], v20
	v_cndmask_b32_e64 v23, v23, v11, s[0:1]
	v_cndmask_b32_e32 v24, v24, v8, vcc
	v_cmp_eq_u32_e32 vcc, 5, v0
	v_cndmask_b32_e32 v23, v23, v13, vcc
	v_cndmask_b32_e64 v24, v24, v10, s[0:1]
	v_cmp_eq_u32_e64 s[0:1], 6, v0
	v_cndmask_b32_e64 v23, v23, v15, s[0:1]
	v_cndmask_b32_e32 v25, v24, v12, vcc
	v_cmp_eq_u32_e32 vcc, 7, v0
	v_cndmask_b32_e32 v24, v23, v17, vcc
	v_cndmask_b32_e64 v23, v25, v14, s[0:1]
	v_cndmask_b32_e32 v23, v23, v16, vcc
	s_waitcnt lgkmcnt(0)
	v_fma_f64 v[18:19], v[23:24], v[21:22], v[18:19]
	v_cmp_lt_u32_e32 vcc, 5, v0
	s_or_b64 s[2:3], vcc, s[2:3]
	v_add_u32_e32 v20, 8, v20
	s_andn2_b64 exec, exec, s[2:3]
	s_cbranch_execnz .LBB71_155
; %bb.156:
	s_or_b64 exec, exec, s[2:3]
.LBB71_157:
	s_or_b64 exec, exec, s[4:5]
	v_mov_b32_e32 v0, 0
	ds_read_b64 v[0:1], v0 offset:56
	s_waitcnt lgkmcnt(0)
	v_mul_f64 v[16:17], v[18:19], v[0:1]
.LBB71_158:
	s_or_b64 exec, exec, s[14:15]
	v_mov_b32_e32 v33, v17
	v_mov_b32_e32 v32, v16
	;; [unrolled: 1-line block ×16, first 2 shown]
.LBB71_159:
	flat_store_dwordx2 v[34:35], v[18:19]
	flat_store_dwordx2 v[48:49], v[20:21]
	;; [unrolled: 1-line block ×8, first 2 shown]
.LBB71_160:
	s_endpgm
	.section	.rodata,"a",@progbits
	.p2align	6, 0x0
	.amdhsa_kernel _ZN9rocsolver6v33100L18trti2_kernel_smallILi8EdPKPdEEv13rocblas_fill_17rocblas_diagonal_T1_iil
		.amdhsa_group_segment_fixed_size 128
		.amdhsa_private_segment_fixed_size 0
		.amdhsa_kernarg_size 32
		.amdhsa_user_sgpr_count 6
		.amdhsa_user_sgpr_private_segment_buffer 1
		.amdhsa_user_sgpr_dispatch_ptr 0
		.amdhsa_user_sgpr_queue_ptr 0
		.amdhsa_user_sgpr_kernarg_segment_ptr 1
		.amdhsa_user_sgpr_dispatch_id 0
		.amdhsa_user_sgpr_flat_scratch_init 0
		.amdhsa_user_sgpr_private_segment_size 0
		.amdhsa_uses_dynamic_stack 0
		.amdhsa_system_sgpr_private_segment_wavefront_offset 0
		.amdhsa_system_sgpr_workgroup_id_x 1
		.amdhsa_system_sgpr_workgroup_id_y 0
		.amdhsa_system_sgpr_workgroup_id_z 0
		.amdhsa_system_sgpr_workgroup_info 0
		.amdhsa_system_vgpr_workitem_id 0
		.amdhsa_next_free_vgpr 71
		.amdhsa_next_free_sgpr 20
		.amdhsa_reserve_vcc 1
		.amdhsa_reserve_flat_scratch 0
		.amdhsa_float_round_mode_32 0
		.amdhsa_float_round_mode_16_64 0
		.amdhsa_float_denorm_mode_32 3
		.amdhsa_float_denorm_mode_16_64 3
		.amdhsa_dx10_clamp 1
		.amdhsa_ieee_mode 1
		.amdhsa_fp16_overflow 0
		.amdhsa_exception_fp_ieee_invalid_op 0
		.amdhsa_exception_fp_denorm_src 0
		.amdhsa_exception_fp_ieee_div_zero 0
		.amdhsa_exception_fp_ieee_overflow 0
		.amdhsa_exception_fp_ieee_underflow 0
		.amdhsa_exception_fp_ieee_inexact 0
		.amdhsa_exception_int_div_zero 0
	.end_amdhsa_kernel
	.section	.text._ZN9rocsolver6v33100L18trti2_kernel_smallILi8EdPKPdEEv13rocblas_fill_17rocblas_diagonal_T1_iil,"axG",@progbits,_ZN9rocsolver6v33100L18trti2_kernel_smallILi8EdPKPdEEv13rocblas_fill_17rocblas_diagonal_T1_iil,comdat
.Lfunc_end71:
	.size	_ZN9rocsolver6v33100L18trti2_kernel_smallILi8EdPKPdEEv13rocblas_fill_17rocblas_diagonal_T1_iil, .Lfunc_end71-_ZN9rocsolver6v33100L18trti2_kernel_smallILi8EdPKPdEEv13rocblas_fill_17rocblas_diagonal_T1_iil
                                        ; -- End function
	.set _ZN9rocsolver6v33100L18trti2_kernel_smallILi8EdPKPdEEv13rocblas_fill_17rocblas_diagonal_T1_iil.num_vgpr, 71
	.set _ZN9rocsolver6v33100L18trti2_kernel_smallILi8EdPKPdEEv13rocblas_fill_17rocblas_diagonal_T1_iil.num_agpr, 0
	.set _ZN9rocsolver6v33100L18trti2_kernel_smallILi8EdPKPdEEv13rocblas_fill_17rocblas_diagonal_T1_iil.numbered_sgpr, 20
	.set _ZN9rocsolver6v33100L18trti2_kernel_smallILi8EdPKPdEEv13rocblas_fill_17rocblas_diagonal_T1_iil.num_named_barrier, 0
	.set _ZN9rocsolver6v33100L18trti2_kernel_smallILi8EdPKPdEEv13rocblas_fill_17rocblas_diagonal_T1_iil.private_seg_size, 0
	.set _ZN9rocsolver6v33100L18trti2_kernel_smallILi8EdPKPdEEv13rocblas_fill_17rocblas_diagonal_T1_iil.uses_vcc, 1
	.set _ZN9rocsolver6v33100L18trti2_kernel_smallILi8EdPKPdEEv13rocblas_fill_17rocblas_diagonal_T1_iil.uses_flat_scratch, 0
	.set _ZN9rocsolver6v33100L18trti2_kernel_smallILi8EdPKPdEEv13rocblas_fill_17rocblas_diagonal_T1_iil.has_dyn_sized_stack, 0
	.set _ZN9rocsolver6v33100L18trti2_kernel_smallILi8EdPKPdEEv13rocblas_fill_17rocblas_diagonal_T1_iil.has_recursion, 0
	.set _ZN9rocsolver6v33100L18trti2_kernel_smallILi8EdPKPdEEv13rocblas_fill_17rocblas_diagonal_T1_iil.has_indirect_call, 0
	.section	.AMDGPU.csdata,"",@progbits
; Kernel info:
; codeLenInByte = 9160
; TotalNumSgprs: 24
; NumVgprs: 71
; ScratchSize: 0
; MemoryBound: 0
; FloatMode: 240
; IeeeMode: 1
; LDSByteSize: 128 bytes/workgroup (compile time only)
; SGPRBlocks: 2
; VGPRBlocks: 17
; NumSGPRsForWavesPerEU: 24
; NumVGPRsForWavesPerEU: 71
; Occupancy: 3
; WaveLimiterHint : 1
; COMPUTE_PGM_RSRC2:SCRATCH_EN: 0
; COMPUTE_PGM_RSRC2:USER_SGPR: 6
; COMPUTE_PGM_RSRC2:TRAP_HANDLER: 0
; COMPUTE_PGM_RSRC2:TGID_X_EN: 1
; COMPUTE_PGM_RSRC2:TGID_Y_EN: 0
; COMPUTE_PGM_RSRC2:TGID_Z_EN: 0
; COMPUTE_PGM_RSRC2:TIDIG_COMP_CNT: 0
	.section	.text._ZN9rocsolver6v33100L18trti2_kernel_smallILi9EdPKPdEEv13rocblas_fill_17rocblas_diagonal_T1_iil,"axG",@progbits,_ZN9rocsolver6v33100L18trti2_kernel_smallILi9EdPKPdEEv13rocblas_fill_17rocblas_diagonal_T1_iil,comdat
	.globl	_ZN9rocsolver6v33100L18trti2_kernel_smallILi9EdPKPdEEv13rocblas_fill_17rocblas_diagonal_T1_iil ; -- Begin function _ZN9rocsolver6v33100L18trti2_kernel_smallILi9EdPKPdEEv13rocblas_fill_17rocblas_diagonal_T1_iil
	.p2align	8
	.type	_ZN9rocsolver6v33100L18trti2_kernel_smallILi9EdPKPdEEv13rocblas_fill_17rocblas_diagonal_T1_iil,@function
_ZN9rocsolver6v33100L18trti2_kernel_smallILi9EdPKPdEEv13rocblas_fill_17rocblas_diagonal_T1_iil: ; @_ZN9rocsolver6v33100L18trti2_kernel_smallILi9EdPKPdEEv13rocblas_fill_17rocblas_diagonal_T1_iil
; %bb.0:
	v_cmp_gt_u32_e32 vcc, 9, v0
	s_and_saveexec_b64 s[0:1], vcc
	s_cbranch_execz .LBB72_186
; %bb.1:
	s_load_dwordx2 s[0:1], s[4:5], 0x10
	s_load_dwordx4 s[16:19], s[4:5], 0x0
	s_ashr_i32 s7, s6, 31
	s_lshl_b64 s[2:3], s[6:7], 3
	v_lshlrev_b32_e32 v36, 3, v0
	s_waitcnt lgkmcnt(0)
	s_ashr_i32 s5, s0, 31
	s_add_u32 s2, s18, s2
	s_addc_u32 s3, s19, s3
	s_load_dwordx2 s[2:3], s[2:3], 0x0
	s_mov_b32 s4, s0
	s_lshl_b64 s[4:5], s[4:5], 3
	v_mov_b32_e32 v34, 0
	v_mov_b32_e32 v35, 0xbff00000
	s_waitcnt lgkmcnt(0)
	s_add_u32 s0, s2, s4
	s_addc_u32 s2, s3, s5
	s_add_i32 s3, s1, s1
	v_add_u32_e32 v1, s3, v0
	v_ashrrev_i32_e32 v2, 31, v1
	v_lshlrev_b64 v[2:3], 3, v[1:2]
	v_add_u32_e32 v1, s1, v1
	v_mov_b32_e32 v4, s2
	v_add_co_u32_e32 v66, vcc, s0, v2
	v_ashrrev_i32_e32 v2, 31, v1
	v_addc_co_u32_e32 v67, vcc, v4, v3, vcc
	v_lshlrev_b64 v[2:3], 3, v[1:2]
	v_add_u32_e32 v1, s1, v1
	v_add_co_u32_e32 v68, vcc, s0, v2
	v_ashrrev_i32_e32 v2, 31, v1
	v_addc_co_u32_e32 v69, vcc, v4, v3, vcc
	v_lshlrev_b64 v[2:3], 3, v[1:2]
	v_add_u32_e32 v1, s1, v1
	;; [unrolled: 5-line block ×5, first 2 shown]
	v_add_co_u32_e32 v76, vcc, s0, v2
	v_ashrrev_i32_e32 v2, 31, v1
	v_lshlrev_b64 v[1:2], 3, v[1:2]
	v_addc_co_u32_e32 v77, vcc, v4, v3, vcc
	v_mov_b32_e32 v3, s2
	v_add_co_u32_e32 v78, vcc, s0, v1
	v_addc_co_u32_e32 v79, vcc, v3, v2, vcc
	v_mov_b32_e32 v1, s2
	v_add_co_u32_e32 v80, vcc, s0, v36
	s_ashr_i32 s3, s1, 31
	s_mov_b32 s2, s1
	v_addc_co_u32_e32 v81, vcc, 0, v1, vcc
	s_lshl_b64 s[0:1], s[2:3], 3
	v_mov_b32_e32 v1, s1
	v_add_co_u32_e32 v82, vcc, s0, v80
	v_addc_co_u32_e32 v83, vcc, v81, v1, vcc
	flat_load_dwordx2 v[2:3], v[80:81]
	flat_load_dwordx2 v[4:5], v[82:83]
	;; [unrolled: 1-line block ×9, first 2 shown]
	s_cmpk_lg_i32 s17, 0x84
	s_cselect_b64 s[18:19], -1, 0
	s_cmpk_eq_i32 s17, 0x84
	v_mov_b32_e32 v1, 0
	s_cbranch_scc1 .LBB72_3
; %bb.2:
	v_cmp_eq_u32_e64 s[0:1], 1, v0
	s_waitcnt vmcnt(0) lgkmcnt(0)
	v_cndmask_b32_e64 v20, v3, v5, s[0:1]
	v_cmp_eq_u32_e64 s[2:3], 2, v0
	v_cndmask_b32_e64 v20, v20, v7, s[2:3]
	v_cmp_eq_u32_e64 s[4:5], 3, v0
	;; [unrolled: 2-line block ×7, first 2 shown]
	v_cndmask_b32_e64 v21, v20, v19, s[14:15]
	v_cndmask_b32_e64 v20, v2, v4, s[0:1]
	;; [unrolled: 1-line block ×9, first 2 shown]
	v_div_scale_f64 v[22:23], s[20:21], v[20:21], v[20:21], 1.0
	v_rcp_f64_e32 v[24:25], v[22:23]
	v_fma_f64 v[26:27], -v[22:23], v[24:25], 1.0
	v_fma_f64 v[24:25], v[24:25], v[26:27], v[24:25]
	v_div_scale_f64 v[26:27], vcc, 1.0, v[20:21], 1.0
	v_fma_f64 v[28:29], -v[22:23], v[24:25], 1.0
	v_fma_f64 v[24:25], v[24:25], v[28:29], v[24:25]
	v_mul_f64 v[28:29], v[26:27], v[24:25]
	v_fma_f64 v[22:23], -v[22:23], v[28:29], v[26:27]
	v_div_fmas_f64 v[22:23], v[22:23], v[24:25], v[28:29]
	v_cmp_eq_u32_e32 vcc, 0, v0
	v_div_fixup_f64 v[34:35], v[22:23], v[20:21], 1.0
	v_cndmask_b32_e64 v19, v19, v35, s[14:15]
	v_cndmask_b32_e64 v18, v18, v34, s[14:15]
	;; [unrolled: 1-line block ×16, first 2 shown]
	v_cndmask_b32_e32 v3, v3, v35, vcc
	v_cndmask_b32_e32 v2, v2, v34, vcc
	v_xor_b32_e32 v35, 0x80000000, v35
.LBB72_3:
	s_cmpk_eq_i32 s16, 0x79
	v_add_u32_e32 v86, 0x50, v36
	ds_write_b64 v36, v[34:35]
	s_cbranch_scc1 .LBB72_7
; %bb.4:
	s_waitcnt vmcnt(0) lgkmcnt(0)
	v_mov_b32_e32 v65, v33
	v_mov_b32_e32 v64, v32
	;; [unrolled: 1-line block ×32, first 2 shown]
	v_cmp_eq_u32_e64 s[2:3], 8, v0
	ds_write_b64 v86, v[16:17]
	s_waitcnt lgkmcnt(0)
	; wave barrier
	s_and_saveexec_b64 s[16:17], s[2:3]
	s_cbranch_execz .LBB72_11
; %bb.5:
	s_and_b64 vcc, exec, s[18:19]
	s_cbranch_vccz .LBB72_8
; %bb.6:
	v_cmp_eq_u32_e32 vcc, 1, v0
	v_cndmask_b32_e32 v34, v3, v5, vcc
	v_cmp_eq_u32_e64 s[0:1], 2, v0
	v_cndmask_b32_e64 v34, v34, v7, s[0:1]
	v_cmp_eq_u32_e64 s[4:5], 3, v0
	v_cndmask_b32_e64 v34, v34, v9, s[4:5]
	;; [unrolled: 2-line block ×7, first 2 shown]
	v_cndmask_b32_e32 v34, v2, v4, vcc
	v_cndmask_b32_e64 v34, v34, v6, s[0:1]
	v_cndmask_b32_e64 v34, v34, v8, s[4:5]
	;; [unrolled: 1-line block ×3, first 2 shown]
	ds_read_b64 v[36:37], v86
	v_cndmask_b32_e64 v34, v34, v12, s[8:9]
	v_cndmask_b32_e64 v34, v34, v14, s[10:11]
	;; [unrolled: 1-line block ×4, first 2 shown]
	s_waitcnt lgkmcnt(0)
	v_mul_f64 v[38:39], v[34:35], v[36:37]
	s_cbranch_execz .LBB72_9
	s_branch .LBB72_10
.LBB72_7:
                                        ; implicit-def: $vgpr34_vgpr35_vgpr36_vgpr37_vgpr38_vgpr39_vgpr40_vgpr41_vgpr42_vgpr43_vgpr44_vgpr45_vgpr46_vgpr47_vgpr48_vgpr49_vgpr50_vgpr51_vgpr52_vgpr53_vgpr54_vgpr55_vgpr56_vgpr57_vgpr58_vgpr59_vgpr60_vgpr61_vgpr62_vgpr63_vgpr64_vgpr65
	s_cbranch_execnz .LBB72_114
	s_branch .LBB72_185
.LBB72_8:
                                        ; implicit-def: $vgpr38_vgpr39
.LBB72_9:
	ds_read_b64 v[38:39], v86
.LBB72_10:
	v_mov_b32_e32 v34, 0
	ds_read_b64 v[40:41], v34 offset:56
	v_mov_b32_e32 v34, v2
	v_mov_b32_e32 v35, v3
	;; [unrolled: 1-line block ×4, first 2 shown]
	s_waitcnt lgkmcnt(0)
	v_mul_f64 v[48:49], v[38:39], v[40:41]
	v_mov_b32_e32 v38, v6
	v_mov_b32_e32 v39, v7
	;; [unrolled: 1-line block ×12, first 2 shown]
.LBB72_11:
	s_or_b64 exec, exec, s[16:17]
	v_cmp_lt_u32_e64 s[0:1], 6, v0
	ds_write_b64 v86, v[46:47]
	s_waitcnt lgkmcnt(0)
	; wave barrier
	s_and_saveexec_b64 s[20:21], s[0:1]
	s_cbranch_execz .LBB72_17
; %bb.12:
	s_andn2_b64 vcc, exec, s[18:19]
	s_cbranch_vccnz .LBB72_14
; %bb.13:
	v_cmp_eq_u32_e32 vcc, 1, v0
	v_cndmask_b32_e32 v52, v35, v37, vcc
	v_cmp_eq_u32_e64 s[4:5], 2, v0
	v_cndmask_b32_e64 v52, v52, v39, s[4:5]
	v_cmp_eq_u32_e64 s[6:7], 3, v0
	v_cndmask_b32_e64 v52, v52, v41, s[6:7]
	;; [unrolled: 2-line block ×5, first 2 shown]
	v_cndmask_b32_e32 v52, v34, v36, vcc
	v_cndmask_b32_e64 v52, v52, v38, s[4:5]
	v_cndmask_b32_e64 v52, v52, v40, s[6:7]
	;; [unrolled: 1-line block ×3, first 2 shown]
	ds_read_b64 v[52:53], v86
	v_cndmask_b32_e64 v54, v54, v44, s[10:11]
	v_cmp_eq_u32_e64 s[14:15], 7, v0
	v_cndmask_b32_e64 v46, v54, v46, s[12:13]
	v_cndmask_b32_e64 v47, v47, v49, s[14:15]
	v_cmp_eq_u32_e64 s[16:17], 8, v0
	v_cndmask_b32_e64 v46, v46, v48, s[14:15]
	v_cndmask_b32_e64 v47, v47, v51, s[16:17]
	;; [unrolled: 1-line block ×3, first 2 shown]
	s_waitcnt lgkmcnt(0)
	v_mul_f64 v[46:47], v[46:47], v[52:53]
	s_cbranch_execz .LBB72_15
	s_branch .LBB72_16
.LBB72_14:
                                        ; implicit-def: $vgpr46_vgpr47
.LBB72_15:
	ds_read_b64 v[46:47], v86
.LBB72_16:
	v_mov_b32_e32 v52, 0
	ds_read2_b64 v[52:55], v52 offset0:6 offset1:17
	s_waitcnt lgkmcnt(0)
	v_fma_f64 v[54:55], v[48:49], v[54:55], v[46:47]
	v_cndmask_b32_e64 v47, v47, v55, s[2:3]
	v_cndmask_b32_e64 v46, v46, v54, s[2:3]
	v_mul_f64 v[46:47], v[46:47], v[52:53]
.LBB72_17:
	s_or_b64 exec, exec, s[20:21]
	v_cmp_lt_u32_e64 s[2:3], 5, v0
	ds_write_b64 v86, v[44:45]
	s_waitcnt lgkmcnt(0)
	; wave barrier
	s_and_saveexec_b64 s[20:21], s[2:3]
	s_cbranch_execz .LBB72_33
; %bb.18:
	s_andn2_b64 vcc, exec, s[18:19]
	s_cbranch_vccnz .LBB72_20
; %bb.19:
	v_cmp_eq_u32_e32 vcc, 1, v0
	v_cndmask_b32_e32 v84, v35, v37, vcc
	v_cmp_eq_u32_e64 s[4:5], 2, v0
	v_cndmask_b32_e64 v84, v84, v39, s[4:5]
	v_cmp_eq_u32_e64 s[6:7], 3, v0
	v_cndmask_b32_e64 v84, v84, v41, s[6:7]
	v_cmp_eq_u32_e64 s[8:9], 4, v0
	v_cndmask_b32_e64 v84, v84, v43, s[8:9]
	v_cmp_eq_u32_e64 s[10:11], 5, v0
	v_cndmask_b32_e64 v84, v84, v45, s[10:11]
	v_cmp_eq_u32_e64 s[12:13], 6, v0
	v_cndmask_b32_e64 v84, v84, v47, s[12:13]
	v_cmp_eq_u32_e64 s[14:15], 7, v0
	v_cndmask_b32_e64 v84, v84, v49, s[14:15]
	v_cmp_eq_u32_e64 s[16:17], 8, v0
	v_cndmask_b32_e64 v85, v84, v51, s[16:17]
	v_cndmask_b32_e32 v84, v34, v36, vcc
	v_cndmask_b32_e64 v84, v84, v38, s[4:5]
	v_cndmask_b32_e64 v84, v84, v40, s[6:7]
	;; [unrolled: 1-line block ×3, first 2 shown]
	ds_read_b64 v[87:88], v86
	v_cndmask_b32_e64 v84, v84, v44, s[10:11]
	v_cndmask_b32_e64 v84, v84, v46, s[12:13]
	;; [unrolled: 1-line block ×4, first 2 shown]
	s_waitcnt lgkmcnt(0)
	v_mul_f64 v[84:85], v[84:85], v[87:88]
	s_cbranch_execz .LBB72_21
	s_branch .LBB72_22
.LBB72_20:
                                        ; implicit-def: $vgpr84_vgpr85
.LBB72_21:
	ds_read_b64 v[84:85], v86
.LBB72_22:
	s_and_saveexec_b64 s[4:5], s[0:1]
	s_cbranch_execz .LBB72_32
; %bb.23:
	v_add_u32_e32 v89, -7, v0
	v_add_u32_e32 v87, -6, v0
	v_mov_b32_e32 v88, 6
	v_cmp_lt_u32_e32 vcc, 6, v89
	s_and_saveexec_b64 s[0:1], vcc
	s_cbranch_execz .LBB72_27
; %bb.24:
	v_and_b32_e32 v88, -8, v87
	v_sub_u32_e32 v89, 0, v88
	s_mov_b64 s[6:7], 13
	s_movk_i32 s10, 0x80
	s_mov_b64 s[8:9], 0
.LBB72_25:                              ; =>This Inner Loop Header: Depth=1
	s_lshl_b32 s11, s6, 1
	s_add_i32 s12, s11, -13
	v_mov_b32_e32 v88, s10
	s_add_i32 s13, s11, -14
	s_set_gpr_idx_on s12, gpr_idx(SRC0)
	v_mov_b32_e32 v99, v34
	s_set_gpr_idx_off
	s_set_gpr_idx_on s13, gpr_idx(SRC0)
	v_mov_b32_e32 v98, v34
	s_set_gpr_idx_off
	ds_read_b128 v[90:93], v88
	ds_read_b128 v[94:97], v88 offset:16
	s_add_i32 s12, s11, -11
	s_add_i32 s13, s11, -12
	s_waitcnt lgkmcnt(1)
	v_fma_f64 v[84:85], v[98:99], v[90:91], v[84:85]
	ds_read_b128 v[98:101], v88 offset:32
	ds_read_b128 v[102:105], v88 offset:48
	s_set_gpr_idx_on s12, gpr_idx(SRC0)
	v_mov_b32_e32 v91, v34
	s_set_gpr_idx_off
	s_set_gpr_idx_on s13, gpr_idx(SRC0)
	v_mov_b32_e32 v90, v34
	s_set_gpr_idx_off
	s_add_i32 s12, s11, -9
	s_add_i32 s13, s11, -10
	v_fma_f64 v[84:85], v[90:91], v[92:93], v[84:85]
	s_set_gpr_idx_on s12, gpr_idx(SRC0)
	v_mov_b32_e32 v91, v34
	s_set_gpr_idx_off
	s_set_gpr_idx_on s13, gpr_idx(SRC0)
	v_mov_b32_e32 v90, v34
	s_set_gpr_idx_off
	s_add_i32 s12, s11, -7
	s_add_i32 s13, s11, -8
	s_waitcnt lgkmcnt(2)
	v_fma_f64 v[84:85], v[90:91], v[94:95], v[84:85]
	s_set_gpr_idx_on s12, gpr_idx(SRC0)
	v_mov_b32_e32 v91, v34
	s_set_gpr_idx_off
	s_set_gpr_idx_on s13, gpr_idx(SRC0)
	v_mov_b32_e32 v90, v34
	s_set_gpr_idx_off
	s_add_i32 s12, s11, -5
	s_add_i32 s13, s11, -6
	v_fma_f64 v[84:85], v[90:91], v[96:97], v[84:85]
	s_set_gpr_idx_on s12, gpr_idx(SRC0)
	v_mov_b32_e32 v91, v34
	s_set_gpr_idx_off
	s_set_gpr_idx_on s13, gpr_idx(SRC0)
	v_mov_b32_e32 v90, v34
	s_set_gpr_idx_off
	s_add_i32 s12, s11, -3
	s_add_i32 s13, s11, -4
	s_waitcnt lgkmcnt(1)
	v_fma_f64 v[84:85], v[90:91], v[98:99], v[84:85]
	s_set_gpr_idx_on s12, gpr_idx(SRC0)
	v_mov_b32_e32 v91, v34
	s_set_gpr_idx_off
	s_set_gpr_idx_on s13, gpr_idx(SRC0)
	v_mov_b32_e32 v90, v34
	s_set_gpr_idx_off
	s_add_i32 s12, s11, -1
	s_add_i32 s13, s11, -2
	s_add_u32 s6, s6, 8
	v_add_u32_e32 v88, s6, v89
	s_addc_u32 s7, s7, 0
	v_fma_f64 v[84:85], v[90:91], v[100:101], v[84:85]
	s_set_gpr_idx_on s12, gpr_idx(SRC0)
	v_mov_b32_e32 v91, v34
	s_set_gpr_idx_off
	s_set_gpr_idx_on s13, gpr_idx(SRC0)
	v_mov_b32_e32 v90, v34
	s_set_gpr_idx_off
	s_add_i32 s10, s10, 64
	v_cmp_eq_u32_e32 vcc, 13, v88
	s_waitcnt lgkmcnt(0)
	v_fma_f64 v[84:85], v[90:91], v[102:103], v[84:85]
	s_set_gpr_idx_on s11, gpr_idx(SRC0)
	v_mov_b32_e32 v91, v35
	v_mov_b32_e32 v90, v34
	s_set_gpr_idx_off
	s_add_i32 s11, s6, -7
	s_or_b64 s[8:9], vcc, s[8:9]
	v_mov_b32_e32 v88, s11
	v_fma_f64 v[84:85], v[90:91], v[104:105], v[84:85]
	s_andn2_b64 exec, exec, s[8:9]
	s_cbranch_execnz .LBB72_25
; %bb.26:
	s_or_b64 exec, exec, s[8:9]
.LBB72_27:
	s_or_b64 exec, exec, s[0:1]
	v_and_b32_e32 v52, 7, v87
	v_cmp_ne_u32_e32 vcc, 0, v52
	s_and_saveexec_b64 s[6:7], vcc
	s_cbranch_execz .LBB72_31
; %bb.28:
	v_mov_b32_e32 v53, 0x50
	v_lshl_add_u32 v53, v88, 3, v53
	v_mov_b32_e32 v54, 0
	s_mov_b64 s[8:9], 0
.LBB72_29:                              ; =>This Inner Loop Header: Depth=1
	v_cmp_eq_u32_e32 vcc, 1, v88
	v_cndmask_b32_e32 v57, v35, v37, vcc
	v_cmp_eq_u32_e64 s[0:1], 2, v88
	v_cndmask_b32_e64 v57, v57, v39, s[0:1]
	v_cndmask_b32_e32 v58, v34, v36, vcc
	v_cmp_eq_u32_e32 vcc, 3, v88
	v_cndmask_b32_e32 v57, v57, v41, vcc
	v_cndmask_b32_e64 v58, v58, v38, s[0:1]
	v_cmp_eq_u32_e64 s[0:1], 4, v88
	v_cndmask_b32_e64 v57, v57, v43, s[0:1]
	v_cndmask_b32_e32 v58, v58, v40, vcc
	v_cmp_eq_u32_e32 vcc, 5, v88
	ds_read_b64 v[55:56], v53
	v_cndmask_b32_e32 v57, v57, v45, vcc
	v_cndmask_b32_e64 v58, v58, v42, s[0:1]
	v_cmp_eq_u32_e64 s[0:1], 6, v88
	v_cndmask_b32_e64 v57, v57, v47, s[0:1]
	v_cndmask_b32_e32 v58, v58, v44, vcc
	v_cmp_eq_u32_e32 vcc, 7, v88
	v_cndmask_b32_e32 v57, v57, v49, vcc
	v_cndmask_b32_e64 v59, v58, v46, s[0:1]
	v_cmp_eq_u32_e64 s[0:1], 8, v88
	v_cndmask_b32_e64 v58, v57, v51, s[0:1]
	v_cndmask_b32_e32 v57, v59, v48, vcc
	v_cndmask_b32_e64 v57, v57, v50, s[0:1]
	s_waitcnt lgkmcnt(0)
	v_fma_f64 v[84:85], v[57:58], v[55:56], v[84:85]
	v_add_u32_e32 v52, -1, v52
	v_cmp_eq_u32_e32 vcc, 0, v52
	s_or_b64 s[8:9], vcc, s[8:9]
	v_add_co_u32_e32 v88, vcc, 1, v88
	v_add_u32_e32 v53, 8, v53
	v_addc_co_u32_e32 v54, vcc, 0, v54, vcc
	s_andn2_b64 exec, exec, s[8:9]
	s_cbranch_execnz .LBB72_29
; %bb.30:
	s_or_b64 exec, exec, s[8:9]
.LBB72_31:
	s_or_b64 exec, exec, s[6:7]
.LBB72_32:
	s_or_b64 exec, exec, s[4:5]
	v_mov_b32_e32 v44, 0
	ds_read_b64 v[44:45], v44 offset:40
	s_waitcnt lgkmcnt(0)
	v_mul_f64 v[44:45], v[84:85], v[44:45]
.LBB72_33:
	s_or_b64 exec, exec, s[20:21]
	v_cmp_lt_u32_e64 s[0:1], 4, v0
	ds_write_b64 v86, v[42:43]
	s_waitcnt lgkmcnt(0)
	; wave barrier
	s_and_saveexec_b64 s[20:21], s[0:1]
	s_cbranch_execz .LBB72_49
; %bb.34:
	s_andn2_b64 vcc, exec, s[18:19]
	s_cbranch_vccnz .LBB72_36
; %bb.35:
	v_cmp_eq_u32_e32 vcc, 1, v0
	v_cndmask_b32_e32 v84, v35, v37, vcc
	v_cmp_eq_u32_e64 s[4:5], 2, v0
	v_cndmask_b32_e64 v84, v84, v39, s[4:5]
	v_cmp_eq_u32_e64 s[6:7], 3, v0
	v_cndmask_b32_e64 v84, v84, v41, s[6:7]
	;; [unrolled: 2-line block ×7, first 2 shown]
	v_cndmask_b32_e32 v84, v34, v36, vcc
	v_cndmask_b32_e64 v84, v84, v38, s[4:5]
	v_cndmask_b32_e64 v84, v84, v40, s[6:7]
	;; [unrolled: 1-line block ×3, first 2 shown]
	ds_read_b64 v[87:88], v86
	v_cndmask_b32_e64 v84, v84, v44, s[10:11]
	v_cndmask_b32_e64 v84, v84, v46, s[12:13]
	v_cndmask_b32_e64 v84, v84, v48, s[14:15]
	v_cndmask_b32_e64 v84, v84, v50, s[16:17]
	s_waitcnt lgkmcnt(0)
	v_mul_f64 v[84:85], v[84:85], v[87:88]
	s_cbranch_execz .LBB72_37
	s_branch .LBB72_38
.LBB72_36:
                                        ; implicit-def: $vgpr84_vgpr85
.LBB72_37:
	ds_read_b64 v[84:85], v86
.LBB72_38:
	s_and_saveexec_b64 s[4:5], s[2:3]
	s_cbranch_execz .LBB72_48
; %bb.39:
	v_add_u32_e32 v88, -6, v0
	v_add_u32_e32 v87, -5, v0
	v_cmp_lt_u32_e32 vcc, 6, v88
	v_mov_b32_e32 v89, 5
	s_and_saveexec_b64 s[2:3], vcc
	s_cbranch_execz .LBB72_43
; %bb.40:
	v_and_b32_e32 v88, -8, v87
	v_sub_u32_e32 v88, 0, v88
	s_mov_b64 s[6:7], 12
	s_movk_i32 s10, 0x78
	s_mov_b64 s[8:9], 0
.LBB72_41:                              ; =>This Inner Loop Header: Depth=1
	s_lshl_b32 s11, s6, 1
	s_add_i32 s12, s11, -13
	v_mov_b32_e32 v95, s10
	s_add_i32 s13, s11, -14
	s_set_gpr_idx_on s12, gpr_idx(SRC0)
	v_mov_b32_e32 v94, v34
	s_set_gpr_idx_off
	s_set_gpr_idx_on s13, gpr_idx(SRC0)
	v_mov_b32_e32 v93, v34
	s_set_gpr_idx_off
	ds_read2_b64 v[89:92], v95 offset1:1
	s_add_i32 s12, s11, -11
	s_add_i32 s13, s11, -12
	;; [unrolled: 1-line block ×4, first 2 shown]
	s_waitcnt lgkmcnt(0)
	v_fma_f64 v[84:85], v[93:94], v[89:90], v[84:85]
	s_set_gpr_idx_on s12, gpr_idx(SRC0)
	v_mov_b32_e32 v90, v34
	s_set_gpr_idx_off
	s_set_gpr_idx_on s13, gpr_idx(SRC0)
	v_mov_b32_e32 v89, v34
	s_set_gpr_idx_off
	s_add_i32 s12, s11, -7
	s_add_i32 s13, s11, -8
	v_fma_f64 v[84:85], v[89:90], v[91:92], v[84:85]
	s_set_gpr_idx_on s14, gpr_idx(SRC0)
	v_mov_b32_e32 v94, v34
	s_set_gpr_idx_off
	s_set_gpr_idx_on s15, gpr_idx(SRC0)
	v_mov_b32_e32 v93, v34
	s_set_gpr_idx_off
	ds_read2_b64 v[89:92], v95 offset0:2 offset1:3
	s_add_i32 s14, s11, -5
	s_add_i32 s15, s11, -6
	s_waitcnt lgkmcnt(0)
	v_fma_f64 v[84:85], v[93:94], v[89:90], v[84:85]
	s_set_gpr_idx_on s12, gpr_idx(SRC0)
	v_mov_b32_e32 v90, v34
	s_set_gpr_idx_off
	s_set_gpr_idx_on s13, gpr_idx(SRC0)
	v_mov_b32_e32 v89, v34
	s_set_gpr_idx_off
	s_add_i32 s12, s11, -3
	s_add_i32 s13, s11, -4
	v_fma_f64 v[84:85], v[89:90], v[91:92], v[84:85]
	s_set_gpr_idx_on s14, gpr_idx(SRC0)
	v_mov_b32_e32 v94, v34
	s_set_gpr_idx_off
	s_set_gpr_idx_on s15, gpr_idx(SRC0)
	v_mov_b32_e32 v93, v34
	s_set_gpr_idx_off
	ds_read2_b64 v[89:92], v95 offset0:4 offset1:5
	s_add_i32 s14, s11, -1
	s_add_i32 s15, s11, -2
	s_add_u32 s6, s6, 8
	s_addc_u32 s7, s7, 0
	s_waitcnt lgkmcnt(0)
	v_fma_f64 v[84:85], v[93:94], v[89:90], v[84:85]
	s_set_gpr_idx_on s12, gpr_idx(SRC0)
	v_mov_b32_e32 v90, v34
	s_set_gpr_idx_off
	s_set_gpr_idx_on s13, gpr_idx(SRC0)
	v_mov_b32_e32 v89, v34
	s_set_gpr_idx_off
	s_add_i32 s10, s10, 64
	v_fma_f64 v[84:85], v[89:90], v[91:92], v[84:85]
	s_set_gpr_idx_on s14, gpr_idx(SRC0)
	v_mov_b32_e32 v94, v34
	s_set_gpr_idx_off
	s_set_gpr_idx_on s15, gpr_idx(SRC0)
	v_mov_b32_e32 v93, v34
	s_set_gpr_idx_off
	ds_read2_b64 v[89:92], v95 offset0:6 offset1:7
	s_waitcnt lgkmcnt(0)
	v_fma_f64 v[84:85], v[93:94], v[89:90], v[84:85]
	s_set_gpr_idx_on s11, gpr_idx(SRC0)
	v_mov_b32_e32 v90, v35
	v_mov_b32_e32 v89, v34
	s_set_gpr_idx_off
	s_add_i32 s11, s6, -7
	v_fma_f64 v[84:85], v[89:90], v[91:92], v[84:85]
	v_add_u32_e32 v89, s6, v88
	v_cmp_eq_u32_e32 vcc, 12, v89
	s_or_b64 s[8:9], vcc, s[8:9]
	v_mov_b32_e32 v89, s11
	s_andn2_b64 exec, exec, s[8:9]
	s_cbranch_execnz .LBB72_41
; %bb.42:
	s_or_b64 exec, exec, s[8:9]
.LBB72_43:
	s_or_b64 exec, exec, s[2:3]
	v_and_b32_e32 v52, 7, v87
	v_cmp_ne_u32_e32 vcc, 0, v52
	s_and_saveexec_b64 s[6:7], vcc
	s_cbranch_execz .LBB72_47
; %bb.44:
	v_mov_b32_e32 v53, 0x50
	v_lshl_add_u32 v53, v89, 3, v53
	v_mov_b32_e32 v54, 0
	s_mov_b64 s[8:9], 0
.LBB72_45:                              ; =>This Inner Loop Header: Depth=1
	v_cmp_eq_u32_e32 vcc, 1, v89
	v_cndmask_b32_e32 v57, v35, v37, vcc
	v_cmp_eq_u32_e64 s[2:3], 2, v89
	v_cndmask_b32_e64 v57, v57, v39, s[2:3]
	v_cndmask_b32_e32 v58, v34, v36, vcc
	v_cmp_eq_u32_e32 vcc, 3, v89
	v_cndmask_b32_e32 v57, v57, v41, vcc
	v_cndmask_b32_e64 v58, v58, v38, s[2:3]
	v_cmp_eq_u32_e64 s[2:3], 4, v89
	v_cndmask_b32_e64 v57, v57, v43, s[2:3]
	v_cndmask_b32_e32 v58, v58, v40, vcc
	v_cmp_eq_u32_e32 vcc, 5, v89
	ds_read_b64 v[55:56], v53
	v_cndmask_b32_e32 v57, v57, v45, vcc
	v_cndmask_b32_e64 v58, v58, v42, s[2:3]
	v_cmp_eq_u32_e64 s[2:3], 6, v89
	v_cndmask_b32_e64 v57, v57, v47, s[2:3]
	v_cndmask_b32_e32 v58, v58, v44, vcc
	v_cmp_eq_u32_e32 vcc, 7, v89
	v_cndmask_b32_e32 v57, v57, v49, vcc
	v_cndmask_b32_e64 v59, v58, v46, s[2:3]
	v_cmp_eq_u32_e64 s[2:3], 8, v89
	v_cndmask_b32_e64 v58, v57, v51, s[2:3]
	v_cndmask_b32_e32 v57, v59, v48, vcc
	v_cndmask_b32_e64 v57, v57, v50, s[2:3]
	s_waitcnt lgkmcnt(0)
	v_fma_f64 v[84:85], v[57:58], v[55:56], v[84:85]
	v_add_u32_e32 v52, -1, v52
	v_cmp_eq_u32_e32 vcc, 0, v52
	s_or_b64 s[8:9], vcc, s[8:9]
	v_add_co_u32_e32 v89, vcc, 1, v89
	v_add_u32_e32 v53, 8, v53
	v_addc_co_u32_e32 v54, vcc, 0, v54, vcc
	s_andn2_b64 exec, exec, s[8:9]
	s_cbranch_execnz .LBB72_45
; %bb.46:
	s_or_b64 exec, exec, s[8:9]
.LBB72_47:
	s_or_b64 exec, exec, s[6:7]
.LBB72_48:
	s_or_b64 exec, exec, s[4:5]
	v_mov_b32_e32 v42, 0
	ds_read_b64 v[42:43], v42 offset:32
	s_waitcnt lgkmcnt(0)
	v_mul_f64 v[42:43], v[84:85], v[42:43]
.LBB72_49:
	s_or_b64 exec, exec, s[20:21]
	v_cmp_lt_u32_e64 s[2:3], 3, v0
	ds_write_b64 v86, v[40:41]
	s_waitcnt lgkmcnt(0)
	; wave barrier
	s_and_saveexec_b64 s[20:21], s[2:3]
	s_cbranch_execz .LBB72_65
; %bb.50:
	s_andn2_b64 vcc, exec, s[18:19]
	s_cbranch_vccnz .LBB72_52
; %bb.51:
	v_cmp_eq_u32_e32 vcc, 1, v0
	v_cndmask_b32_e32 v84, v35, v37, vcc
	v_cmp_eq_u32_e64 s[4:5], 2, v0
	v_cndmask_b32_e64 v84, v84, v39, s[4:5]
	v_cmp_eq_u32_e64 s[6:7], 3, v0
	v_cndmask_b32_e64 v84, v84, v41, s[6:7]
	;; [unrolled: 2-line block ×7, first 2 shown]
	v_cndmask_b32_e32 v84, v34, v36, vcc
	v_cndmask_b32_e64 v84, v84, v38, s[4:5]
	v_cndmask_b32_e64 v84, v84, v40, s[6:7]
	;; [unrolled: 1-line block ×3, first 2 shown]
	ds_read_b64 v[87:88], v86
	v_cndmask_b32_e64 v84, v84, v44, s[10:11]
	v_cndmask_b32_e64 v84, v84, v46, s[12:13]
	;; [unrolled: 1-line block ×4, first 2 shown]
	s_waitcnt lgkmcnt(0)
	v_mul_f64 v[84:85], v[84:85], v[87:88]
	s_cbranch_execz .LBB72_53
	s_branch .LBB72_54
.LBB72_52:
                                        ; implicit-def: $vgpr84_vgpr85
.LBB72_53:
	ds_read_b64 v[84:85], v86
.LBB72_54:
	s_and_saveexec_b64 s[4:5], s[0:1]
	s_cbranch_execz .LBB72_64
; %bb.55:
	v_add_u32_e32 v88, -5, v0
	v_add_u32_e32 v87, -4, v0
	v_cmp_lt_u32_e32 vcc, 6, v88
	v_mov_b32_e32 v88, 4
	s_and_saveexec_b64 s[0:1], vcc
	s_cbranch_execz .LBB72_59
; %bb.56:
	v_and_b32_e32 v88, -8, v87
	v_sub_u32_e32 v89, 0, v88
	s_mov_b64 s[6:7], 5
	s_movk_i32 s10, 0x70
	s_mov_b64 s[8:9], 0
.LBB72_57:                              ; =>This Inner Loop Header: Depth=1
	s_lshl_b32 s11, s6, 1
	s_add_i32 s12, s11, -1
	v_mov_b32_e32 v88, s10
	s_add_i32 s13, s11, -2
	s_set_gpr_idx_on s12, gpr_idx(SRC0)
	v_mov_b32_e32 v99, v34
	s_set_gpr_idx_off
	s_set_gpr_idx_on s13, gpr_idx(SRC0)
	v_mov_b32_e32 v98, v34
	s_set_gpr_idx_off
	ds_read_b128 v[90:93], v88
	ds_read_b128 v[94:97], v88 offset:16
	s_add_i32 s12, s11, 3
	s_add_i32 s13, s11, 2
	s_waitcnt lgkmcnt(1)
	v_fma_f64 v[84:85], v[98:99], v[90:91], v[84:85]
	ds_read_b128 v[98:101], v88 offset:32
	ds_read_b128 v[102:105], v88 offset:48
	s_set_gpr_idx_on s11, gpr_idx(SRC0)
	v_mov_b32_e32 v91, v35
	v_mov_b32_e32 v90, v34
	s_set_gpr_idx_off
	v_fma_f64 v[84:85], v[90:91], v[92:93], v[84:85]
	s_set_gpr_idx_on s12, gpr_idx(SRC0)
	v_mov_b32_e32 v91, v34
	s_set_gpr_idx_off
	s_set_gpr_idx_on s13, gpr_idx(SRC0)
	v_mov_b32_e32 v90, v34
	s_set_gpr_idx_off
	s_add_i32 s12, s11, 5
	s_add_i32 s13, s11, 4
	s_waitcnt lgkmcnt(2)
	v_fma_f64 v[84:85], v[90:91], v[94:95], v[84:85]
	s_set_gpr_idx_on s12, gpr_idx(SRC0)
	v_mov_b32_e32 v91, v34
	s_set_gpr_idx_off
	s_set_gpr_idx_on s13, gpr_idx(SRC0)
	v_mov_b32_e32 v90, v34
	s_set_gpr_idx_off
	s_add_i32 s12, s11, 7
	s_add_i32 s13, s11, 6
	v_fma_f64 v[84:85], v[90:91], v[96:97], v[84:85]
	s_set_gpr_idx_on s12, gpr_idx(SRC0)
	v_mov_b32_e32 v91, v34
	s_set_gpr_idx_off
	s_set_gpr_idx_on s13, gpr_idx(SRC0)
	v_mov_b32_e32 v90, v34
	s_set_gpr_idx_off
	s_add_i32 s12, s11, 9
	s_add_i32 s13, s11, 8
	s_waitcnt lgkmcnt(1)
	v_fma_f64 v[84:85], v[90:91], v[98:99], v[84:85]
	s_set_gpr_idx_on s12, gpr_idx(SRC0)
	v_mov_b32_e32 v91, v34
	s_set_gpr_idx_off
	s_set_gpr_idx_on s13, gpr_idx(SRC0)
	v_mov_b32_e32 v90, v34
	s_set_gpr_idx_off
	s_add_i32 s12, s11, 11
	s_add_i32 s13, s11, 10
	v_fma_f64 v[84:85], v[90:91], v[100:101], v[84:85]
	s_set_gpr_idx_on s12, gpr_idx(SRC0)
	v_mov_b32_e32 v91, v34
	s_set_gpr_idx_off
	s_set_gpr_idx_on s13, gpr_idx(SRC0)
	v_mov_b32_e32 v90, v34
	s_set_gpr_idx_off
	s_add_i32 s12, s11, 13
	s_add_i32 s11, s11, 12
	s_add_u32 s6, s6, 8
	v_add_u32_e32 v88, s6, v89
	s_addc_u32 s7, s7, 0
	s_waitcnt lgkmcnt(0)
	v_fma_f64 v[84:85], v[90:91], v[102:103], v[84:85]
	s_set_gpr_idx_on s12, gpr_idx(SRC0)
	v_mov_b32_e32 v91, v34
	s_set_gpr_idx_off
	s_set_gpr_idx_on s11, gpr_idx(SRC0)
	v_mov_b32_e32 v90, v34
	s_set_gpr_idx_off
	s_add_i32 s10, s10, 64
	s_add_i32 s11, s6, -1
	v_cmp_eq_u32_e32 vcc, 5, v88
	s_or_b64 s[8:9], vcc, s[8:9]
	v_mov_b32_e32 v88, s11
	v_fma_f64 v[84:85], v[90:91], v[104:105], v[84:85]
	s_andn2_b64 exec, exec, s[8:9]
	s_cbranch_execnz .LBB72_57
; %bb.58:
	s_or_b64 exec, exec, s[8:9]
.LBB72_59:
	s_or_b64 exec, exec, s[0:1]
	v_and_b32_e32 v52, 7, v87
	v_cmp_ne_u32_e32 vcc, 0, v52
	s_and_saveexec_b64 s[6:7], vcc
	s_cbranch_execz .LBB72_63
; %bb.60:
	v_mov_b32_e32 v53, 0x50
	v_lshl_add_u32 v53, v88, 3, v53
	v_mov_b32_e32 v54, 0
	s_mov_b64 s[8:9], 0
.LBB72_61:                              ; =>This Inner Loop Header: Depth=1
	v_cmp_eq_u32_e32 vcc, 1, v88
	v_cndmask_b32_e32 v57, v35, v37, vcc
	v_cmp_eq_u32_e64 s[0:1], 2, v88
	v_cndmask_b32_e64 v57, v57, v39, s[0:1]
	v_cndmask_b32_e32 v58, v34, v36, vcc
	v_cmp_eq_u32_e32 vcc, 3, v88
	v_cndmask_b32_e32 v57, v57, v41, vcc
	v_cndmask_b32_e64 v58, v58, v38, s[0:1]
	v_cmp_eq_u32_e64 s[0:1], 4, v88
	v_cndmask_b32_e64 v57, v57, v43, s[0:1]
	v_cndmask_b32_e32 v58, v58, v40, vcc
	v_cmp_eq_u32_e32 vcc, 5, v88
	ds_read_b64 v[55:56], v53
	v_cndmask_b32_e32 v57, v57, v45, vcc
	v_cndmask_b32_e64 v58, v58, v42, s[0:1]
	v_cmp_eq_u32_e64 s[0:1], 6, v88
	v_cndmask_b32_e64 v57, v57, v47, s[0:1]
	v_cndmask_b32_e32 v58, v58, v44, vcc
	v_cmp_eq_u32_e32 vcc, 7, v88
	v_cndmask_b32_e32 v57, v57, v49, vcc
	v_cndmask_b32_e64 v59, v58, v46, s[0:1]
	v_cmp_eq_u32_e64 s[0:1], 8, v88
	v_cndmask_b32_e64 v58, v57, v51, s[0:1]
	v_cndmask_b32_e32 v57, v59, v48, vcc
	v_cndmask_b32_e64 v57, v57, v50, s[0:1]
	s_waitcnt lgkmcnt(0)
	v_fma_f64 v[84:85], v[57:58], v[55:56], v[84:85]
	v_add_u32_e32 v52, -1, v52
	v_cmp_eq_u32_e32 vcc, 0, v52
	s_or_b64 s[8:9], vcc, s[8:9]
	v_add_co_u32_e32 v88, vcc, 1, v88
	v_add_u32_e32 v53, 8, v53
	v_addc_co_u32_e32 v54, vcc, 0, v54, vcc
	s_andn2_b64 exec, exec, s[8:9]
	s_cbranch_execnz .LBB72_61
; %bb.62:
	s_or_b64 exec, exec, s[8:9]
.LBB72_63:
	s_or_b64 exec, exec, s[6:7]
.LBB72_64:
	s_or_b64 exec, exec, s[4:5]
	v_mov_b32_e32 v40, 0
	ds_read_b64 v[40:41], v40 offset:24
	s_waitcnt lgkmcnt(0)
	v_mul_f64 v[40:41], v[84:85], v[40:41]
.LBB72_65:
	s_or_b64 exec, exec, s[20:21]
	v_cmp_lt_u32_e64 s[0:1], 2, v0
	ds_write_b64 v86, v[38:39]
	s_waitcnt lgkmcnt(0)
	; wave barrier
	s_and_saveexec_b64 s[20:21], s[0:1]
	s_cbranch_execz .LBB72_81
; %bb.66:
	s_andn2_b64 vcc, exec, s[18:19]
	s_cbranch_vccnz .LBB72_68
; %bb.67:
	v_cmp_eq_u32_e32 vcc, 1, v0
	v_cndmask_b32_e32 v84, v35, v37, vcc
	v_cmp_eq_u32_e64 s[4:5], 2, v0
	v_cndmask_b32_e64 v84, v84, v39, s[4:5]
	v_cmp_eq_u32_e64 s[6:7], 3, v0
	v_cndmask_b32_e64 v84, v84, v41, s[6:7]
	;; [unrolled: 2-line block ×7, first 2 shown]
	v_cndmask_b32_e32 v84, v34, v36, vcc
	v_cndmask_b32_e64 v84, v84, v38, s[4:5]
	v_cndmask_b32_e64 v84, v84, v40, s[6:7]
	;; [unrolled: 1-line block ×3, first 2 shown]
	ds_read_b64 v[87:88], v86
	v_cndmask_b32_e64 v84, v84, v44, s[10:11]
	v_cndmask_b32_e64 v84, v84, v46, s[12:13]
	v_cndmask_b32_e64 v84, v84, v48, s[14:15]
	v_cndmask_b32_e64 v84, v84, v50, s[16:17]
	s_waitcnt lgkmcnt(0)
	v_mul_f64 v[84:85], v[84:85], v[87:88]
	s_cbranch_execz .LBB72_69
	s_branch .LBB72_70
.LBB72_68:
                                        ; implicit-def: $vgpr84_vgpr85
.LBB72_69:
	ds_read_b64 v[84:85], v86
.LBB72_70:
	s_and_saveexec_b64 s[4:5], s[2:3]
	s_cbranch_execz .LBB72_80
; %bb.71:
	v_add_u32_e32 v88, -4, v0
	v_add_u32_e32 v87, -3, v0
	v_cmp_lt_u32_e32 vcc, 6, v88
	v_mov_b32_e32 v89, 3
	s_and_saveexec_b64 s[2:3], vcc
	s_cbranch_execz .LBB72_75
; %bb.72:
	v_and_b32_e32 v88, -8, v87
	v_sub_u32_e32 v88, 0, v88
	s_mov_b64 s[6:7], 10
	s_movk_i32 s10, 0x68
	s_mov_b64 s[8:9], 0
.LBB72_73:                              ; =>This Inner Loop Header: Depth=1
	s_lshl_b32 s11, s6, 1
	s_add_i32 s12, s11, -13
	v_mov_b32_e32 v95, s10
	s_add_i32 s13, s11, -14
	s_set_gpr_idx_on s12, gpr_idx(SRC0)
	v_mov_b32_e32 v94, v34
	s_set_gpr_idx_off
	s_set_gpr_idx_on s13, gpr_idx(SRC0)
	v_mov_b32_e32 v93, v34
	s_set_gpr_idx_off
	ds_read2_b64 v[89:92], v95 offset1:1
	s_add_i32 s12, s11, -11
	s_add_i32 s13, s11, -12
	;; [unrolled: 1-line block ×4, first 2 shown]
	s_waitcnt lgkmcnt(0)
	v_fma_f64 v[84:85], v[93:94], v[89:90], v[84:85]
	s_set_gpr_idx_on s12, gpr_idx(SRC0)
	v_mov_b32_e32 v90, v34
	s_set_gpr_idx_off
	s_set_gpr_idx_on s13, gpr_idx(SRC0)
	v_mov_b32_e32 v89, v34
	s_set_gpr_idx_off
	s_add_i32 s12, s11, -7
	s_add_i32 s13, s11, -8
	v_fma_f64 v[84:85], v[89:90], v[91:92], v[84:85]
	s_set_gpr_idx_on s14, gpr_idx(SRC0)
	v_mov_b32_e32 v94, v34
	s_set_gpr_idx_off
	s_set_gpr_idx_on s15, gpr_idx(SRC0)
	v_mov_b32_e32 v93, v34
	s_set_gpr_idx_off
	ds_read2_b64 v[89:92], v95 offset0:2 offset1:3
	s_add_i32 s14, s11, -5
	s_add_i32 s15, s11, -6
	s_waitcnt lgkmcnt(0)
	v_fma_f64 v[84:85], v[93:94], v[89:90], v[84:85]
	s_set_gpr_idx_on s12, gpr_idx(SRC0)
	v_mov_b32_e32 v90, v34
	s_set_gpr_idx_off
	s_set_gpr_idx_on s13, gpr_idx(SRC0)
	v_mov_b32_e32 v89, v34
	s_set_gpr_idx_off
	s_add_i32 s12, s11, -3
	s_add_i32 s13, s11, -4
	v_fma_f64 v[84:85], v[89:90], v[91:92], v[84:85]
	s_set_gpr_idx_on s14, gpr_idx(SRC0)
	v_mov_b32_e32 v94, v34
	s_set_gpr_idx_off
	s_set_gpr_idx_on s15, gpr_idx(SRC0)
	v_mov_b32_e32 v93, v34
	s_set_gpr_idx_off
	ds_read2_b64 v[89:92], v95 offset0:4 offset1:5
	s_add_i32 s14, s11, -1
	s_add_i32 s15, s11, -2
	s_add_u32 s6, s6, 8
	s_addc_u32 s7, s7, 0
	s_waitcnt lgkmcnt(0)
	v_fma_f64 v[84:85], v[93:94], v[89:90], v[84:85]
	s_set_gpr_idx_on s12, gpr_idx(SRC0)
	v_mov_b32_e32 v90, v34
	s_set_gpr_idx_off
	s_set_gpr_idx_on s13, gpr_idx(SRC0)
	v_mov_b32_e32 v89, v34
	s_set_gpr_idx_off
	s_add_i32 s10, s10, 64
	v_fma_f64 v[84:85], v[89:90], v[91:92], v[84:85]
	s_set_gpr_idx_on s14, gpr_idx(SRC0)
	v_mov_b32_e32 v94, v34
	s_set_gpr_idx_off
	s_set_gpr_idx_on s15, gpr_idx(SRC0)
	v_mov_b32_e32 v93, v34
	s_set_gpr_idx_off
	ds_read2_b64 v[89:92], v95 offset0:6 offset1:7
	s_waitcnt lgkmcnt(0)
	v_fma_f64 v[84:85], v[93:94], v[89:90], v[84:85]
	s_set_gpr_idx_on s11, gpr_idx(SRC0)
	v_mov_b32_e32 v90, v35
	v_mov_b32_e32 v89, v34
	s_set_gpr_idx_off
	s_add_i32 s11, s6, -7
	v_fma_f64 v[84:85], v[89:90], v[91:92], v[84:85]
	v_add_u32_e32 v89, s6, v88
	v_cmp_eq_u32_e32 vcc, 10, v89
	s_or_b64 s[8:9], vcc, s[8:9]
	v_mov_b32_e32 v89, s11
	s_andn2_b64 exec, exec, s[8:9]
	s_cbranch_execnz .LBB72_73
; %bb.74:
	s_or_b64 exec, exec, s[8:9]
.LBB72_75:
	s_or_b64 exec, exec, s[2:3]
	v_and_b32_e32 v52, 7, v87
	v_cmp_ne_u32_e32 vcc, 0, v52
	s_and_saveexec_b64 s[6:7], vcc
	s_cbranch_execz .LBB72_79
; %bb.76:
	v_mov_b32_e32 v53, 0x50
	v_lshl_add_u32 v53, v89, 3, v53
	v_mov_b32_e32 v54, 0
	s_mov_b64 s[8:9], 0
.LBB72_77:                              ; =>This Inner Loop Header: Depth=1
	v_cmp_eq_u32_e32 vcc, 1, v89
	v_cndmask_b32_e32 v57, v35, v37, vcc
	v_cmp_eq_u32_e64 s[2:3], 2, v89
	v_cndmask_b32_e64 v57, v57, v39, s[2:3]
	v_cndmask_b32_e32 v58, v34, v36, vcc
	v_cmp_eq_u32_e32 vcc, 3, v89
	v_cndmask_b32_e32 v57, v57, v41, vcc
	v_cndmask_b32_e64 v58, v58, v38, s[2:3]
	v_cmp_eq_u32_e64 s[2:3], 4, v89
	v_cndmask_b32_e64 v57, v57, v43, s[2:3]
	v_cndmask_b32_e32 v58, v58, v40, vcc
	v_cmp_eq_u32_e32 vcc, 5, v89
	ds_read_b64 v[55:56], v53
	v_cndmask_b32_e32 v57, v57, v45, vcc
	v_cndmask_b32_e64 v58, v58, v42, s[2:3]
	v_cmp_eq_u32_e64 s[2:3], 6, v89
	v_cndmask_b32_e64 v57, v57, v47, s[2:3]
	v_cndmask_b32_e32 v58, v58, v44, vcc
	v_cmp_eq_u32_e32 vcc, 7, v89
	v_cndmask_b32_e32 v57, v57, v49, vcc
	v_cndmask_b32_e64 v59, v58, v46, s[2:3]
	v_cmp_eq_u32_e64 s[2:3], 8, v89
	v_cndmask_b32_e64 v58, v57, v51, s[2:3]
	v_cndmask_b32_e32 v57, v59, v48, vcc
	v_cndmask_b32_e64 v57, v57, v50, s[2:3]
	s_waitcnt lgkmcnt(0)
	v_fma_f64 v[84:85], v[57:58], v[55:56], v[84:85]
	v_add_u32_e32 v52, -1, v52
	v_cmp_eq_u32_e32 vcc, 0, v52
	s_or_b64 s[8:9], vcc, s[8:9]
	v_add_co_u32_e32 v89, vcc, 1, v89
	v_add_u32_e32 v53, 8, v53
	v_addc_co_u32_e32 v54, vcc, 0, v54, vcc
	s_andn2_b64 exec, exec, s[8:9]
	s_cbranch_execnz .LBB72_77
; %bb.78:
	s_or_b64 exec, exec, s[8:9]
.LBB72_79:
	s_or_b64 exec, exec, s[6:7]
.LBB72_80:
	s_or_b64 exec, exec, s[4:5]
	v_mov_b32_e32 v38, 0
	ds_read_b64 v[38:39], v38 offset:16
	s_waitcnt lgkmcnt(0)
	v_mul_f64 v[38:39], v[84:85], v[38:39]
.LBB72_81:
	s_or_b64 exec, exec, s[20:21]
	v_cmp_lt_u32_e64 s[2:3], 1, v0
	ds_write_b64 v86, v[36:37]
	s_waitcnt lgkmcnt(0)
	; wave barrier
	s_and_saveexec_b64 s[20:21], s[2:3]
	s_cbranch_execz .LBB72_97
; %bb.82:
	s_andn2_b64 vcc, exec, s[18:19]
	s_cbranch_vccnz .LBB72_84
; %bb.83:
	v_cmp_eq_u32_e32 vcc, 1, v0
	v_cndmask_b32_e32 v84, v35, v37, vcc
	v_cmp_eq_u32_e64 s[4:5], 2, v0
	v_cndmask_b32_e64 v84, v84, v39, s[4:5]
	v_cmp_eq_u32_e64 s[6:7], 3, v0
	v_cndmask_b32_e64 v84, v84, v41, s[6:7]
	;; [unrolled: 2-line block ×7, first 2 shown]
	v_cndmask_b32_e32 v84, v34, v36, vcc
	v_cndmask_b32_e64 v84, v84, v38, s[4:5]
	v_cndmask_b32_e64 v84, v84, v40, s[6:7]
	;; [unrolled: 1-line block ×3, first 2 shown]
	ds_read_b64 v[87:88], v86
	v_cndmask_b32_e64 v84, v84, v44, s[10:11]
	v_cndmask_b32_e64 v84, v84, v46, s[12:13]
	;; [unrolled: 1-line block ×4, first 2 shown]
	s_waitcnt lgkmcnt(0)
	v_mul_f64 v[84:85], v[84:85], v[87:88]
	s_cbranch_execz .LBB72_85
	s_branch .LBB72_86
.LBB72_84:
                                        ; implicit-def: $vgpr84_vgpr85
.LBB72_85:
	ds_read_b64 v[84:85], v86
.LBB72_86:
	s_and_saveexec_b64 s[4:5], s[0:1]
	s_cbranch_execz .LBB72_96
; %bb.87:
	v_add_u32_e32 v88, -3, v0
	v_add_u32_e32 v87, -2, v0
	v_cmp_lt_u32_e32 vcc, 6, v88
	v_mov_b32_e32 v88, 2
	s_and_saveexec_b64 s[0:1], vcc
	s_cbranch_execz .LBB72_91
; %bb.88:
	v_and_b32_e32 v88, -8, v87
	v_sub_u32_e32 v89, 0, v88
	s_mov_b64 s[6:7], 9
	s_movk_i32 s10, 0x60
	s_mov_b64 s[8:9], 0
.LBB72_89:                              ; =>This Inner Loop Header: Depth=1
	s_lshl_b32 s11, s6, 1
	s_add_i32 s12, s11, -13
	v_mov_b32_e32 v88, s10
	s_add_i32 s13, s11, -14
	s_set_gpr_idx_on s12, gpr_idx(SRC0)
	v_mov_b32_e32 v99, v34
	s_set_gpr_idx_off
	s_set_gpr_idx_on s13, gpr_idx(SRC0)
	v_mov_b32_e32 v98, v34
	s_set_gpr_idx_off
	ds_read_b128 v[90:93], v88
	ds_read_b128 v[94:97], v88 offset:16
	s_add_i32 s12, s11, -11
	s_add_i32 s13, s11, -12
	s_waitcnt lgkmcnt(1)
	v_fma_f64 v[84:85], v[98:99], v[90:91], v[84:85]
	ds_read_b128 v[98:101], v88 offset:32
	ds_read_b128 v[102:105], v88 offset:48
	s_set_gpr_idx_on s12, gpr_idx(SRC0)
	v_mov_b32_e32 v91, v34
	s_set_gpr_idx_off
	s_set_gpr_idx_on s13, gpr_idx(SRC0)
	v_mov_b32_e32 v90, v34
	s_set_gpr_idx_off
	s_add_i32 s12, s11, -9
	s_add_i32 s13, s11, -10
	v_fma_f64 v[84:85], v[90:91], v[92:93], v[84:85]
	s_set_gpr_idx_on s12, gpr_idx(SRC0)
	v_mov_b32_e32 v91, v34
	s_set_gpr_idx_off
	s_set_gpr_idx_on s13, gpr_idx(SRC0)
	v_mov_b32_e32 v90, v34
	s_set_gpr_idx_off
	s_add_i32 s12, s11, -7
	s_add_i32 s13, s11, -8
	s_waitcnt lgkmcnt(2)
	v_fma_f64 v[84:85], v[90:91], v[94:95], v[84:85]
	s_set_gpr_idx_on s12, gpr_idx(SRC0)
	v_mov_b32_e32 v91, v34
	s_set_gpr_idx_off
	s_set_gpr_idx_on s13, gpr_idx(SRC0)
	v_mov_b32_e32 v90, v34
	s_set_gpr_idx_off
	s_add_i32 s12, s11, -5
	s_add_i32 s13, s11, -6
	v_fma_f64 v[84:85], v[90:91], v[96:97], v[84:85]
	s_set_gpr_idx_on s12, gpr_idx(SRC0)
	v_mov_b32_e32 v91, v34
	s_set_gpr_idx_off
	s_set_gpr_idx_on s13, gpr_idx(SRC0)
	v_mov_b32_e32 v90, v34
	s_set_gpr_idx_off
	s_add_i32 s12, s11, -3
	s_add_i32 s13, s11, -4
	s_waitcnt lgkmcnt(1)
	v_fma_f64 v[84:85], v[90:91], v[98:99], v[84:85]
	s_set_gpr_idx_on s12, gpr_idx(SRC0)
	v_mov_b32_e32 v91, v34
	s_set_gpr_idx_off
	s_set_gpr_idx_on s13, gpr_idx(SRC0)
	v_mov_b32_e32 v90, v34
	s_set_gpr_idx_off
	s_add_i32 s12, s11, -1
	s_add_i32 s13, s11, -2
	s_add_u32 s6, s6, 8
	v_add_u32_e32 v88, s6, v89
	s_addc_u32 s7, s7, 0
	v_fma_f64 v[84:85], v[90:91], v[100:101], v[84:85]
	s_set_gpr_idx_on s12, gpr_idx(SRC0)
	v_mov_b32_e32 v91, v34
	s_set_gpr_idx_off
	s_set_gpr_idx_on s13, gpr_idx(SRC0)
	v_mov_b32_e32 v90, v34
	s_set_gpr_idx_off
	s_add_i32 s10, s10, 64
	v_cmp_eq_u32_e32 vcc, 9, v88
	s_waitcnt lgkmcnt(0)
	v_fma_f64 v[84:85], v[90:91], v[102:103], v[84:85]
	s_set_gpr_idx_on s11, gpr_idx(SRC0)
	v_mov_b32_e32 v91, v35
	v_mov_b32_e32 v90, v34
	s_set_gpr_idx_off
	s_add_i32 s11, s6, -7
	s_or_b64 s[8:9], vcc, s[8:9]
	v_mov_b32_e32 v88, s11
	v_fma_f64 v[84:85], v[90:91], v[104:105], v[84:85]
	s_andn2_b64 exec, exec, s[8:9]
	s_cbranch_execnz .LBB72_89
; %bb.90:
	s_or_b64 exec, exec, s[8:9]
.LBB72_91:
	s_or_b64 exec, exec, s[0:1]
	v_and_b32_e32 v52, 7, v87
	v_cmp_ne_u32_e32 vcc, 0, v52
	s_and_saveexec_b64 s[6:7], vcc
	s_cbranch_execz .LBB72_95
; %bb.92:
	v_mov_b32_e32 v53, 0x50
	v_lshl_add_u32 v53, v88, 3, v53
	v_mov_b32_e32 v54, 0
	s_mov_b64 s[8:9], 0
.LBB72_93:                              ; =>This Inner Loop Header: Depth=1
	v_cmp_eq_u32_e32 vcc, 1, v88
	v_cndmask_b32_e32 v57, v35, v37, vcc
	v_cmp_eq_u32_e64 s[0:1], 2, v88
	v_cndmask_b32_e64 v57, v57, v39, s[0:1]
	v_cndmask_b32_e32 v58, v34, v36, vcc
	v_cmp_eq_u32_e32 vcc, 3, v88
	v_cndmask_b32_e32 v57, v57, v41, vcc
	v_cndmask_b32_e64 v58, v58, v38, s[0:1]
	v_cmp_eq_u32_e64 s[0:1], 4, v88
	v_cndmask_b32_e64 v57, v57, v43, s[0:1]
	v_cndmask_b32_e32 v58, v58, v40, vcc
	v_cmp_eq_u32_e32 vcc, 5, v88
	ds_read_b64 v[55:56], v53
	v_cndmask_b32_e32 v57, v57, v45, vcc
	v_cndmask_b32_e64 v58, v58, v42, s[0:1]
	v_cmp_eq_u32_e64 s[0:1], 6, v88
	v_cndmask_b32_e64 v57, v57, v47, s[0:1]
	v_cndmask_b32_e32 v58, v58, v44, vcc
	v_cmp_eq_u32_e32 vcc, 7, v88
	v_cndmask_b32_e32 v57, v57, v49, vcc
	v_cndmask_b32_e64 v59, v58, v46, s[0:1]
	v_cmp_eq_u32_e64 s[0:1], 8, v88
	v_cndmask_b32_e64 v58, v57, v51, s[0:1]
	v_cndmask_b32_e32 v57, v59, v48, vcc
	v_cndmask_b32_e64 v57, v57, v50, s[0:1]
	s_waitcnt lgkmcnt(0)
	v_fma_f64 v[84:85], v[57:58], v[55:56], v[84:85]
	v_add_u32_e32 v52, -1, v52
	v_cmp_eq_u32_e32 vcc, 0, v52
	s_or_b64 s[8:9], vcc, s[8:9]
	v_add_co_u32_e32 v88, vcc, 1, v88
	v_add_u32_e32 v53, 8, v53
	v_addc_co_u32_e32 v54, vcc, 0, v54, vcc
	s_andn2_b64 exec, exec, s[8:9]
	s_cbranch_execnz .LBB72_93
; %bb.94:
	s_or_b64 exec, exec, s[8:9]
.LBB72_95:
	s_or_b64 exec, exec, s[6:7]
.LBB72_96:
	s_or_b64 exec, exec, s[4:5]
	v_mov_b32_e32 v36, 0
	ds_read_b64 v[36:37], v36 offset:8
	s_waitcnt lgkmcnt(0)
	v_mul_f64 v[36:37], v[84:85], v[36:37]
.LBB72_97:
	s_or_b64 exec, exec, s[20:21]
	v_cmp_ne_u32_e32 vcc, 0, v0
	ds_write_b64 v86, v[34:35]
	s_waitcnt lgkmcnt(0)
	; wave barrier
	s_and_saveexec_b64 s[16:17], vcc
	s_cbranch_execz .LBB72_113
; %bb.98:
	s_andn2_b64 vcc, exec, s[18:19]
	s_cbranch_vccnz .LBB72_100
; %bb.99:
	v_cmp_eq_u32_e32 vcc, 1, v0
	v_cndmask_b32_e32 v84, v35, v37, vcc
	v_cmp_eq_u32_e64 s[0:1], 2, v0
	v_cndmask_b32_e64 v84, v84, v39, s[0:1]
	v_cmp_eq_u32_e64 s[4:5], 3, v0
	v_cndmask_b32_e64 v84, v84, v41, s[4:5]
	v_cmp_eq_u32_e64 s[6:7], 4, v0
	v_cndmask_b32_e64 v84, v84, v43, s[6:7]
	v_cmp_eq_u32_e64 s[8:9], 5, v0
	v_cndmask_b32_e64 v84, v84, v45, s[8:9]
	v_cmp_eq_u32_e64 s[10:11], 6, v0
	v_cndmask_b32_e64 v84, v84, v47, s[10:11]
	v_cmp_eq_u32_e64 s[12:13], 7, v0
	v_cndmask_b32_e64 v84, v84, v49, s[12:13]
	v_cmp_eq_u32_e64 s[14:15], 8, v0
	v_cndmask_b32_e64 v85, v84, v51, s[14:15]
	v_cndmask_b32_e32 v84, v34, v36, vcc
	v_cndmask_b32_e64 v84, v84, v38, s[0:1]
	v_cndmask_b32_e64 v84, v84, v40, s[4:5]
	;; [unrolled: 1-line block ×3, first 2 shown]
	ds_read_b64 v[87:88], v86
	v_cndmask_b32_e64 v84, v84, v44, s[8:9]
	v_cndmask_b32_e64 v84, v84, v46, s[10:11]
	v_cndmask_b32_e64 v84, v84, v48, s[12:13]
	v_cndmask_b32_e64 v84, v84, v50, s[14:15]
	s_waitcnt lgkmcnt(0)
	v_mul_f64 v[84:85], v[84:85], v[87:88]
	s_cbranch_execz .LBB72_101
	s_branch .LBB72_102
.LBB72_100:
                                        ; implicit-def: $vgpr84_vgpr85
.LBB72_101:
	ds_read_b64 v[84:85], v86
.LBB72_102:
	s_and_saveexec_b64 s[4:5], s[2:3]
	s_cbranch_execz .LBB72_112
; %bb.103:
	v_add_u32_e32 v88, -2, v0
	v_add_u32_e32 v87, -1, v0
	v_cmp_lt_u32_e32 vcc, 6, v88
	v_mov_b32_e32 v89, 1
	s_and_saveexec_b64 s[0:1], vcc
	s_cbranch_execz .LBB72_107
; %bb.104:
	v_and_b32_e32 v88, -8, v87
	v_sub_u32_e32 v88, 0, v88
	s_mov_b64 s[2:3], 8
	s_movk_i32 s8, 0x58
	s_mov_b64 s[6:7], 0
.LBB72_105:                             ; =>This Inner Loop Header: Depth=1
	s_lshl_b32 s9, s2, 1
	s_add_i32 s10, s9, -13
	v_mov_b32_e32 v95, s8
	s_add_i32 s11, s9, -14
	s_set_gpr_idx_on s10, gpr_idx(SRC0)
	v_mov_b32_e32 v94, v34
	s_set_gpr_idx_off
	s_set_gpr_idx_on s11, gpr_idx(SRC0)
	v_mov_b32_e32 v93, v34
	s_set_gpr_idx_off
	ds_read2_b64 v[89:92], v95 offset1:1
	s_add_i32 s10, s9, -11
	s_add_i32 s11, s9, -12
	;; [unrolled: 1-line block ×4, first 2 shown]
	s_waitcnt lgkmcnt(0)
	v_fma_f64 v[84:85], v[93:94], v[89:90], v[84:85]
	s_set_gpr_idx_on s10, gpr_idx(SRC0)
	v_mov_b32_e32 v90, v34
	s_set_gpr_idx_off
	s_set_gpr_idx_on s11, gpr_idx(SRC0)
	v_mov_b32_e32 v89, v34
	s_set_gpr_idx_off
	s_add_i32 s10, s9, -7
	s_add_i32 s11, s9, -8
	v_fma_f64 v[84:85], v[89:90], v[91:92], v[84:85]
	s_set_gpr_idx_on s12, gpr_idx(SRC0)
	v_mov_b32_e32 v94, v34
	s_set_gpr_idx_off
	s_set_gpr_idx_on s13, gpr_idx(SRC0)
	v_mov_b32_e32 v93, v34
	s_set_gpr_idx_off
	ds_read2_b64 v[89:92], v95 offset0:2 offset1:3
	s_add_i32 s12, s9, -5
	s_add_i32 s13, s9, -6
	s_waitcnt lgkmcnt(0)
	v_fma_f64 v[84:85], v[93:94], v[89:90], v[84:85]
	s_set_gpr_idx_on s10, gpr_idx(SRC0)
	v_mov_b32_e32 v90, v34
	s_set_gpr_idx_off
	s_set_gpr_idx_on s11, gpr_idx(SRC0)
	v_mov_b32_e32 v89, v34
	s_set_gpr_idx_off
	s_add_i32 s10, s9, -3
	s_add_i32 s11, s9, -4
	v_fma_f64 v[84:85], v[89:90], v[91:92], v[84:85]
	s_set_gpr_idx_on s12, gpr_idx(SRC0)
	v_mov_b32_e32 v94, v34
	s_set_gpr_idx_off
	s_set_gpr_idx_on s13, gpr_idx(SRC0)
	v_mov_b32_e32 v93, v34
	s_set_gpr_idx_off
	ds_read2_b64 v[89:92], v95 offset0:4 offset1:5
	s_add_i32 s12, s9, -1
	s_add_i32 s13, s9, -2
	s_add_u32 s2, s2, 8
	s_addc_u32 s3, s3, 0
	s_waitcnt lgkmcnt(0)
	v_fma_f64 v[84:85], v[93:94], v[89:90], v[84:85]
	s_set_gpr_idx_on s10, gpr_idx(SRC0)
	v_mov_b32_e32 v90, v34
	s_set_gpr_idx_off
	s_set_gpr_idx_on s11, gpr_idx(SRC0)
	v_mov_b32_e32 v89, v34
	s_set_gpr_idx_off
	s_add_i32 s8, s8, 64
	v_fma_f64 v[84:85], v[89:90], v[91:92], v[84:85]
	s_set_gpr_idx_on s12, gpr_idx(SRC0)
	v_mov_b32_e32 v94, v34
	s_set_gpr_idx_off
	s_set_gpr_idx_on s13, gpr_idx(SRC0)
	v_mov_b32_e32 v93, v34
	s_set_gpr_idx_off
	ds_read2_b64 v[89:92], v95 offset0:6 offset1:7
	s_waitcnt lgkmcnt(0)
	v_fma_f64 v[84:85], v[93:94], v[89:90], v[84:85]
	s_set_gpr_idx_on s9, gpr_idx(SRC0)
	v_mov_b32_e32 v90, v35
	v_mov_b32_e32 v89, v34
	s_set_gpr_idx_off
	s_add_i32 s9, s2, -7
	v_fma_f64 v[84:85], v[89:90], v[91:92], v[84:85]
	v_add_u32_e32 v89, s2, v88
	v_cmp_eq_u32_e32 vcc, 8, v89
	s_or_b64 s[6:7], vcc, s[6:7]
	v_mov_b32_e32 v89, s9
	s_andn2_b64 exec, exec, s[6:7]
	s_cbranch_execnz .LBB72_105
; %bb.106:
	s_or_b64 exec, exec, s[6:7]
.LBB72_107:
	s_or_b64 exec, exec, s[0:1]
	v_and_b32_e32 v52, 7, v87
	v_cmp_ne_u32_e32 vcc, 0, v52
	s_and_saveexec_b64 s[2:3], vcc
	s_cbranch_execz .LBB72_111
; %bb.108:
	v_mov_b32_e32 v53, 0x50
	v_lshl_add_u32 v53, v89, 3, v53
	v_mov_b32_e32 v54, 0
	s_mov_b64 s[6:7], 0
.LBB72_109:                             ; =>This Inner Loop Header: Depth=1
	v_cmp_eq_u32_e32 vcc, 1, v89
	v_cndmask_b32_e32 v57, v35, v37, vcc
	v_cmp_eq_u32_e64 s[0:1], 2, v89
	v_cndmask_b32_e64 v57, v57, v39, s[0:1]
	v_cndmask_b32_e32 v58, v34, v36, vcc
	v_cmp_eq_u32_e32 vcc, 3, v89
	v_cndmask_b32_e32 v57, v57, v41, vcc
	v_cndmask_b32_e64 v58, v58, v38, s[0:1]
	v_cmp_eq_u32_e64 s[0:1], 4, v89
	v_cndmask_b32_e64 v57, v57, v43, s[0:1]
	v_cndmask_b32_e32 v58, v58, v40, vcc
	v_cmp_eq_u32_e32 vcc, 5, v89
	ds_read_b64 v[55:56], v53
	v_cndmask_b32_e32 v57, v57, v45, vcc
	v_cndmask_b32_e64 v58, v58, v42, s[0:1]
	v_cmp_eq_u32_e64 s[0:1], 6, v89
	v_cndmask_b32_e64 v57, v57, v47, s[0:1]
	v_cndmask_b32_e32 v58, v58, v44, vcc
	v_cmp_eq_u32_e32 vcc, 7, v89
	v_cndmask_b32_e32 v57, v57, v49, vcc
	v_cndmask_b32_e64 v59, v58, v46, s[0:1]
	v_cmp_eq_u32_e64 s[0:1], 8, v89
	v_cndmask_b32_e64 v58, v57, v51, s[0:1]
	v_cndmask_b32_e32 v57, v59, v48, vcc
	v_cndmask_b32_e64 v57, v57, v50, s[0:1]
	s_waitcnt lgkmcnt(0)
	v_fma_f64 v[84:85], v[57:58], v[55:56], v[84:85]
	v_add_u32_e32 v52, -1, v52
	v_cmp_eq_u32_e32 vcc, 0, v52
	s_or_b64 s[6:7], vcc, s[6:7]
	v_add_co_u32_e32 v89, vcc, 1, v89
	v_add_u32_e32 v53, 8, v53
	v_addc_co_u32_e32 v54, vcc, 0, v54, vcc
	s_andn2_b64 exec, exec, s[6:7]
	s_cbranch_execnz .LBB72_109
; %bb.110:
	s_or_b64 exec, exec, s[6:7]
.LBB72_111:
	s_or_b64 exec, exec, s[2:3]
.LBB72_112:
	s_or_b64 exec, exec, s[4:5]
	v_mov_b32_e32 v34, 0
	ds_read_b64 v[34:35], v34
	s_waitcnt lgkmcnt(0)
	v_mul_f64 v[34:35], v[84:85], v[34:35]
.LBB72_113:
	s_or_b64 exec, exec, s[16:17]
	s_branch .LBB72_185
.LBB72_114:
	v_cmp_eq_u32_e64 s[2:3], 0, v0
	s_waitcnt vmcnt(0) lgkmcnt(0)
	ds_write_b64 v86, v[4:5]
	s_waitcnt lgkmcnt(0)
	; wave barrier
	s_and_saveexec_b64 s[16:17], s[2:3]
	s_cbranch_execz .LBB72_120
; %bb.115:
	s_and_b64 vcc, exec, s[18:19]
	s_cbranch_vccz .LBB72_117
; %bb.116:
	v_cmp_eq_u32_e32 vcc, 1, v0
	v_cndmask_b32_e32 v5, v3, v5, vcc
	v_cmp_eq_u32_e64 s[0:1], 2, v0
	v_cndmask_b32_e32 v4, v2, v4, vcc
	v_cndmask_b32_e64 v5, v5, v7, s[0:1]
	v_cmp_eq_u32_e64 s[4:5], 3, v0
	v_cndmask_b32_e64 v4, v4, v6, s[0:1]
	v_cndmask_b32_e64 v5, v5, v9, s[4:5]
	v_cmp_eq_u32_e64 s[6:7], 4, v0
	v_cndmask_b32_e64 v4, v4, v8, s[4:5]
	v_cndmask_b32_e64 v5, v5, v11, s[6:7]
	v_cmp_eq_u32_e64 s[8:9], 5, v0
	v_cndmask_b32_e64 v4, v4, v10, s[6:7]
	ds_read_b64 v[20:21], v86
	v_cndmask_b32_e64 v5, v5, v13, s[8:9]
	v_cmp_eq_u32_e64 s[10:11], 6, v0
	v_cndmask_b32_e64 v4, v4, v12, s[8:9]
	v_cndmask_b32_e64 v5, v5, v15, s[10:11]
	v_cmp_eq_u32_e64 s[12:13], 7, v0
	v_cndmask_b32_e64 v4, v4, v14, s[10:11]
	;; [unrolled: 3-line block ×3, first 2 shown]
	v_cndmask_b32_e64 v5, v5, v19, s[14:15]
	v_cndmask_b32_e64 v4, v4, v18, s[14:15]
	s_waitcnt lgkmcnt(0)
	v_mul_f64 v[4:5], v[4:5], v[20:21]
	s_cbranch_execz .LBB72_118
	s_branch .LBB72_119
.LBB72_117:
                                        ; implicit-def: $vgpr4_vgpr5
.LBB72_118:
	ds_read_b64 v[4:5], v86
.LBB72_119:
	v_mov_b32_e32 v20, 0
	ds_read_b64 v[20:21], v20 offset:8
	s_waitcnt lgkmcnt(0)
	v_mul_f64 v[4:5], v[4:5], v[20:21]
.LBB72_120:
	s_or_b64 exec, exec, s[16:17]
	v_cndmask_b32_e64 v34, 0, 1, s[18:19]
	v_cmp_gt_u32_e32 vcc, 2, v0
	v_cmp_ne_u32_e64 s[0:1], 1, v34
	ds_write_b64 v86, v[6:7]
	s_waitcnt lgkmcnt(0)
	; wave barrier
	s_and_saveexec_b64 s[18:19], vcc
	s_cbranch_execz .LBB72_126
; %bb.121:
	s_and_b64 vcc, exec, s[0:1]
	s_cbranch_vccnz .LBB72_123
; %bb.122:
	v_cmp_eq_u32_e32 vcc, 1, v0
	v_cndmask_b32_e32 v20, v3, v5, vcc
	v_cmp_eq_u32_e64 s[4:5], 2, v0
	v_cndmask_b32_e64 v7, v20, v7, s[4:5]
	v_cndmask_b32_e32 v20, v2, v4, vcc
	v_cmp_eq_u32_e64 s[6:7], 3, v0
	v_cndmask_b32_e64 v6, v20, v6, s[4:5]
	v_cndmask_b32_e64 v7, v7, v9, s[6:7]
	v_cmp_eq_u32_e64 s[8:9], 4, v0
	v_cndmask_b32_e64 v6, v6, v8, s[6:7]
	v_cndmask_b32_e64 v7, v7, v11, s[8:9]
	v_cmp_eq_u32_e64 s[10:11], 5, v0
	v_cndmask_b32_e64 v6, v6, v10, s[8:9]
	ds_read_b64 v[20:21], v86
	v_cndmask_b32_e64 v7, v7, v13, s[10:11]
	v_cmp_eq_u32_e64 s[12:13], 6, v0
	v_cndmask_b32_e64 v6, v6, v12, s[10:11]
	v_cndmask_b32_e64 v7, v7, v15, s[12:13]
	v_cmp_eq_u32_e64 s[14:15], 7, v0
	v_cndmask_b32_e64 v6, v6, v14, s[12:13]
	;; [unrolled: 3-line block ×3, first 2 shown]
	v_cndmask_b32_e64 v7, v7, v19, s[16:17]
	v_cndmask_b32_e64 v6, v6, v18, s[16:17]
	s_waitcnt lgkmcnt(0)
	v_mul_f64 v[6:7], v[6:7], v[20:21]
	s_cbranch_execz .LBB72_124
	s_branch .LBB72_125
.LBB72_123:
                                        ; implicit-def: $vgpr6_vgpr7
.LBB72_124:
	ds_read_b64 v[6:7], v86
.LBB72_125:
	v_mov_b32_e32 v20, 0
	ds_read2_b64 v[20:23], v20 offset0:2 offset1:11
	s_waitcnt lgkmcnt(0)
	v_fma_f64 v[22:23], v[4:5], v[22:23], v[6:7]
	v_cndmask_b32_e64 v7, v7, v23, s[2:3]
	v_cndmask_b32_e64 v6, v6, v22, s[2:3]
	v_mul_f64 v[6:7], v[6:7], v[20:21]
.LBB72_126:
	s_or_b64 exec, exec, s[18:19]
	v_cmp_gt_u32_e32 vcc, 3, v0
	ds_write_b64 v86, v[8:9]
	s_waitcnt lgkmcnt(0)
	; wave barrier
	s_and_saveexec_b64 s[18:19], vcc
	s_cbranch_execz .LBB72_134
; %bb.127:
	s_and_b64 vcc, exec, s[0:1]
	s_cbranch_vccnz .LBB72_129
; %bb.128:
	v_cmp_eq_u32_e32 vcc, 1, v0
	v_cndmask_b32_e32 v20, v3, v5, vcc
	v_cmp_eq_u32_e64 s[4:5], 2, v0
	v_cndmask_b32_e64 v20, v20, v7, s[4:5]
	v_cmp_eq_u32_e64 s[6:7], 3, v0
	v_cndmask_b32_e64 v20, v20, v9, s[6:7]
	;; [unrolled: 2-line block ×7, first 2 shown]
	v_cndmask_b32_e32 v20, v2, v4, vcc
	v_cndmask_b32_e64 v20, v20, v6, s[4:5]
	v_cndmask_b32_e64 v20, v20, v8, s[6:7]
	;; [unrolled: 1-line block ×3, first 2 shown]
	ds_read_b64 v[22:23], v86
	v_cndmask_b32_e64 v20, v20, v12, s[10:11]
	v_cndmask_b32_e64 v20, v20, v14, s[12:13]
	;; [unrolled: 1-line block ×4, first 2 shown]
	s_waitcnt lgkmcnt(0)
	v_mul_f64 v[20:21], v[20:21], v[22:23]
	s_cbranch_execz .LBB72_130
	s_branch .LBB72_131
.LBB72_129:
                                        ; implicit-def: $vgpr20_vgpr21
.LBB72_130:
	ds_read_b64 v[20:21], v86
.LBB72_131:
	v_cmp_ne_u32_e32 vcc, 2, v0
	s_and_saveexec_b64 s[20:21], vcc
	s_cbranch_execz .LBB72_133
; %bb.132:
	v_add_u32_e32 v22, 1, v0
	v_cmp_eq_u32_e32 vcc, 1, v22
	v_cndmask_b32_e32 v23, v3, v5, vcc
	v_cmp_eq_u32_e64 s[4:5], 2, v22
	v_cmp_eq_u32_e64 s[6:7], 3, v22
	;; [unrolled: 1-line block ×7, first 2 shown]
	v_cndmask_b32_e32 v22, v2, v4, vcc
	v_cndmask_b32_e64 v23, v23, v7, s[4:5]
	v_cndmask_b32_e64 v22, v22, v6, s[4:5]
	;; [unrolled: 1-line block ×6, first 2 shown]
	ds_read_b64 v[22:23], v86 offset:8
	v_cndmask_b32_e64 v9, v9, v13, s[10:11]
	v_cndmask_b32_e64 v8, v8, v12, s[10:11]
	;; [unrolled: 1-line block ×8, first 2 shown]
	v_mov_b32_e32 v24, 0
	ds_read_b64 v[24:25], v24 offset:96
	s_waitcnt lgkmcnt(1)
	v_fma_f64 v[8:9], v[8:9], v[22:23], v[20:21]
	s_waitcnt lgkmcnt(0)
	v_fma_f64 v[20:21], v[6:7], v[24:25], v[8:9]
	v_cndmask_b32_e64 v21, v9, v21, s[2:3]
	v_cndmask_b32_e64 v20, v8, v20, s[2:3]
.LBB72_133:
	s_or_b64 exec, exec, s[20:21]
	v_mov_b32_e32 v8, 0
	ds_read_b64 v[8:9], v8 offset:24
	s_waitcnt lgkmcnt(0)
	v_mul_f64 v[8:9], v[20:21], v[8:9]
.LBB72_134:
	s_or_b64 exec, exec, s[18:19]
	v_cmp_gt_u32_e32 vcc, 4, v0
	ds_write_b64 v86, v[10:11]
	s_waitcnt lgkmcnt(0)
	; wave barrier
	s_and_saveexec_b64 s[16:17], vcc
	s_cbranch_execz .LBB72_144
; %bb.135:
	s_and_b64 vcc, exec, s[0:1]
	s_cbranch_vccnz .LBB72_137
; %bb.136:
	v_cmp_eq_u32_e32 vcc, 1, v0
	v_cndmask_b32_e32 v20, v3, v5, vcc
	v_cmp_eq_u32_e64 s[2:3], 2, v0
	v_cndmask_b32_e64 v20, v20, v7, s[2:3]
	v_cmp_eq_u32_e64 s[4:5], 3, v0
	v_cndmask_b32_e64 v20, v20, v9, s[4:5]
	;; [unrolled: 2-line block ×7, first 2 shown]
	v_cndmask_b32_e32 v20, v2, v4, vcc
	v_cndmask_b32_e64 v20, v20, v6, s[2:3]
	v_cndmask_b32_e64 v20, v20, v8, s[4:5]
	;; [unrolled: 1-line block ×3, first 2 shown]
	ds_read_b64 v[22:23], v86
	v_cndmask_b32_e64 v20, v20, v12, s[8:9]
	v_cndmask_b32_e64 v20, v20, v14, s[10:11]
	;; [unrolled: 1-line block ×4, first 2 shown]
	s_waitcnt lgkmcnt(0)
	v_mul_f64 v[20:21], v[20:21], v[22:23]
	s_cbranch_execz .LBB72_138
	s_branch .LBB72_139
.LBB72_137:
                                        ; implicit-def: $vgpr20_vgpr21
.LBB72_138:
	ds_read_b64 v[20:21], v86
.LBB72_139:
	v_cmp_ne_u32_e32 vcc, 3, v0
	s_and_saveexec_b64 s[4:5], vcc
	s_cbranch_execz .LBB72_143
; %bb.140:
	v_mov_b32_e32 v22, 0x58
	v_lshl_add_u32 v24, v0, 3, v22
	v_mov_b32_e32 v23, v1
	s_mov_b64 s[6:7], 0
	v_mov_b32_e32 v22, v0
.LBB72_141:                             ; =>This Inner Loop Header: Depth=1
	v_add_co_u32_e32 v22, vcc, 1, v22
	v_addc_co_u32_e32 v23, vcc, 0, v23, vcc
	v_cmp_eq_u32_e32 vcc, 1, v22
	v_cndmask_b32_e32 v27, v3, v5, vcc
	v_cmp_eq_u32_e64 s[2:3], 2, v22
	v_cndmask_b32_e64 v27, v27, v7, s[2:3]
	v_cndmask_b32_e32 v28, v2, v4, vcc
	v_cmp_eq_u32_e32 vcc, 3, v22
	v_cndmask_b32_e32 v27, v27, v9, vcc
	v_cndmask_b32_e64 v28, v28, v6, s[2:3]
	v_cmp_eq_u32_e64 s[2:3], 4, v22
	v_cndmask_b32_e64 v27, v27, v11, s[2:3]
	v_cndmask_b32_e32 v28, v28, v8, vcc
	v_cmp_eq_u32_e32 vcc, 5, v22
	ds_read_b64 v[25:26], v24
	v_cndmask_b32_e32 v27, v27, v13, vcc
	v_cndmask_b32_e64 v28, v28, v10, s[2:3]
	v_cmp_eq_u32_e64 s[2:3], 6, v22
	v_cndmask_b32_e64 v27, v27, v15, s[2:3]
	v_cndmask_b32_e32 v28, v28, v12, vcc
	v_cmp_eq_u32_e32 vcc, 7, v22
	v_cndmask_b32_e32 v27, v27, v17, vcc
	v_cndmask_b32_e64 v29, v28, v14, s[2:3]
	v_cmp_eq_u32_e64 s[2:3], 8, v22
	v_cndmask_b32_e64 v28, v27, v19, s[2:3]
	v_cndmask_b32_e32 v27, v29, v16, vcc
	v_cndmask_b32_e64 v27, v27, v18, s[2:3]
	s_waitcnt lgkmcnt(0)
	v_fma_f64 v[20:21], v[27:28], v[25:26], v[20:21]
	v_cmp_lt_u32_e32 vcc, 2, v22
	s_or_b64 s[6:7], vcc, s[6:7]
	v_add_u32_e32 v24, 8, v24
	s_andn2_b64 exec, exec, s[6:7]
	s_cbranch_execnz .LBB72_141
; %bb.142:
	s_or_b64 exec, exec, s[6:7]
.LBB72_143:
	s_or_b64 exec, exec, s[4:5]
	v_mov_b32_e32 v10, 0
	ds_read_b64 v[10:11], v10 offset:32
	s_waitcnt lgkmcnt(0)
	v_mul_f64 v[10:11], v[20:21], v[10:11]
.LBB72_144:
	s_or_b64 exec, exec, s[16:17]
	v_cmp_gt_u32_e32 vcc, 5, v0
	ds_write_b64 v86, v[12:13]
	s_waitcnt lgkmcnt(0)
	; wave barrier
	s_and_saveexec_b64 s[16:17], vcc
	s_cbranch_execz .LBB72_154
; %bb.145:
	s_and_b64 vcc, exec, s[0:1]
	s_cbranch_vccnz .LBB72_147
; %bb.146:
	v_cmp_eq_u32_e32 vcc, 1, v0
	v_cndmask_b32_e32 v20, v3, v5, vcc
	v_cmp_eq_u32_e64 s[2:3], 2, v0
	v_cndmask_b32_e64 v20, v20, v7, s[2:3]
	v_cmp_eq_u32_e64 s[4:5], 3, v0
	v_cndmask_b32_e64 v20, v20, v9, s[4:5]
	v_cmp_eq_u32_e64 s[6:7], 4, v0
	v_cndmask_b32_e64 v20, v20, v11, s[6:7]
	v_cmp_eq_u32_e64 s[8:9], 5, v0
	v_cndmask_b32_e64 v20, v20, v13, s[8:9]
	v_cmp_eq_u32_e64 s[10:11], 6, v0
	v_cndmask_b32_e64 v20, v20, v15, s[10:11]
	v_cmp_eq_u32_e64 s[12:13], 7, v0
	v_cndmask_b32_e64 v20, v20, v17, s[12:13]
	v_cmp_eq_u32_e64 s[14:15], 8, v0
	v_cndmask_b32_e64 v21, v20, v19, s[14:15]
	v_cndmask_b32_e32 v20, v2, v4, vcc
	v_cndmask_b32_e64 v20, v20, v6, s[2:3]
	v_cndmask_b32_e64 v20, v20, v8, s[4:5]
	;; [unrolled: 1-line block ×3, first 2 shown]
	ds_read_b64 v[22:23], v86
	v_cndmask_b32_e64 v20, v20, v12, s[8:9]
	v_cndmask_b32_e64 v20, v20, v14, s[10:11]
	;; [unrolled: 1-line block ×4, first 2 shown]
	s_waitcnt lgkmcnt(0)
	v_mul_f64 v[20:21], v[20:21], v[22:23]
	s_cbranch_execz .LBB72_148
	s_branch .LBB72_149
.LBB72_147:
                                        ; implicit-def: $vgpr20_vgpr21
.LBB72_148:
	ds_read_b64 v[20:21], v86
.LBB72_149:
	v_cmp_ne_u32_e32 vcc, 4, v0
	s_and_saveexec_b64 s[4:5], vcc
	s_cbranch_execz .LBB72_153
; %bb.150:
	v_mov_b32_e32 v22, 0x58
	v_lshl_add_u32 v24, v0, 3, v22
	v_mov_b32_e32 v23, v1
	s_mov_b64 s[6:7], 0
	v_mov_b32_e32 v22, v0
.LBB72_151:                             ; =>This Inner Loop Header: Depth=1
	v_add_co_u32_e32 v22, vcc, 1, v22
	v_addc_co_u32_e32 v23, vcc, 0, v23, vcc
	v_cmp_eq_u32_e32 vcc, 1, v22
	v_cndmask_b32_e32 v27, v3, v5, vcc
	v_cmp_eq_u32_e64 s[2:3], 2, v22
	v_cndmask_b32_e64 v27, v27, v7, s[2:3]
	v_cndmask_b32_e32 v28, v2, v4, vcc
	v_cmp_eq_u32_e32 vcc, 3, v22
	v_cndmask_b32_e32 v27, v27, v9, vcc
	v_cndmask_b32_e64 v28, v28, v6, s[2:3]
	v_cmp_eq_u32_e64 s[2:3], 4, v22
	v_cndmask_b32_e64 v27, v27, v11, s[2:3]
	v_cndmask_b32_e32 v28, v28, v8, vcc
	v_cmp_eq_u32_e32 vcc, 5, v22
	ds_read_b64 v[25:26], v24
	v_cndmask_b32_e32 v27, v27, v13, vcc
	v_cndmask_b32_e64 v28, v28, v10, s[2:3]
	v_cmp_eq_u32_e64 s[2:3], 6, v22
	v_cndmask_b32_e64 v27, v27, v15, s[2:3]
	v_cndmask_b32_e32 v28, v28, v12, vcc
	v_cmp_eq_u32_e32 vcc, 7, v22
	v_cndmask_b32_e32 v27, v27, v17, vcc
	v_cndmask_b32_e64 v29, v28, v14, s[2:3]
	v_cmp_eq_u32_e64 s[2:3], 8, v22
	v_cndmask_b32_e64 v28, v27, v19, s[2:3]
	v_cndmask_b32_e32 v27, v29, v16, vcc
	v_cndmask_b32_e64 v27, v27, v18, s[2:3]
	s_waitcnt lgkmcnt(0)
	v_fma_f64 v[20:21], v[27:28], v[25:26], v[20:21]
	v_cmp_lt_u32_e32 vcc, 3, v22
	s_or_b64 s[6:7], vcc, s[6:7]
	v_add_u32_e32 v24, 8, v24
	s_andn2_b64 exec, exec, s[6:7]
	s_cbranch_execnz .LBB72_151
; %bb.152:
	s_or_b64 exec, exec, s[6:7]
.LBB72_153:
	s_or_b64 exec, exec, s[4:5]
	v_mov_b32_e32 v12, 0
	ds_read_b64 v[12:13], v12 offset:40
	s_waitcnt lgkmcnt(0)
	v_mul_f64 v[12:13], v[20:21], v[12:13]
.LBB72_154:
	s_or_b64 exec, exec, s[16:17]
	v_cmp_gt_u32_e32 vcc, 6, v0
	ds_write_b64 v86, v[14:15]
	s_waitcnt lgkmcnt(0)
	; wave barrier
	s_and_saveexec_b64 s[16:17], vcc
	s_cbranch_execz .LBB72_164
; %bb.155:
	s_and_b64 vcc, exec, s[0:1]
	s_cbranch_vccnz .LBB72_157
; %bb.156:
	v_cmp_eq_u32_e32 vcc, 1, v0
	v_cndmask_b32_e32 v20, v3, v5, vcc
	v_cmp_eq_u32_e64 s[2:3], 2, v0
	v_cndmask_b32_e64 v20, v20, v7, s[2:3]
	v_cmp_eq_u32_e64 s[4:5], 3, v0
	v_cndmask_b32_e64 v20, v20, v9, s[4:5]
	;; [unrolled: 2-line block ×7, first 2 shown]
	v_cndmask_b32_e32 v20, v2, v4, vcc
	v_cndmask_b32_e64 v20, v20, v6, s[2:3]
	v_cndmask_b32_e64 v20, v20, v8, s[4:5]
	;; [unrolled: 1-line block ×3, first 2 shown]
	ds_read_b64 v[22:23], v86
	v_cndmask_b32_e64 v20, v20, v12, s[8:9]
	v_cndmask_b32_e64 v20, v20, v14, s[10:11]
	;; [unrolled: 1-line block ×4, first 2 shown]
	s_waitcnt lgkmcnt(0)
	v_mul_f64 v[20:21], v[20:21], v[22:23]
	s_cbranch_execz .LBB72_158
	s_branch .LBB72_159
.LBB72_157:
                                        ; implicit-def: $vgpr20_vgpr21
.LBB72_158:
	ds_read_b64 v[20:21], v86
.LBB72_159:
	v_cmp_ne_u32_e32 vcc, 5, v0
	s_and_saveexec_b64 s[4:5], vcc
	s_cbranch_execz .LBB72_163
; %bb.160:
	v_mov_b32_e32 v22, 0x58
	v_lshl_add_u32 v24, v0, 3, v22
	v_mov_b32_e32 v23, v1
	s_mov_b64 s[6:7], 0
	v_mov_b32_e32 v22, v0
.LBB72_161:                             ; =>This Inner Loop Header: Depth=1
	v_add_co_u32_e32 v22, vcc, 1, v22
	v_addc_co_u32_e32 v23, vcc, 0, v23, vcc
	v_cmp_eq_u32_e32 vcc, 1, v22
	v_cndmask_b32_e32 v27, v3, v5, vcc
	v_cmp_eq_u32_e64 s[2:3], 2, v22
	v_cndmask_b32_e64 v27, v27, v7, s[2:3]
	v_cndmask_b32_e32 v28, v2, v4, vcc
	v_cmp_eq_u32_e32 vcc, 3, v22
	v_cndmask_b32_e32 v27, v27, v9, vcc
	v_cndmask_b32_e64 v28, v28, v6, s[2:3]
	v_cmp_eq_u32_e64 s[2:3], 4, v22
	v_cndmask_b32_e64 v27, v27, v11, s[2:3]
	v_cndmask_b32_e32 v28, v28, v8, vcc
	v_cmp_eq_u32_e32 vcc, 5, v22
	ds_read_b64 v[25:26], v24
	v_cndmask_b32_e32 v27, v27, v13, vcc
	v_cndmask_b32_e64 v28, v28, v10, s[2:3]
	v_cmp_eq_u32_e64 s[2:3], 6, v22
	v_cndmask_b32_e64 v27, v27, v15, s[2:3]
	v_cndmask_b32_e32 v28, v28, v12, vcc
	v_cmp_eq_u32_e32 vcc, 7, v22
	v_cndmask_b32_e32 v27, v27, v17, vcc
	v_cndmask_b32_e64 v29, v28, v14, s[2:3]
	v_cmp_eq_u32_e64 s[2:3], 8, v22
	v_cndmask_b32_e64 v28, v27, v19, s[2:3]
	v_cndmask_b32_e32 v27, v29, v16, vcc
	v_cndmask_b32_e64 v27, v27, v18, s[2:3]
	s_waitcnt lgkmcnt(0)
	v_fma_f64 v[20:21], v[27:28], v[25:26], v[20:21]
	v_cmp_lt_u32_e32 vcc, 4, v22
	s_or_b64 s[6:7], vcc, s[6:7]
	v_add_u32_e32 v24, 8, v24
	s_andn2_b64 exec, exec, s[6:7]
	s_cbranch_execnz .LBB72_161
; %bb.162:
	s_or_b64 exec, exec, s[6:7]
.LBB72_163:
	s_or_b64 exec, exec, s[4:5]
	v_mov_b32_e32 v14, 0
	ds_read_b64 v[14:15], v14 offset:48
	s_waitcnt lgkmcnt(0)
	v_mul_f64 v[14:15], v[20:21], v[14:15]
.LBB72_164:
	s_or_b64 exec, exec, s[16:17]
	v_cmp_gt_u32_e64 s[2:3], 7, v0
	ds_write_b64 v86, v[16:17]
	s_waitcnt lgkmcnt(0)
	; wave barrier
	s_and_saveexec_b64 s[18:19], s[2:3]
	s_cbranch_execz .LBB72_174
; %bb.165:
	s_and_b64 vcc, exec, s[0:1]
	s_cbranch_vccnz .LBB72_167
; %bb.166:
	v_cmp_eq_u32_e32 vcc, 1, v0
	v_cndmask_b32_e32 v20, v3, v5, vcc
	v_cmp_eq_u32_e64 s[4:5], 2, v0
	v_cndmask_b32_e64 v20, v20, v7, s[4:5]
	v_cmp_eq_u32_e64 s[6:7], 3, v0
	v_cndmask_b32_e64 v20, v20, v9, s[6:7]
	;; [unrolled: 2-line block ×7, first 2 shown]
	v_cndmask_b32_e32 v20, v2, v4, vcc
	v_cndmask_b32_e64 v20, v20, v6, s[4:5]
	v_cndmask_b32_e64 v20, v20, v8, s[6:7]
	;; [unrolled: 1-line block ×3, first 2 shown]
	ds_read_b64 v[22:23], v86
	v_cndmask_b32_e64 v20, v20, v12, s[10:11]
	v_cndmask_b32_e64 v20, v20, v14, s[12:13]
	;; [unrolled: 1-line block ×4, first 2 shown]
	s_waitcnt lgkmcnt(0)
	v_mul_f64 v[20:21], v[20:21], v[22:23]
	s_cbranch_execz .LBB72_168
	s_branch .LBB72_169
.LBB72_167:
                                        ; implicit-def: $vgpr20_vgpr21
.LBB72_168:
	ds_read_b64 v[20:21], v86
.LBB72_169:
	v_cmp_ne_u32_e32 vcc, 6, v0
	s_and_saveexec_b64 s[6:7], vcc
	s_cbranch_execz .LBB72_173
; %bb.170:
	v_mov_b32_e32 v22, 0x58
	v_lshl_add_u32 v24, v0, 3, v22
	v_mov_b32_e32 v23, v1
	s_mov_b64 s[8:9], 0
	v_mov_b32_e32 v22, v0
.LBB72_171:                             ; =>This Inner Loop Header: Depth=1
	v_add_co_u32_e32 v22, vcc, 1, v22
	v_addc_co_u32_e32 v23, vcc, 0, v23, vcc
	v_cmp_eq_u32_e32 vcc, 1, v22
	v_cndmask_b32_e32 v27, v3, v5, vcc
	v_cmp_eq_u32_e64 s[4:5], 2, v22
	v_cndmask_b32_e64 v27, v27, v7, s[4:5]
	v_cndmask_b32_e32 v28, v2, v4, vcc
	v_cmp_eq_u32_e32 vcc, 3, v22
	v_cndmask_b32_e32 v27, v27, v9, vcc
	v_cndmask_b32_e64 v28, v28, v6, s[4:5]
	v_cmp_eq_u32_e64 s[4:5], 4, v22
	v_cndmask_b32_e64 v27, v27, v11, s[4:5]
	v_cndmask_b32_e32 v28, v28, v8, vcc
	v_cmp_eq_u32_e32 vcc, 5, v22
	ds_read_b64 v[25:26], v24
	v_cndmask_b32_e32 v27, v27, v13, vcc
	v_cndmask_b32_e64 v28, v28, v10, s[4:5]
	v_cmp_eq_u32_e64 s[4:5], 6, v22
	v_cndmask_b32_e64 v27, v27, v15, s[4:5]
	v_cndmask_b32_e32 v28, v28, v12, vcc
	v_cmp_eq_u32_e32 vcc, 7, v22
	v_cndmask_b32_e32 v27, v27, v17, vcc
	v_cndmask_b32_e64 v29, v28, v14, s[4:5]
	v_cmp_eq_u32_e64 s[4:5], 8, v22
	v_cndmask_b32_e64 v28, v27, v19, s[4:5]
	v_cndmask_b32_e32 v27, v29, v16, vcc
	v_cndmask_b32_e64 v27, v27, v18, s[4:5]
	s_waitcnt lgkmcnt(0)
	v_fma_f64 v[20:21], v[27:28], v[25:26], v[20:21]
	v_cmp_lt_u32_e32 vcc, 5, v22
	s_or_b64 s[8:9], vcc, s[8:9]
	v_add_u32_e32 v24, 8, v24
	s_andn2_b64 exec, exec, s[8:9]
	s_cbranch_execnz .LBB72_171
; %bb.172:
	s_or_b64 exec, exec, s[8:9]
.LBB72_173:
	s_or_b64 exec, exec, s[6:7]
	v_mov_b32_e32 v16, 0
	ds_read_b64 v[16:17], v16 offset:56
	s_waitcnt lgkmcnt(0)
	v_mul_f64 v[16:17], v[20:21], v[16:17]
.LBB72_174:
	s_or_b64 exec, exec, s[18:19]
	v_cmp_ne_u32_e32 vcc, 8, v0
	ds_write_b64 v86, v[18:19]
	s_waitcnt lgkmcnt(0)
	; wave barrier
	s_and_saveexec_b64 s[16:17], vcc
	s_cbranch_execz .LBB72_184
; %bb.175:
	s_and_b64 vcc, exec, s[0:1]
	s_cbranch_vccnz .LBB72_177
; %bb.176:
	v_cmp_eq_u32_e32 vcc, 1, v0
	v_cndmask_b32_e32 v20, v3, v5, vcc
	v_cmp_eq_u32_e64 s[0:1], 2, v0
	v_cndmask_b32_e64 v20, v20, v7, s[0:1]
	v_cmp_eq_u32_e64 s[4:5], 3, v0
	v_cndmask_b32_e64 v20, v20, v9, s[4:5]
	v_cmp_eq_u32_e64 s[6:7], 4, v0
	v_cndmask_b32_e64 v20, v20, v11, s[6:7]
	v_cmp_eq_u32_e64 s[8:9], 5, v0
	v_cndmask_b32_e64 v20, v20, v13, s[8:9]
	v_cmp_eq_u32_e64 s[10:11], 6, v0
	v_cndmask_b32_e64 v20, v20, v15, s[10:11]
	v_cmp_eq_u32_e64 s[12:13], 7, v0
	v_cndmask_b32_e64 v20, v20, v17, s[12:13]
	v_cmp_eq_u32_e64 s[14:15], 8, v0
	v_cndmask_b32_e64 v21, v20, v19, s[14:15]
	v_cndmask_b32_e32 v20, v2, v4, vcc
	v_cndmask_b32_e64 v20, v20, v6, s[0:1]
	v_cndmask_b32_e64 v20, v20, v8, s[4:5]
	;; [unrolled: 1-line block ×3, first 2 shown]
	ds_read_b64 v[22:23], v86
	v_cndmask_b32_e64 v20, v20, v12, s[8:9]
	v_cndmask_b32_e64 v20, v20, v14, s[10:11]
	v_cndmask_b32_e64 v20, v20, v16, s[12:13]
	v_cndmask_b32_e64 v20, v20, v18, s[14:15]
	s_waitcnt lgkmcnt(0)
	v_mul_f64 v[20:21], v[20:21], v[22:23]
	s_cbranch_execz .LBB72_178
	s_branch .LBB72_179
.LBB72_177:
                                        ; implicit-def: $vgpr20_vgpr21
.LBB72_178:
	ds_read_b64 v[20:21], v86
.LBB72_179:
	s_and_saveexec_b64 s[4:5], s[2:3]
	s_cbranch_execz .LBB72_183
; %bb.180:
	v_mov_b32_e32 v22, 0x58
	v_lshl_add_u32 v22, v0, 3, v22
	s_mov_b64 s[2:3], 0
.LBB72_181:                             ; =>This Inner Loop Header: Depth=1
	v_add_co_u32_e32 v0, vcc, 1, v0
	v_addc_co_u32_e32 v1, vcc, 0, v1, vcc
	v_cmp_eq_u32_e32 vcc, 1, v0
	v_cndmask_b32_e32 v25, v3, v5, vcc
	v_cmp_eq_u32_e64 s[0:1], 2, v0
	v_cndmask_b32_e64 v25, v25, v7, s[0:1]
	v_cndmask_b32_e32 v26, v2, v4, vcc
	v_cmp_eq_u32_e32 vcc, 3, v0
	v_cndmask_b32_e32 v25, v25, v9, vcc
	v_cndmask_b32_e64 v26, v26, v6, s[0:1]
	v_cmp_eq_u32_e64 s[0:1], 4, v0
	v_cndmask_b32_e64 v25, v25, v11, s[0:1]
	v_cndmask_b32_e32 v26, v26, v8, vcc
	v_cmp_eq_u32_e32 vcc, 5, v0
	ds_read_b64 v[23:24], v22
	v_cndmask_b32_e32 v25, v25, v13, vcc
	v_cndmask_b32_e64 v26, v26, v10, s[0:1]
	v_cmp_eq_u32_e64 s[0:1], 6, v0
	v_cndmask_b32_e64 v25, v25, v15, s[0:1]
	v_cndmask_b32_e32 v26, v26, v12, vcc
	v_cmp_eq_u32_e32 vcc, 7, v0
	v_cndmask_b32_e32 v25, v25, v17, vcc
	v_cndmask_b32_e64 v27, v26, v14, s[0:1]
	v_cmp_eq_u32_e64 s[0:1], 8, v0
	v_cndmask_b32_e64 v26, v25, v19, s[0:1]
	v_cndmask_b32_e32 v25, v27, v16, vcc
	v_cndmask_b32_e64 v25, v25, v18, s[0:1]
	s_waitcnt lgkmcnt(0)
	v_fma_f64 v[20:21], v[25:26], v[23:24], v[20:21]
	v_cmp_lt_u32_e32 vcc, 6, v0
	s_or_b64 s[2:3], vcc, s[2:3]
	v_add_u32_e32 v22, 8, v22
	s_andn2_b64 exec, exec, s[2:3]
	s_cbranch_execnz .LBB72_181
; %bb.182:
	s_or_b64 exec, exec, s[2:3]
.LBB72_183:
	s_or_b64 exec, exec, s[4:5]
	v_mov_b32_e32 v0, 0
	ds_read_b64 v[0:1], v0 offset:64
	s_waitcnt lgkmcnt(0)
	v_mul_f64 v[18:19], v[20:21], v[0:1]
.LBB72_184:
	s_or_b64 exec, exec, s[16:17]
	v_mov_b32_e32 v65, v33
	v_mov_b32_e32 v64, v32
	;; [unrolled: 1-line block ×32, first 2 shown]
.LBB72_185:
	flat_store_dwordx2 v[80:81], v[34:35]
	flat_store_dwordx2 v[82:83], v[36:37]
	;; [unrolled: 1-line block ×9, first 2 shown]
.LBB72_186:
	s_endpgm
	.section	.rodata,"a",@progbits
	.p2align	6, 0x0
	.amdhsa_kernel _ZN9rocsolver6v33100L18trti2_kernel_smallILi9EdPKPdEEv13rocblas_fill_17rocblas_diagonal_T1_iil
		.amdhsa_group_segment_fixed_size 152
		.amdhsa_private_segment_fixed_size 0
		.amdhsa_kernarg_size 32
		.amdhsa_user_sgpr_count 6
		.amdhsa_user_sgpr_private_segment_buffer 1
		.amdhsa_user_sgpr_dispatch_ptr 0
		.amdhsa_user_sgpr_queue_ptr 0
		.amdhsa_user_sgpr_kernarg_segment_ptr 1
		.amdhsa_user_sgpr_dispatch_id 0
		.amdhsa_user_sgpr_flat_scratch_init 0
		.amdhsa_user_sgpr_private_segment_size 0
		.amdhsa_uses_dynamic_stack 0
		.amdhsa_system_sgpr_private_segment_wavefront_offset 0
		.amdhsa_system_sgpr_workgroup_id_x 1
		.amdhsa_system_sgpr_workgroup_id_y 0
		.amdhsa_system_sgpr_workgroup_id_z 0
		.amdhsa_system_sgpr_workgroup_info 0
		.amdhsa_system_vgpr_workitem_id 0
		.amdhsa_next_free_vgpr 106
		.amdhsa_next_free_sgpr 22
		.amdhsa_reserve_vcc 1
		.amdhsa_reserve_flat_scratch 0
		.amdhsa_float_round_mode_32 0
		.amdhsa_float_round_mode_16_64 0
		.amdhsa_float_denorm_mode_32 3
		.amdhsa_float_denorm_mode_16_64 3
		.amdhsa_dx10_clamp 1
		.amdhsa_ieee_mode 1
		.amdhsa_fp16_overflow 0
		.amdhsa_exception_fp_ieee_invalid_op 0
		.amdhsa_exception_fp_denorm_src 0
		.amdhsa_exception_fp_ieee_div_zero 0
		.amdhsa_exception_fp_ieee_overflow 0
		.amdhsa_exception_fp_ieee_underflow 0
		.amdhsa_exception_fp_ieee_inexact 0
		.amdhsa_exception_int_div_zero 0
	.end_amdhsa_kernel
	.section	.text._ZN9rocsolver6v33100L18trti2_kernel_smallILi9EdPKPdEEv13rocblas_fill_17rocblas_diagonal_T1_iil,"axG",@progbits,_ZN9rocsolver6v33100L18trti2_kernel_smallILi9EdPKPdEEv13rocblas_fill_17rocblas_diagonal_T1_iil,comdat
.Lfunc_end72:
	.size	_ZN9rocsolver6v33100L18trti2_kernel_smallILi9EdPKPdEEv13rocblas_fill_17rocblas_diagonal_T1_iil, .Lfunc_end72-_ZN9rocsolver6v33100L18trti2_kernel_smallILi9EdPKPdEEv13rocblas_fill_17rocblas_diagonal_T1_iil
                                        ; -- End function
	.set _ZN9rocsolver6v33100L18trti2_kernel_smallILi9EdPKPdEEv13rocblas_fill_17rocblas_diagonal_T1_iil.num_vgpr, 106
	.set _ZN9rocsolver6v33100L18trti2_kernel_smallILi9EdPKPdEEv13rocblas_fill_17rocblas_diagonal_T1_iil.num_agpr, 0
	.set _ZN9rocsolver6v33100L18trti2_kernel_smallILi9EdPKPdEEv13rocblas_fill_17rocblas_diagonal_T1_iil.numbered_sgpr, 22
	.set _ZN9rocsolver6v33100L18trti2_kernel_smallILi9EdPKPdEEv13rocblas_fill_17rocblas_diagonal_T1_iil.num_named_barrier, 0
	.set _ZN9rocsolver6v33100L18trti2_kernel_smallILi9EdPKPdEEv13rocblas_fill_17rocblas_diagonal_T1_iil.private_seg_size, 0
	.set _ZN9rocsolver6v33100L18trti2_kernel_smallILi9EdPKPdEEv13rocblas_fill_17rocblas_diagonal_T1_iil.uses_vcc, 1
	.set _ZN9rocsolver6v33100L18trti2_kernel_smallILi9EdPKPdEEv13rocblas_fill_17rocblas_diagonal_T1_iil.uses_flat_scratch, 0
	.set _ZN9rocsolver6v33100L18trti2_kernel_smallILi9EdPKPdEEv13rocblas_fill_17rocblas_diagonal_T1_iil.has_dyn_sized_stack, 0
	.set _ZN9rocsolver6v33100L18trti2_kernel_smallILi9EdPKPdEEv13rocblas_fill_17rocblas_diagonal_T1_iil.has_recursion, 0
	.set _ZN9rocsolver6v33100L18trti2_kernel_smallILi9EdPKPdEEv13rocblas_fill_17rocblas_diagonal_T1_iil.has_indirect_call, 0
	.section	.AMDGPU.csdata,"",@progbits
; Kernel info:
; codeLenInByte = 11484
; TotalNumSgprs: 26
; NumVgprs: 106
; ScratchSize: 0
; MemoryBound: 0
; FloatMode: 240
; IeeeMode: 1
; LDSByteSize: 152 bytes/workgroup (compile time only)
; SGPRBlocks: 3
; VGPRBlocks: 26
; NumSGPRsForWavesPerEU: 26
; NumVGPRsForWavesPerEU: 106
; Occupancy: 2
; WaveLimiterHint : 1
; COMPUTE_PGM_RSRC2:SCRATCH_EN: 0
; COMPUTE_PGM_RSRC2:USER_SGPR: 6
; COMPUTE_PGM_RSRC2:TRAP_HANDLER: 0
; COMPUTE_PGM_RSRC2:TGID_X_EN: 1
; COMPUTE_PGM_RSRC2:TGID_Y_EN: 0
; COMPUTE_PGM_RSRC2:TGID_Z_EN: 0
; COMPUTE_PGM_RSRC2:TIDIG_COMP_CNT: 0
	.section	.text._ZN9rocsolver6v33100L18trti2_kernel_smallILi10EdPKPdEEv13rocblas_fill_17rocblas_diagonal_T1_iil,"axG",@progbits,_ZN9rocsolver6v33100L18trti2_kernel_smallILi10EdPKPdEEv13rocblas_fill_17rocblas_diagonal_T1_iil,comdat
	.globl	_ZN9rocsolver6v33100L18trti2_kernel_smallILi10EdPKPdEEv13rocblas_fill_17rocblas_diagonal_T1_iil ; -- Begin function _ZN9rocsolver6v33100L18trti2_kernel_smallILi10EdPKPdEEv13rocblas_fill_17rocblas_diagonal_T1_iil
	.p2align	8
	.type	_ZN9rocsolver6v33100L18trti2_kernel_smallILi10EdPKPdEEv13rocblas_fill_17rocblas_diagonal_T1_iil,@function
_ZN9rocsolver6v33100L18trti2_kernel_smallILi10EdPKPdEEv13rocblas_fill_17rocblas_diagonal_T1_iil: ; @_ZN9rocsolver6v33100L18trti2_kernel_smallILi10EdPKPdEEv13rocblas_fill_17rocblas_diagonal_T1_iil
; %bb.0:
	v_cmp_gt_u32_e32 vcc, 10, v0
	s_and_saveexec_b64 s[0:1], vcc
	s_cbranch_execz .LBB73_224
; %bb.1:
	s_load_dwordx2 s[0:1], s[4:5], 0x10
	s_load_dwordx4 s[20:23], s[4:5], 0x0
	s_ashr_i32 s7, s6, 31
	s_lshl_b64 s[2:3], s[6:7], 3
	v_lshlrev_b32_e32 v36, 3, v0
	s_waitcnt lgkmcnt(0)
	s_ashr_i32 s5, s0, 31
	s_add_u32 s2, s22, s2
	s_addc_u32 s3, s23, s3
	s_load_dwordx2 s[2:3], s[2:3], 0x0
	s_mov_b32 s4, s0
	s_lshl_b64 s[4:5], s[4:5], 3
	v_mov_b32_e32 v34, 0
	v_mov_b32_e32 v35, 0xbff00000
	s_waitcnt lgkmcnt(0)
	s_add_u32 s0, s2, s4
	s_addc_u32 s2, s3, s5
	s_add_i32 s3, s1, s1
	v_add_u32_e32 v1, s3, v0
	v_ashrrev_i32_e32 v2, 31, v1
	v_lshlrev_b64 v[2:3], 3, v[1:2]
	v_add_u32_e32 v1, s1, v1
	v_mov_b32_e32 v4, s2
	v_add_co_u32_e32 v66, vcc, s0, v2
	v_ashrrev_i32_e32 v2, 31, v1
	v_addc_co_u32_e32 v67, vcc, v4, v3, vcc
	v_lshlrev_b64 v[2:3], 3, v[1:2]
	v_add_u32_e32 v1, s1, v1
	v_add_co_u32_e32 v68, vcc, s0, v2
	v_ashrrev_i32_e32 v2, 31, v1
	v_addc_co_u32_e32 v69, vcc, v4, v3, vcc
	v_lshlrev_b64 v[2:3], 3, v[1:2]
	v_add_u32_e32 v1, s1, v1
	;; [unrolled: 5-line block ×6, first 2 shown]
	v_add_co_u32_e32 v78, vcc, s0, v2
	v_ashrrev_i32_e32 v2, 31, v1
	v_lshlrev_b64 v[1:2], 3, v[1:2]
	v_addc_co_u32_e32 v79, vcc, v4, v3, vcc
	v_mov_b32_e32 v3, s2
	v_add_co_u32_e32 v80, vcc, s0, v1
	v_addc_co_u32_e32 v81, vcc, v3, v2, vcc
	v_mov_b32_e32 v1, s2
	v_add_co_u32_e32 v82, vcc, s0, v36
	s_ashr_i32 s3, s1, 31
	s_mov_b32 s2, s1
	v_addc_co_u32_e32 v83, vcc, 0, v1, vcc
	s_lshl_b64 s[0:1], s[2:3], 3
	v_mov_b32_e32 v1, s1
	v_add_co_u32_e32 v84, vcc, s0, v82
	v_addc_co_u32_e32 v85, vcc, v83, v1, vcc
	flat_load_dwordx2 v[2:3], v[82:83]
	flat_load_dwordx2 v[4:5], v[84:85]
	;; [unrolled: 1-line block ×10, first 2 shown]
	s_cmpk_lg_i32 s21, 0x84
	s_cselect_b64 s[22:23], -1, 0
	s_cmpk_eq_i32 s21, 0x84
	v_mov_b32_e32 v1, 0
	s_cbranch_scc1 .LBB73_3
; %bb.2:
	v_cmp_eq_u32_e64 s[0:1], 1, v0
	s_waitcnt vmcnt(0) lgkmcnt(0)
	v_cndmask_b32_e64 v22, v3, v5, s[0:1]
	v_cmp_eq_u32_e64 s[2:3], 2, v0
	v_cndmask_b32_e64 v22, v22, v7, s[2:3]
	v_cmp_eq_u32_e64 s[4:5], 3, v0
	;; [unrolled: 2-line block ×8, first 2 shown]
	v_cndmask_b32_e64 v23, v22, v21, s[16:17]
	v_cndmask_b32_e64 v22, v2, v4, s[0:1]
	;; [unrolled: 1-line block ×10, first 2 shown]
	v_div_scale_f64 v[24:25], s[18:19], v[22:23], v[22:23], 1.0
	v_rcp_f64_e32 v[26:27], v[24:25]
	v_fma_f64 v[28:29], -v[24:25], v[26:27], 1.0
	v_fma_f64 v[26:27], v[26:27], v[28:29], v[26:27]
	v_div_scale_f64 v[28:29], vcc, 1.0, v[22:23], 1.0
	v_fma_f64 v[30:31], -v[24:25], v[26:27], 1.0
	v_fma_f64 v[26:27], v[26:27], v[30:31], v[26:27]
	v_mul_f64 v[30:31], v[28:29], v[26:27]
	v_fma_f64 v[24:25], -v[24:25], v[30:31], v[28:29]
	v_div_fmas_f64 v[24:25], v[24:25], v[26:27], v[30:31]
	v_cmp_eq_u32_e32 vcc, 0, v0
	v_div_fixup_f64 v[34:35], v[24:25], v[22:23], 1.0
	v_cndmask_b32_e64 v21, v21, v35, s[16:17]
	v_cndmask_b32_e64 v20, v20, v34, s[16:17]
	;; [unrolled: 1-line block ×18, first 2 shown]
	v_cndmask_b32_e32 v3, v3, v35, vcc
	v_cndmask_b32_e32 v2, v2, v34, vcc
	v_xor_b32_e32 v35, 0x80000000, v35
.LBB73_3:
	s_cmpk_eq_i32 s20, 0x79
	v_add_u32_e32 v88, 0x50, v36
	ds_write_b64 v36, v[34:35]
	s_cbranch_scc1 .LBB73_7
; %bb.4:
	s_waitcnt vmcnt(0) lgkmcnt(0)
	v_mov_b32_e32 v65, v33
	v_mov_b32_e32 v64, v32
	;; [unrolled: 1-line block ×32, first 2 shown]
	v_cmp_eq_u32_e64 s[0:1], 9, v0
	ds_write_b64 v88, v[18:19]
	s_waitcnt lgkmcnt(0)
	; wave barrier
	s_and_saveexec_b64 s[18:19], s[0:1]
	s_cbranch_execz .LBB73_11
; %bb.5:
	s_and_b64 vcc, exec, s[22:23]
	s_cbranch_vccz .LBB73_8
; %bb.6:
	v_cmp_eq_u32_e32 vcc, 1, v0
	v_cndmask_b32_e32 v34, v3, v5, vcc
	v_cmp_eq_u32_e64 s[2:3], 2, v0
	v_cndmask_b32_e64 v34, v34, v7, s[2:3]
	v_cmp_eq_u32_e64 s[4:5], 3, v0
	v_cndmask_b32_e64 v34, v34, v9, s[4:5]
	;; [unrolled: 2-line block ×8, first 2 shown]
	v_cndmask_b32_e32 v34, v2, v4, vcc
	v_cndmask_b32_e64 v34, v34, v6, s[2:3]
	v_cndmask_b32_e64 v34, v34, v8, s[4:5]
	;; [unrolled: 1-line block ×4, first 2 shown]
	ds_read_b64 v[36:37], v88
	v_cndmask_b32_e64 v34, v34, v14, s[10:11]
	v_cndmask_b32_e64 v34, v34, v16, s[12:13]
	;; [unrolled: 1-line block ×4, first 2 shown]
	s_waitcnt lgkmcnt(0)
	v_mul_f64 v[38:39], v[34:35], v[36:37]
	s_cbranch_execz .LBB73_9
	s_branch .LBB73_10
.LBB73_7:
                                        ; implicit-def: $vgpr34_vgpr35_vgpr36_vgpr37_vgpr38_vgpr39_vgpr40_vgpr41_vgpr42_vgpr43_vgpr44_vgpr45_vgpr46_vgpr47_vgpr48_vgpr49_vgpr50_vgpr51_vgpr52_vgpr53_vgpr54_vgpr55_vgpr56_vgpr57_vgpr58_vgpr59_vgpr60_vgpr61_vgpr62_vgpr63_vgpr64_vgpr65
	s_cbranch_execnz .LBB73_130
	s_branch .LBB73_223
.LBB73_8:
                                        ; implicit-def: $vgpr38_vgpr39
.LBB73_9:
	ds_read_b64 v[38:39], v88
.LBB73_10:
	v_mov_b32_e32 v34, 0
	ds_read_b64 v[40:41], v34 offset:64
	v_mov_b32_e32 v34, v2
	v_mov_b32_e32 v35, v3
	;; [unrolled: 1-line block ×4, first 2 shown]
	s_waitcnt lgkmcnt(0)
	v_mul_f64 v[50:51], v[38:39], v[40:41]
	v_mov_b32_e32 v38, v6
	v_mov_b32_e32 v39, v7
	;; [unrolled: 1-line block ×14, first 2 shown]
.LBB73_11:
	s_or_b64 exec, exec, s[18:19]
	v_cmp_lt_u32_e64 s[2:3], 7, v0
	ds_write_b64 v88, v[48:49]
	s_waitcnt lgkmcnt(0)
	; wave barrier
	s_and_saveexec_b64 s[20:21], s[2:3]
	s_cbranch_execz .LBB73_17
; %bb.12:
	s_andn2_b64 vcc, exec, s[22:23]
	s_cbranch_vccnz .LBB73_14
; %bb.13:
	v_cmp_eq_u32_e32 vcc, 1, v0
	v_cndmask_b32_e32 v54, v35, v37, vcc
	v_cmp_eq_u32_e64 s[4:5], 2, v0
	v_cndmask_b32_e64 v54, v54, v39, s[4:5]
	v_cmp_eq_u32_e64 s[6:7], 3, v0
	v_cndmask_b32_e64 v54, v54, v41, s[6:7]
	;; [unrolled: 2-line block ×6, first 2 shown]
	v_cndmask_b32_e32 v54, v34, v36, vcc
	v_cndmask_b32_e64 v54, v54, v38, s[4:5]
	v_cndmask_b32_e64 v54, v54, v40, s[6:7]
	;; [unrolled: 1-line block ×4, first 2 shown]
	ds_read_b64 v[54:55], v88
	v_cndmask_b32_e64 v56, v56, v46, s[12:13]
	v_cmp_eq_u32_e64 s[16:17], 8, v0
	v_cndmask_b32_e64 v48, v56, v48, s[14:15]
	v_cndmask_b32_e64 v49, v49, v51, s[16:17]
	v_cmp_eq_u32_e64 s[18:19], 9, v0
	v_cndmask_b32_e64 v48, v48, v50, s[16:17]
	v_cndmask_b32_e64 v49, v49, v53, s[18:19]
	v_cndmask_b32_e64 v48, v48, v52, s[18:19]
	s_waitcnt lgkmcnt(0)
	v_mul_f64 v[48:49], v[48:49], v[54:55]
	s_cbranch_execz .LBB73_15
	s_branch .LBB73_16
.LBB73_14:
                                        ; implicit-def: $vgpr48_vgpr49
.LBB73_15:
	ds_read_b64 v[48:49], v88
.LBB73_16:
	v_mov_b32_e32 v54, 0
	ds_read2_b64 v[54:57], v54 offset0:7 offset1:18
	s_waitcnt lgkmcnt(0)
	v_fma_f64 v[56:57], v[50:51], v[56:57], v[48:49]
	v_cndmask_b32_e64 v49, v49, v57, s[0:1]
	v_cndmask_b32_e64 v48, v48, v56, s[0:1]
	v_mul_f64 v[48:49], v[48:49], v[54:55]
.LBB73_17:
	s_or_b64 exec, exec, s[20:21]
	v_cmp_lt_u32_e64 s[0:1], 6, v0
	ds_write_b64 v88, v[46:47]
	s_waitcnt lgkmcnt(0)
	; wave barrier
	s_and_saveexec_b64 s[20:21], s[0:1]
	s_cbranch_execz .LBB73_33
; %bb.18:
	s_andn2_b64 vcc, exec, s[22:23]
	s_cbranch_vccnz .LBB73_20
; %bb.19:
	v_cmp_eq_u32_e32 vcc, 1, v0
	v_cndmask_b32_e32 v86, v35, v37, vcc
	v_cmp_eq_u32_e64 s[4:5], 2, v0
	v_cndmask_b32_e64 v86, v86, v39, s[4:5]
	v_cmp_eq_u32_e64 s[6:7], 3, v0
	v_cndmask_b32_e64 v86, v86, v41, s[6:7]
	;; [unrolled: 2-line block ×8, first 2 shown]
	v_cndmask_b32_e32 v86, v34, v36, vcc
	v_cndmask_b32_e64 v86, v86, v38, s[4:5]
	v_cndmask_b32_e64 v86, v86, v40, s[6:7]
	;; [unrolled: 1-line block ×4, first 2 shown]
	ds_read_b64 v[89:90], v88
	v_cndmask_b32_e64 v86, v86, v46, s[12:13]
	v_cndmask_b32_e64 v86, v86, v48, s[14:15]
	;; [unrolled: 1-line block ×4, first 2 shown]
	s_waitcnt lgkmcnt(0)
	v_mul_f64 v[86:87], v[86:87], v[89:90]
	s_cbranch_execz .LBB73_21
	s_branch .LBB73_22
.LBB73_20:
                                        ; implicit-def: $vgpr86_vgpr87
.LBB73_21:
	ds_read_b64 v[86:87], v88
.LBB73_22:
	s_and_saveexec_b64 s[4:5], s[2:3]
	s_cbranch_execz .LBB73_32
; %bb.23:
	v_add_u32_e32 v90, -8, v0
	v_add_u32_e32 v89, -7, v0
	v_cmp_lt_u32_e32 vcc, 6, v90
	v_mov_b32_e32 v90, 7
	s_and_saveexec_b64 s[2:3], vcc
	s_cbranch_execz .LBB73_27
; %bb.24:
	v_and_b32_e32 v90, -8, v89
	v_sub_u32_e32 v91, 0, v90
	s_mov_b64 s[6:7], 14
	s_movk_i32 s10, 0x88
	s_mov_b64 s[8:9], 0
.LBB73_25:                              ; =>This Inner Loop Header: Depth=1
	s_lshl_b32 s11, s6, 1
	s_add_i32 s12, s11, -13
	v_mov_b32_e32 v90, s10
	s_add_i32 s13, s11, -14
	s_set_gpr_idx_on s12, gpr_idx(SRC0)
	v_mov_b32_e32 v97, v34
	s_set_gpr_idx_off
	s_set_gpr_idx_on s13, gpr_idx(SRC0)
	v_mov_b32_e32 v96, v34
	s_set_gpr_idx_off
	ds_read2_b64 v[92:95], v90 offset1:1
	s_add_i32 s12, s11, -11
	s_add_i32 s13, s11, -12
	;; [unrolled: 1-line block ×4, first 2 shown]
	s_waitcnt lgkmcnt(0)
	v_fma_f64 v[86:87], v[96:97], v[92:93], v[86:87]
	s_set_gpr_idx_on s12, gpr_idx(SRC0)
	v_mov_b32_e32 v93, v34
	s_set_gpr_idx_off
	s_set_gpr_idx_on s13, gpr_idx(SRC0)
	v_mov_b32_e32 v92, v34
	s_set_gpr_idx_off
	s_add_i32 s12, s11, -7
	s_add_i32 s13, s11, -8
	v_fma_f64 v[86:87], v[92:93], v[94:95], v[86:87]
	s_set_gpr_idx_on s14, gpr_idx(SRC0)
	v_mov_b32_e32 v97, v34
	s_set_gpr_idx_off
	s_set_gpr_idx_on s15, gpr_idx(SRC0)
	v_mov_b32_e32 v96, v34
	s_set_gpr_idx_off
	ds_read2_b64 v[92:95], v90 offset0:2 offset1:3
	s_add_i32 s14, s11, -5
	s_add_i32 s15, s11, -6
	s_waitcnt lgkmcnt(0)
	v_fma_f64 v[86:87], v[96:97], v[92:93], v[86:87]
	s_set_gpr_idx_on s12, gpr_idx(SRC0)
	v_mov_b32_e32 v93, v34
	s_set_gpr_idx_off
	s_set_gpr_idx_on s13, gpr_idx(SRC0)
	v_mov_b32_e32 v92, v34
	s_set_gpr_idx_off
	s_add_i32 s12, s11, -3
	s_add_i32 s13, s11, -4
	v_fma_f64 v[86:87], v[92:93], v[94:95], v[86:87]
	s_set_gpr_idx_on s14, gpr_idx(SRC0)
	v_mov_b32_e32 v97, v34
	s_set_gpr_idx_off
	s_set_gpr_idx_on s15, gpr_idx(SRC0)
	v_mov_b32_e32 v96, v34
	s_set_gpr_idx_off
	ds_read2_b64 v[92:95], v90 offset0:4 offset1:5
	s_add_i32 s14, s11, -1
	s_add_i32 s15, s11, -2
	s_add_u32 s6, s6, 8
	s_addc_u32 s7, s7, 0
	s_waitcnt lgkmcnt(0)
	v_fma_f64 v[86:87], v[96:97], v[92:93], v[86:87]
	s_set_gpr_idx_on s12, gpr_idx(SRC0)
	v_mov_b32_e32 v93, v34
	s_set_gpr_idx_off
	s_set_gpr_idx_on s13, gpr_idx(SRC0)
	v_mov_b32_e32 v92, v34
	s_set_gpr_idx_off
	s_add_i32 s10, s10, 64
	v_fma_f64 v[86:87], v[92:93], v[94:95], v[86:87]
	s_set_gpr_idx_on s14, gpr_idx(SRC0)
	v_mov_b32_e32 v97, v34
	s_set_gpr_idx_off
	s_set_gpr_idx_on s15, gpr_idx(SRC0)
	v_mov_b32_e32 v96, v34
	s_set_gpr_idx_off
	ds_read2_b64 v[92:95], v90 offset0:6 offset1:7
	v_add_u32_e32 v90, s6, v91
	v_cmp_eq_u32_e32 vcc, 14, v90
	s_waitcnt lgkmcnt(0)
	v_fma_f64 v[86:87], v[96:97], v[92:93], v[86:87]
	s_set_gpr_idx_on s11, gpr_idx(SRC0)
	v_mov_b32_e32 v93, v35
	v_mov_b32_e32 v92, v34
	s_set_gpr_idx_off
	s_add_i32 s11, s6, -7
	s_or_b64 s[8:9], vcc, s[8:9]
	v_mov_b32_e32 v90, s11
	v_fma_f64 v[86:87], v[92:93], v[94:95], v[86:87]
	s_andn2_b64 exec, exec, s[8:9]
	s_cbranch_execnz .LBB73_25
; %bb.26:
	s_or_b64 exec, exec, s[8:9]
.LBB73_27:
	s_or_b64 exec, exec, s[2:3]
	v_and_b32_e32 v54, 7, v89
	v_cmp_ne_u32_e32 vcc, 0, v54
	s_and_saveexec_b64 s[6:7], vcc
	s_cbranch_execz .LBB73_31
; %bb.28:
	v_mov_b32_e32 v55, 0x50
	v_lshl_add_u32 v55, v90, 3, v55
	v_mov_b32_e32 v56, 0
	s_mov_b64 s[8:9], 0
.LBB73_29:                              ; =>This Inner Loop Header: Depth=1
	v_cmp_eq_u32_e32 vcc, 1, v90
	v_cndmask_b32_e32 v59, v35, v37, vcc
	v_cmp_eq_u32_e64 s[2:3], 2, v90
	v_cndmask_b32_e64 v59, v59, v39, s[2:3]
	v_cndmask_b32_e32 v60, v34, v36, vcc
	v_cmp_eq_u32_e32 vcc, 3, v90
	v_cndmask_b32_e32 v59, v59, v41, vcc
	v_cndmask_b32_e64 v60, v60, v38, s[2:3]
	v_cmp_eq_u32_e64 s[2:3], 4, v90
	v_cndmask_b32_e64 v59, v59, v43, s[2:3]
	v_cndmask_b32_e32 v60, v60, v40, vcc
	v_cmp_eq_u32_e32 vcc, 5, v90
	v_cndmask_b32_e32 v59, v59, v45, vcc
	v_cndmask_b32_e64 v60, v60, v42, s[2:3]
	v_cmp_eq_u32_e64 s[2:3], 6, v90
	ds_read_b64 v[57:58], v55
	v_cndmask_b32_e64 v59, v59, v47, s[2:3]
	v_cndmask_b32_e32 v60, v60, v44, vcc
	v_cmp_eq_u32_e32 vcc, 7, v90
	v_cndmask_b32_e32 v59, v59, v49, vcc
	v_cndmask_b32_e64 v60, v60, v46, s[2:3]
	v_cmp_eq_u32_e64 s[2:3], 8, v90
	v_cndmask_b32_e64 v59, v59, v51, s[2:3]
	v_cndmask_b32_e32 v61, v60, v48, vcc
	v_cmp_eq_u32_e32 vcc, 9, v90
	v_cndmask_b32_e32 v60, v59, v53, vcc
	v_cndmask_b32_e64 v59, v61, v50, s[2:3]
	v_cndmask_b32_e32 v59, v59, v52, vcc
	s_waitcnt lgkmcnt(0)
	v_fma_f64 v[86:87], v[59:60], v[57:58], v[86:87]
	v_add_u32_e32 v54, -1, v54
	v_cmp_eq_u32_e32 vcc, 0, v54
	s_or_b64 s[8:9], vcc, s[8:9]
	v_add_co_u32_e32 v90, vcc, 1, v90
	v_add_u32_e32 v55, 8, v55
	v_addc_co_u32_e32 v56, vcc, 0, v56, vcc
	s_andn2_b64 exec, exec, s[8:9]
	s_cbranch_execnz .LBB73_29
; %bb.30:
	s_or_b64 exec, exec, s[8:9]
.LBB73_31:
	s_or_b64 exec, exec, s[6:7]
.LBB73_32:
	s_or_b64 exec, exec, s[4:5]
	v_mov_b32_e32 v46, 0
	ds_read_b64 v[46:47], v46 offset:48
	s_waitcnt lgkmcnt(0)
	v_mul_f64 v[46:47], v[86:87], v[46:47]
.LBB73_33:
	s_or_b64 exec, exec, s[20:21]
	v_cmp_lt_u32_e64 s[2:3], 5, v0
	ds_write_b64 v88, v[44:45]
	s_waitcnt lgkmcnt(0)
	; wave barrier
	s_and_saveexec_b64 s[20:21], s[2:3]
	s_cbranch_execz .LBB73_49
; %bb.34:
	s_andn2_b64 vcc, exec, s[22:23]
	s_cbranch_vccnz .LBB73_36
; %bb.35:
	v_cmp_eq_u32_e32 vcc, 1, v0
	v_cndmask_b32_e32 v86, v35, v37, vcc
	v_cmp_eq_u32_e64 s[4:5], 2, v0
	v_cndmask_b32_e64 v86, v86, v39, s[4:5]
	v_cmp_eq_u32_e64 s[6:7], 3, v0
	v_cndmask_b32_e64 v86, v86, v41, s[6:7]
	;; [unrolled: 2-line block ×8, first 2 shown]
	v_cndmask_b32_e32 v86, v34, v36, vcc
	v_cndmask_b32_e64 v86, v86, v38, s[4:5]
	v_cndmask_b32_e64 v86, v86, v40, s[6:7]
	;; [unrolled: 1-line block ×4, first 2 shown]
	ds_read_b64 v[89:90], v88
	v_cndmask_b32_e64 v86, v86, v46, s[12:13]
	v_cndmask_b32_e64 v86, v86, v48, s[14:15]
	;; [unrolled: 1-line block ×4, first 2 shown]
	s_waitcnt lgkmcnt(0)
	v_mul_f64 v[86:87], v[86:87], v[89:90]
	s_cbranch_execz .LBB73_37
	s_branch .LBB73_38
.LBB73_36:
                                        ; implicit-def: $vgpr86_vgpr87
.LBB73_37:
	ds_read_b64 v[86:87], v88
.LBB73_38:
	s_and_saveexec_b64 s[4:5], s[0:1]
	s_cbranch_execz .LBB73_48
; %bb.39:
	v_add_u32_e32 v91, -7, v0
	v_add_u32_e32 v89, -6, v0
	v_mov_b32_e32 v90, 6
	v_cmp_lt_u32_e32 vcc, 6, v91
	s_and_saveexec_b64 s[0:1], vcc
	s_cbranch_execz .LBB73_43
; %bb.40:
	v_and_b32_e32 v90, -8, v89
	v_sub_u32_e32 v91, 0, v90
	s_mov_b64 s[6:7], 13
	s_movk_i32 s10, 0x80
	s_mov_b64 s[8:9], 0
.LBB73_41:                              ; =>This Inner Loop Header: Depth=1
	s_lshl_b32 s11, s6, 1
	s_add_i32 s12, s11, -13
	v_mov_b32_e32 v90, s10
	s_add_i32 s13, s11, -14
	s_set_gpr_idx_on s12, gpr_idx(SRC0)
	v_mov_b32_e32 v101, v34
	s_set_gpr_idx_off
	s_set_gpr_idx_on s13, gpr_idx(SRC0)
	v_mov_b32_e32 v100, v34
	s_set_gpr_idx_off
	ds_read_b128 v[92:95], v90
	ds_read_b128 v[96:99], v90 offset:16
	s_add_i32 s12, s11, -11
	s_add_i32 s13, s11, -12
	s_waitcnt lgkmcnt(1)
	v_fma_f64 v[86:87], v[100:101], v[92:93], v[86:87]
	ds_read_b128 v[100:103], v90 offset:32
	ds_read_b128 v[104:107], v90 offset:48
	s_set_gpr_idx_on s12, gpr_idx(SRC0)
	v_mov_b32_e32 v93, v34
	s_set_gpr_idx_off
	s_set_gpr_idx_on s13, gpr_idx(SRC0)
	v_mov_b32_e32 v92, v34
	s_set_gpr_idx_off
	s_add_i32 s12, s11, -9
	s_add_i32 s13, s11, -10
	v_fma_f64 v[86:87], v[92:93], v[94:95], v[86:87]
	s_set_gpr_idx_on s12, gpr_idx(SRC0)
	v_mov_b32_e32 v93, v34
	s_set_gpr_idx_off
	s_set_gpr_idx_on s13, gpr_idx(SRC0)
	v_mov_b32_e32 v92, v34
	s_set_gpr_idx_off
	s_add_i32 s12, s11, -7
	s_add_i32 s13, s11, -8
	s_waitcnt lgkmcnt(2)
	v_fma_f64 v[86:87], v[92:93], v[96:97], v[86:87]
	s_set_gpr_idx_on s12, gpr_idx(SRC0)
	v_mov_b32_e32 v93, v34
	s_set_gpr_idx_off
	s_set_gpr_idx_on s13, gpr_idx(SRC0)
	v_mov_b32_e32 v92, v34
	s_set_gpr_idx_off
	s_add_i32 s12, s11, -5
	s_add_i32 s13, s11, -6
	v_fma_f64 v[86:87], v[92:93], v[98:99], v[86:87]
	s_set_gpr_idx_on s12, gpr_idx(SRC0)
	v_mov_b32_e32 v93, v34
	s_set_gpr_idx_off
	s_set_gpr_idx_on s13, gpr_idx(SRC0)
	v_mov_b32_e32 v92, v34
	s_set_gpr_idx_off
	s_add_i32 s12, s11, -3
	s_add_i32 s13, s11, -4
	s_waitcnt lgkmcnt(1)
	v_fma_f64 v[86:87], v[92:93], v[100:101], v[86:87]
	s_set_gpr_idx_on s12, gpr_idx(SRC0)
	v_mov_b32_e32 v93, v34
	s_set_gpr_idx_off
	s_set_gpr_idx_on s13, gpr_idx(SRC0)
	v_mov_b32_e32 v92, v34
	s_set_gpr_idx_off
	s_add_i32 s12, s11, -1
	s_add_i32 s13, s11, -2
	s_add_u32 s6, s6, 8
	v_add_u32_e32 v90, s6, v91
	s_addc_u32 s7, s7, 0
	v_fma_f64 v[86:87], v[92:93], v[102:103], v[86:87]
	s_set_gpr_idx_on s12, gpr_idx(SRC0)
	v_mov_b32_e32 v93, v34
	s_set_gpr_idx_off
	s_set_gpr_idx_on s13, gpr_idx(SRC0)
	v_mov_b32_e32 v92, v34
	s_set_gpr_idx_off
	s_add_i32 s10, s10, 64
	v_cmp_eq_u32_e32 vcc, 13, v90
	s_waitcnt lgkmcnt(0)
	v_fma_f64 v[86:87], v[92:93], v[104:105], v[86:87]
	s_set_gpr_idx_on s11, gpr_idx(SRC0)
	v_mov_b32_e32 v93, v35
	v_mov_b32_e32 v92, v34
	s_set_gpr_idx_off
	s_add_i32 s11, s6, -7
	s_or_b64 s[8:9], vcc, s[8:9]
	v_mov_b32_e32 v90, s11
	v_fma_f64 v[86:87], v[92:93], v[106:107], v[86:87]
	s_andn2_b64 exec, exec, s[8:9]
	s_cbranch_execnz .LBB73_41
; %bb.42:
	s_or_b64 exec, exec, s[8:9]
.LBB73_43:
	s_or_b64 exec, exec, s[0:1]
	v_and_b32_e32 v54, 7, v89
	v_cmp_ne_u32_e32 vcc, 0, v54
	s_and_saveexec_b64 s[6:7], vcc
	s_cbranch_execz .LBB73_47
; %bb.44:
	v_mov_b32_e32 v55, 0x50
	v_lshl_add_u32 v55, v90, 3, v55
	v_mov_b32_e32 v56, 0
	s_mov_b64 s[8:9], 0
.LBB73_45:                              ; =>This Inner Loop Header: Depth=1
	v_cmp_eq_u32_e32 vcc, 1, v90
	v_cndmask_b32_e32 v59, v35, v37, vcc
	v_cmp_eq_u32_e64 s[0:1], 2, v90
	v_cndmask_b32_e64 v59, v59, v39, s[0:1]
	v_cndmask_b32_e32 v60, v34, v36, vcc
	v_cmp_eq_u32_e32 vcc, 3, v90
	v_cndmask_b32_e32 v59, v59, v41, vcc
	v_cndmask_b32_e64 v60, v60, v38, s[0:1]
	v_cmp_eq_u32_e64 s[0:1], 4, v90
	v_cndmask_b32_e64 v59, v59, v43, s[0:1]
	v_cndmask_b32_e32 v60, v60, v40, vcc
	v_cmp_eq_u32_e32 vcc, 5, v90
	v_cndmask_b32_e32 v59, v59, v45, vcc
	v_cndmask_b32_e64 v60, v60, v42, s[0:1]
	v_cmp_eq_u32_e64 s[0:1], 6, v90
	ds_read_b64 v[57:58], v55
	v_cndmask_b32_e64 v59, v59, v47, s[0:1]
	v_cndmask_b32_e32 v60, v60, v44, vcc
	v_cmp_eq_u32_e32 vcc, 7, v90
	v_cndmask_b32_e32 v59, v59, v49, vcc
	v_cndmask_b32_e64 v60, v60, v46, s[0:1]
	v_cmp_eq_u32_e64 s[0:1], 8, v90
	v_cndmask_b32_e64 v59, v59, v51, s[0:1]
	v_cndmask_b32_e32 v61, v60, v48, vcc
	v_cmp_eq_u32_e32 vcc, 9, v90
	v_cndmask_b32_e32 v60, v59, v53, vcc
	v_cndmask_b32_e64 v59, v61, v50, s[0:1]
	v_cndmask_b32_e32 v59, v59, v52, vcc
	s_waitcnt lgkmcnt(0)
	v_fma_f64 v[86:87], v[59:60], v[57:58], v[86:87]
	v_add_u32_e32 v54, -1, v54
	v_cmp_eq_u32_e32 vcc, 0, v54
	s_or_b64 s[8:9], vcc, s[8:9]
	v_add_co_u32_e32 v90, vcc, 1, v90
	v_add_u32_e32 v55, 8, v55
	v_addc_co_u32_e32 v56, vcc, 0, v56, vcc
	s_andn2_b64 exec, exec, s[8:9]
	s_cbranch_execnz .LBB73_45
; %bb.46:
	s_or_b64 exec, exec, s[8:9]
.LBB73_47:
	s_or_b64 exec, exec, s[6:7]
.LBB73_48:
	s_or_b64 exec, exec, s[4:5]
	v_mov_b32_e32 v44, 0
	ds_read_b64 v[44:45], v44 offset:40
	s_waitcnt lgkmcnt(0)
	v_mul_f64 v[44:45], v[86:87], v[44:45]
.LBB73_49:
	s_or_b64 exec, exec, s[20:21]
	v_cmp_lt_u32_e64 s[0:1], 4, v0
	ds_write_b64 v88, v[42:43]
	s_waitcnt lgkmcnt(0)
	; wave barrier
	s_and_saveexec_b64 s[20:21], s[0:1]
	s_cbranch_execz .LBB73_65
; %bb.50:
	s_andn2_b64 vcc, exec, s[22:23]
	s_cbranch_vccnz .LBB73_52
; %bb.51:
	v_cmp_eq_u32_e32 vcc, 1, v0
	v_cndmask_b32_e32 v86, v35, v37, vcc
	v_cmp_eq_u32_e64 s[4:5], 2, v0
	v_cndmask_b32_e64 v86, v86, v39, s[4:5]
	v_cmp_eq_u32_e64 s[6:7], 3, v0
	v_cndmask_b32_e64 v86, v86, v41, s[6:7]
	;; [unrolled: 2-line block ×8, first 2 shown]
	v_cndmask_b32_e32 v86, v34, v36, vcc
	v_cndmask_b32_e64 v86, v86, v38, s[4:5]
	v_cndmask_b32_e64 v86, v86, v40, s[6:7]
	;; [unrolled: 1-line block ×4, first 2 shown]
	ds_read_b64 v[89:90], v88
	v_cndmask_b32_e64 v86, v86, v46, s[12:13]
	v_cndmask_b32_e64 v86, v86, v48, s[14:15]
	;; [unrolled: 1-line block ×4, first 2 shown]
	s_waitcnt lgkmcnt(0)
	v_mul_f64 v[86:87], v[86:87], v[89:90]
	s_cbranch_execz .LBB73_53
	s_branch .LBB73_54
.LBB73_52:
                                        ; implicit-def: $vgpr86_vgpr87
.LBB73_53:
	ds_read_b64 v[86:87], v88
.LBB73_54:
	s_and_saveexec_b64 s[4:5], s[2:3]
	s_cbranch_execz .LBB73_64
; %bb.55:
	v_add_u32_e32 v90, -6, v0
	v_add_u32_e32 v89, -5, v0
	v_cmp_lt_u32_e32 vcc, 6, v90
	v_mov_b32_e32 v90, 5
	s_and_saveexec_b64 s[2:3], vcc
	s_cbranch_execz .LBB73_59
; %bb.56:
	v_and_b32_e32 v90, -8, v89
	v_sub_u32_e32 v91, 0, v90
	s_mov_b64 s[6:7], 12
	s_movk_i32 s10, 0x78
	s_mov_b64 s[8:9], 0
.LBB73_57:                              ; =>This Inner Loop Header: Depth=1
	s_lshl_b32 s11, s6, 1
	s_add_i32 s12, s11, -13
	v_mov_b32_e32 v90, s10
	s_add_i32 s13, s11, -14
	s_set_gpr_idx_on s12, gpr_idx(SRC0)
	v_mov_b32_e32 v97, v34
	s_set_gpr_idx_off
	s_set_gpr_idx_on s13, gpr_idx(SRC0)
	v_mov_b32_e32 v96, v34
	s_set_gpr_idx_off
	ds_read2_b64 v[92:95], v90 offset1:1
	s_add_i32 s12, s11, -11
	s_add_i32 s13, s11, -12
	;; [unrolled: 1-line block ×4, first 2 shown]
	s_waitcnt lgkmcnt(0)
	v_fma_f64 v[86:87], v[96:97], v[92:93], v[86:87]
	s_set_gpr_idx_on s12, gpr_idx(SRC0)
	v_mov_b32_e32 v93, v34
	s_set_gpr_idx_off
	s_set_gpr_idx_on s13, gpr_idx(SRC0)
	v_mov_b32_e32 v92, v34
	s_set_gpr_idx_off
	s_add_i32 s12, s11, -7
	s_add_i32 s13, s11, -8
	v_fma_f64 v[86:87], v[92:93], v[94:95], v[86:87]
	s_set_gpr_idx_on s14, gpr_idx(SRC0)
	v_mov_b32_e32 v97, v34
	s_set_gpr_idx_off
	s_set_gpr_idx_on s15, gpr_idx(SRC0)
	v_mov_b32_e32 v96, v34
	s_set_gpr_idx_off
	ds_read2_b64 v[92:95], v90 offset0:2 offset1:3
	s_add_i32 s14, s11, -5
	s_add_i32 s15, s11, -6
	s_waitcnt lgkmcnt(0)
	v_fma_f64 v[86:87], v[96:97], v[92:93], v[86:87]
	s_set_gpr_idx_on s12, gpr_idx(SRC0)
	v_mov_b32_e32 v93, v34
	s_set_gpr_idx_off
	s_set_gpr_idx_on s13, gpr_idx(SRC0)
	v_mov_b32_e32 v92, v34
	s_set_gpr_idx_off
	s_add_i32 s12, s11, -3
	s_add_i32 s13, s11, -4
	v_fma_f64 v[86:87], v[92:93], v[94:95], v[86:87]
	s_set_gpr_idx_on s14, gpr_idx(SRC0)
	v_mov_b32_e32 v97, v34
	s_set_gpr_idx_off
	s_set_gpr_idx_on s15, gpr_idx(SRC0)
	v_mov_b32_e32 v96, v34
	s_set_gpr_idx_off
	ds_read2_b64 v[92:95], v90 offset0:4 offset1:5
	s_add_i32 s14, s11, -1
	s_add_i32 s15, s11, -2
	s_add_u32 s6, s6, 8
	s_addc_u32 s7, s7, 0
	s_waitcnt lgkmcnt(0)
	v_fma_f64 v[86:87], v[96:97], v[92:93], v[86:87]
	s_set_gpr_idx_on s12, gpr_idx(SRC0)
	v_mov_b32_e32 v93, v34
	s_set_gpr_idx_off
	s_set_gpr_idx_on s13, gpr_idx(SRC0)
	v_mov_b32_e32 v92, v34
	s_set_gpr_idx_off
	s_add_i32 s10, s10, 64
	v_fma_f64 v[86:87], v[92:93], v[94:95], v[86:87]
	s_set_gpr_idx_on s14, gpr_idx(SRC0)
	v_mov_b32_e32 v97, v34
	s_set_gpr_idx_off
	s_set_gpr_idx_on s15, gpr_idx(SRC0)
	v_mov_b32_e32 v96, v34
	s_set_gpr_idx_off
	ds_read2_b64 v[92:95], v90 offset0:6 offset1:7
	v_add_u32_e32 v90, s6, v91
	v_cmp_eq_u32_e32 vcc, 12, v90
	s_waitcnt lgkmcnt(0)
	v_fma_f64 v[86:87], v[96:97], v[92:93], v[86:87]
	s_set_gpr_idx_on s11, gpr_idx(SRC0)
	v_mov_b32_e32 v93, v35
	v_mov_b32_e32 v92, v34
	s_set_gpr_idx_off
	s_add_i32 s11, s6, -7
	s_or_b64 s[8:9], vcc, s[8:9]
	v_mov_b32_e32 v90, s11
	v_fma_f64 v[86:87], v[92:93], v[94:95], v[86:87]
	s_andn2_b64 exec, exec, s[8:9]
	s_cbranch_execnz .LBB73_57
; %bb.58:
	s_or_b64 exec, exec, s[8:9]
.LBB73_59:
	s_or_b64 exec, exec, s[2:3]
	v_and_b32_e32 v54, 7, v89
	v_cmp_ne_u32_e32 vcc, 0, v54
	s_and_saveexec_b64 s[6:7], vcc
	s_cbranch_execz .LBB73_63
; %bb.60:
	v_mov_b32_e32 v55, 0x50
	v_lshl_add_u32 v55, v90, 3, v55
	v_mov_b32_e32 v56, 0
	s_mov_b64 s[8:9], 0
.LBB73_61:                              ; =>This Inner Loop Header: Depth=1
	v_cmp_eq_u32_e32 vcc, 1, v90
	v_cndmask_b32_e32 v59, v35, v37, vcc
	v_cmp_eq_u32_e64 s[2:3], 2, v90
	v_cndmask_b32_e64 v59, v59, v39, s[2:3]
	v_cndmask_b32_e32 v60, v34, v36, vcc
	v_cmp_eq_u32_e32 vcc, 3, v90
	v_cndmask_b32_e32 v59, v59, v41, vcc
	v_cndmask_b32_e64 v60, v60, v38, s[2:3]
	v_cmp_eq_u32_e64 s[2:3], 4, v90
	v_cndmask_b32_e64 v59, v59, v43, s[2:3]
	v_cndmask_b32_e32 v60, v60, v40, vcc
	v_cmp_eq_u32_e32 vcc, 5, v90
	v_cndmask_b32_e32 v59, v59, v45, vcc
	v_cndmask_b32_e64 v60, v60, v42, s[2:3]
	v_cmp_eq_u32_e64 s[2:3], 6, v90
	ds_read_b64 v[57:58], v55
	v_cndmask_b32_e64 v59, v59, v47, s[2:3]
	v_cndmask_b32_e32 v60, v60, v44, vcc
	v_cmp_eq_u32_e32 vcc, 7, v90
	v_cndmask_b32_e32 v59, v59, v49, vcc
	v_cndmask_b32_e64 v60, v60, v46, s[2:3]
	v_cmp_eq_u32_e64 s[2:3], 8, v90
	v_cndmask_b32_e64 v59, v59, v51, s[2:3]
	v_cndmask_b32_e32 v61, v60, v48, vcc
	v_cmp_eq_u32_e32 vcc, 9, v90
	v_cndmask_b32_e32 v60, v59, v53, vcc
	v_cndmask_b32_e64 v59, v61, v50, s[2:3]
	v_cndmask_b32_e32 v59, v59, v52, vcc
	s_waitcnt lgkmcnt(0)
	v_fma_f64 v[86:87], v[59:60], v[57:58], v[86:87]
	v_add_u32_e32 v54, -1, v54
	v_cmp_eq_u32_e32 vcc, 0, v54
	s_or_b64 s[8:9], vcc, s[8:9]
	v_add_co_u32_e32 v90, vcc, 1, v90
	v_add_u32_e32 v55, 8, v55
	v_addc_co_u32_e32 v56, vcc, 0, v56, vcc
	s_andn2_b64 exec, exec, s[8:9]
	s_cbranch_execnz .LBB73_61
; %bb.62:
	s_or_b64 exec, exec, s[8:9]
.LBB73_63:
	s_or_b64 exec, exec, s[6:7]
.LBB73_64:
	s_or_b64 exec, exec, s[4:5]
	v_mov_b32_e32 v42, 0
	ds_read_b64 v[42:43], v42 offset:32
	s_waitcnt lgkmcnt(0)
	v_mul_f64 v[42:43], v[86:87], v[42:43]
.LBB73_65:
	s_or_b64 exec, exec, s[20:21]
	v_cmp_lt_u32_e64 s[2:3], 3, v0
	ds_write_b64 v88, v[40:41]
	s_waitcnt lgkmcnt(0)
	; wave barrier
	s_and_saveexec_b64 s[20:21], s[2:3]
	s_cbranch_execz .LBB73_81
; %bb.66:
	s_andn2_b64 vcc, exec, s[22:23]
	s_cbranch_vccnz .LBB73_68
; %bb.67:
	v_cmp_eq_u32_e32 vcc, 1, v0
	v_cndmask_b32_e32 v86, v35, v37, vcc
	v_cmp_eq_u32_e64 s[4:5], 2, v0
	v_cndmask_b32_e64 v86, v86, v39, s[4:5]
	v_cmp_eq_u32_e64 s[6:7], 3, v0
	v_cndmask_b32_e64 v86, v86, v41, s[6:7]
	;; [unrolled: 2-line block ×8, first 2 shown]
	v_cndmask_b32_e32 v86, v34, v36, vcc
	v_cndmask_b32_e64 v86, v86, v38, s[4:5]
	v_cndmask_b32_e64 v86, v86, v40, s[6:7]
	;; [unrolled: 1-line block ×4, first 2 shown]
	ds_read_b64 v[89:90], v88
	v_cndmask_b32_e64 v86, v86, v46, s[12:13]
	v_cndmask_b32_e64 v86, v86, v48, s[14:15]
	;; [unrolled: 1-line block ×4, first 2 shown]
	s_waitcnt lgkmcnt(0)
	v_mul_f64 v[86:87], v[86:87], v[89:90]
	s_cbranch_execz .LBB73_69
	s_branch .LBB73_70
.LBB73_68:
                                        ; implicit-def: $vgpr86_vgpr87
.LBB73_69:
	ds_read_b64 v[86:87], v88
.LBB73_70:
	s_and_saveexec_b64 s[4:5], s[0:1]
	s_cbranch_execz .LBB73_80
; %bb.71:
	v_add_u32_e32 v90, -5, v0
	v_add_u32_e32 v89, -4, v0
	v_cmp_lt_u32_e32 vcc, 6, v90
	v_mov_b32_e32 v90, 4
	s_and_saveexec_b64 s[0:1], vcc
	s_cbranch_execz .LBB73_75
; %bb.72:
	v_and_b32_e32 v90, -8, v89
	v_sub_u32_e32 v91, 0, v90
	s_mov_b64 s[6:7], 5
	s_movk_i32 s10, 0x70
	s_mov_b64 s[8:9], 0
.LBB73_73:                              ; =>This Inner Loop Header: Depth=1
	s_lshl_b32 s11, s6, 1
	s_add_i32 s12, s11, -1
	v_mov_b32_e32 v90, s10
	s_add_i32 s13, s11, -2
	s_set_gpr_idx_on s12, gpr_idx(SRC0)
	v_mov_b32_e32 v101, v34
	s_set_gpr_idx_off
	s_set_gpr_idx_on s13, gpr_idx(SRC0)
	v_mov_b32_e32 v100, v34
	s_set_gpr_idx_off
	ds_read_b128 v[92:95], v90
	ds_read_b128 v[96:99], v90 offset:16
	s_add_i32 s12, s11, 3
	s_add_i32 s13, s11, 2
	s_waitcnt lgkmcnt(1)
	v_fma_f64 v[86:87], v[100:101], v[92:93], v[86:87]
	ds_read_b128 v[100:103], v90 offset:32
	ds_read_b128 v[104:107], v90 offset:48
	s_set_gpr_idx_on s11, gpr_idx(SRC0)
	v_mov_b32_e32 v93, v35
	v_mov_b32_e32 v92, v34
	s_set_gpr_idx_off
	v_fma_f64 v[86:87], v[92:93], v[94:95], v[86:87]
	s_set_gpr_idx_on s12, gpr_idx(SRC0)
	v_mov_b32_e32 v93, v34
	s_set_gpr_idx_off
	s_set_gpr_idx_on s13, gpr_idx(SRC0)
	v_mov_b32_e32 v92, v34
	s_set_gpr_idx_off
	s_add_i32 s12, s11, 5
	s_add_i32 s13, s11, 4
	s_waitcnt lgkmcnt(2)
	v_fma_f64 v[86:87], v[92:93], v[96:97], v[86:87]
	s_set_gpr_idx_on s12, gpr_idx(SRC0)
	v_mov_b32_e32 v93, v34
	s_set_gpr_idx_off
	s_set_gpr_idx_on s13, gpr_idx(SRC0)
	v_mov_b32_e32 v92, v34
	s_set_gpr_idx_off
	s_add_i32 s12, s11, 7
	s_add_i32 s13, s11, 6
	v_fma_f64 v[86:87], v[92:93], v[98:99], v[86:87]
	s_set_gpr_idx_on s12, gpr_idx(SRC0)
	v_mov_b32_e32 v93, v34
	s_set_gpr_idx_off
	s_set_gpr_idx_on s13, gpr_idx(SRC0)
	v_mov_b32_e32 v92, v34
	s_set_gpr_idx_off
	s_add_i32 s12, s11, 9
	s_add_i32 s13, s11, 8
	s_waitcnt lgkmcnt(1)
	v_fma_f64 v[86:87], v[92:93], v[100:101], v[86:87]
	s_set_gpr_idx_on s12, gpr_idx(SRC0)
	v_mov_b32_e32 v93, v34
	s_set_gpr_idx_off
	s_set_gpr_idx_on s13, gpr_idx(SRC0)
	v_mov_b32_e32 v92, v34
	s_set_gpr_idx_off
	s_add_i32 s12, s11, 11
	s_add_i32 s13, s11, 10
	v_fma_f64 v[86:87], v[92:93], v[102:103], v[86:87]
	s_set_gpr_idx_on s12, gpr_idx(SRC0)
	v_mov_b32_e32 v93, v34
	s_set_gpr_idx_off
	s_set_gpr_idx_on s13, gpr_idx(SRC0)
	v_mov_b32_e32 v92, v34
	s_set_gpr_idx_off
	s_add_i32 s12, s11, 13
	s_add_i32 s11, s11, 12
	s_add_u32 s6, s6, 8
	v_add_u32_e32 v90, s6, v91
	s_addc_u32 s7, s7, 0
	s_waitcnt lgkmcnt(0)
	v_fma_f64 v[86:87], v[92:93], v[104:105], v[86:87]
	s_set_gpr_idx_on s12, gpr_idx(SRC0)
	v_mov_b32_e32 v93, v34
	s_set_gpr_idx_off
	s_set_gpr_idx_on s11, gpr_idx(SRC0)
	v_mov_b32_e32 v92, v34
	s_set_gpr_idx_off
	s_add_i32 s10, s10, 64
	s_add_i32 s11, s6, -1
	v_cmp_eq_u32_e32 vcc, 5, v90
	s_or_b64 s[8:9], vcc, s[8:9]
	v_mov_b32_e32 v90, s11
	v_fma_f64 v[86:87], v[92:93], v[106:107], v[86:87]
	s_andn2_b64 exec, exec, s[8:9]
	s_cbranch_execnz .LBB73_73
; %bb.74:
	s_or_b64 exec, exec, s[8:9]
.LBB73_75:
	s_or_b64 exec, exec, s[0:1]
	v_and_b32_e32 v54, 7, v89
	v_cmp_ne_u32_e32 vcc, 0, v54
	s_and_saveexec_b64 s[6:7], vcc
	s_cbranch_execz .LBB73_79
; %bb.76:
	v_mov_b32_e32 v55, 0x50
	v_lshl_add_u32 v55, v90, 3, v55
	v_mov_b32_e32 v56, 0
	s_mov_b64 s[8:9], 0
.LBB73_77:                              ; =>This Inner Loop Header: Depth=1
	v_cmp_eq_u32_e32 vcc, 1, v90
	v_cndmask_b32_e32 v59, v35, v37, vcc
	v_cmp_eq_u32_e64 s[0:1], 2, v90
	v_cndmask_b32_e64 v59, v59, v39, s[0:1]
	v_cndmask_b32_e32 v60, v34, v36, vcc
	v_cmp_eq_u32_e32 vcc, 3, v90
	v_cndmask_b32_e32 v59, v59, v41, vcc
	v_cndmask_b32_e64 v60, v60, v38, s[0:1]
	v_cmp_eq_u32_e64 s[0:1], 4, v90
	v_cndmask_b32_e64 v59, v59, v43, s[0:1]
	v_cndmask_b32_e32 v60, v60, v40, vcc
	v_cmp_eq_u32_e32 vcc, 5, v90
	v_cndmask_b32_e32 v59, v59, v45, vcc
	v_cndmask_b32_e64 v60, v60, v42, s[0:1]
	v_cmp_eq_u32_e64 s[0:1], 6, v90
	ds_read_b64 v[57:58], v55
	v_cndmask_b32_e64 v59, v59, v47, s[0:1]
	v_cndmask_b32_e32 v60, v60, v44, vcc
	v_cmp_eq_u32_e32 vcc, 7, v90
	v_cndmask_b32_e32 v59, v59, v49, vcc
	v_cndmask_b32_e64 v60, v60, v46, s[0:1]
	v_cmp_eq_u32_e64 s[0:1], 8, v90
	v_cndmask_b32_e64 v59, v59, v51, s[0:1]
	v_cndmask_b32_e32 v61, v60, v48, vcc
	v_cmp_eq_u32_e32 vcc, 9, v90
	v_cndmask_b32_e32 v60, v59, v53, vcc
	v_cndmask_b32_e64 v59, v61, v50, s[0:1]
	v_cndmask_b32_e32 v59, v59, v52, vcc
	s_waitcnt lgkmcnt(0)
	v_fma_f64 v[86:87], v[59:60], v[57:58], v[86:87]
	v_add_u32_e32 v54, -1, v54
	v_cmp_eq_u32_e32 vcc, 0, v54
	s_or_b64 s[8:9], vcc, s[8:9]
	v_add_co_u32_e32 v90, vcc, 1, v90
	v_add_u32_e32 v55, 8, v55
	v_addc_co_u32_e32 v56, vcc, 0, v56, vcc
	s_andn2_b64 exec, exec, s[8:9]
	s_cbranch_execnz .LBB73_77
; %bb.78:
	s_or_b64 exec, exec, s[8:9]
.LBB73_79:
	s_or_b64 exec, exec, s[6:7]
.LBB73_80:
	s_or_b64 exec, exec, s[4:5]
	v_mov_b32_e32 v40, 0
	ds_read_b64 v[40:41], v40 offset:24
	s_waitcnt lgkmcnt(0)
	v_mul_f64 v[40:41], v[86:87], v[40:41]
.LBB73_81:
	s_or_b64 exec, exec, s[20:21]
	v_cmp_lt_u32_e64 s[0:1], 2, v0
	ds_write_b64 v88, v[38:39]
	s_waitcnt lgkmcnt(0)
	; wave barrier
	s_and_saveexec_b64 s[20:21], s[0:1]
	s_cbranch_execz .LBB73_97
; %bb.82:
	s_andn2_b64 vcc, exec, s[22:23]
	s_cbranch_vccnz .LBB73_84
; %bb.83:
	v_cmp_eq_u32_e32 vcc, 1, v0
	v_cndmask_b32_e32 v86, v35, v37, vcc
	v_cmp_eq_u32_e64 s[4:5], 2, v0
	v_cndmask_b32_e64 v86, v86, v39, s[4:5]
	v_cmp_eq_u32_e64 s[6:7], 3, v0
	v_cndmask_b32_e64 v86, v86, v41, s[6:7]
	;; [unrolled: 2-line block ×8, first 2 shown]
	v_cndmask_b32_e32 v86, v34, v36, vcc
	v_cndmask_b32_e64 v86, v86, v38, s[4:5]
	v_cndmask_b32_e64 v86, v86, v40, s[6:7]
	;; [unrolled: 1-line block ×4, first 2 shown]
	ds_read_b64 v[89:90], v88
	v_cndmask_b32_e64 v86, v86, v46, s[12:13]
	v_cndmask_b32_e64 v86, v86, v48, s[14:15]
	;; [unrolled: 1-line block ×4, first 2 shown]
	s_waitcnt lgkmcnt(0)
	v_mul_f64 v[86:87], v[86:87], v[89:90]
	s_cbranch_execz .LBB73_85
	s_branch .LBB73_86
.LBB73_84:
                                        ; implicit-def: $vgpr86_vgpr87
.LBB73_85:
	ds_read_b64 v[86:87], v88
.LBB73_86:
	s_and_saveexec_b64 s[4:5], s[2:3]
	s_cbranch_execz .LBB73_96
; %bb.87:
	v_add_u32_e32 v90, -4, v0
	v_add_u32_e32 v89, -3, v0
	v_cmp_lt_u32_e32 vcc, 6, v90
	v_mov_b32_e32 v90, 3
	s_and_saveexec_b64 s[2:3], vcc
	s_cbranch_execz .LBB73_91
; %bb.88:
	v_and_b32_e32 v90, -8, v89
	v_sub_u32_e32 v91, 0, v90
	s_mov_b64 s[6:7], 10
	s_movk_i32 s10, 0x68
	s_mov_b64 s[8:9], 0
.LBB73_89:                              ; =>This Inner Loop Header: Depth=1
	s_lshl_b32 s11, s6, 1
	s_add_i32 s12, s11, -13
	v_mov_b32_e32 v90, s10
	s_add_i32 s13, s11, -14
	s_set_gpr_idx_on s12, gpr_idx(SRC0)
	v_mov_b32_e32 v97, v34
	s_set_gpr_idx_off
	s_set_gpr_idx_on s13, gpr_idx(SRC0)
	v_mov_b32_e32 v96, v34
	s_set_gpr_idx_off
	ds_read2_b64 v[92:95], v90 offset1:1
	s_add_i32 s12, s11, -11
	s_add_i32 s13, s11, -12
	;; [unrolled: 1-line block ×4, first 2 shown]
	s_waitcnt lgkmcnt(0)
	v_fma_f64 v[86:87], v[96:97], v[92:93], v[86:87]
	s_set_gpr_idx_on s12, gpr_idx(SRC0)
	v_mov_b32_e32 v93, v34
	s_set_gpr_idx_off
	s_set_gpr_idx_on s13, gpr_idx(SRC0)
	v_mov_b32_e32 v92, v34
	s_set_gpr_idx_off
	s_add_i32 s12, s11, -7
	s_add_i32 s13, s11, -8
	v_fma_f64 v[86:87], v[92:93], v[94:95], v[86:87]
	s_set_gpr_idx_on s14, gpr_idx(SRC0)
	v_mov_b32_e32 v97, v34
	s_set_gpr_idx_off
	s_set_gpr_idx_on s15, gpr_idx(SRC0)
	v_mov_b32_e32 v96, v34
	s_set_gpr_idx_off
	ds_read2_b64 v[92:95], v90 offset0:2 offset1:3
	s_add_i32 s14, s11, -5
	s_add_i32 s15, s11, -6
	s_waitcnt lgkmcnt(0)
	v_fma_f64 v[86:87], v[96:97], v[92:93], v[86:87]
	s_set_gpr_idx_on s12, gpr_idx(SRC0)
	v_mov_b32_e32 v93, v34
	s_set_gpr_idx_off
	s_set_gpr_idx_on s13, gpr_idx(SRC0)
	v_mov_b32_e32 v92, v34
	s_set_gpr_idx_off
	s_add_i32 s12, s11, -3
	s_add_i32 s13, s11, -4
	v_fma_f64 v[86:87], v[92:93], v[94:95], v[86:87]
	s_set_gpr_idx_on s14, gpr_idx(SRC0)
	v_mov_b32_e32 v97, v34
	s_set_gpr_idx_off
	s_set_gpr_idx_on s15, gpr_idx(SRC0)
	v_mov_b32_e32 v96, v34
	s_set_gpr_idx_off
	ds_read2_b64 v[92:95], v90 offset0:4 offset1:5
	s_add_i32 s14, s11, -1
	s_add_i32 s15, s11, -2
	s_add_u32 s6, s6, 8
	s_addc_u32 s7, s7, 0
	s_waitcnt lgkmcnt(0)
	v_fma_f64 v[86:87], v[96:97], v[92:93], v[86:87]
	s_set_gpr_idx_on s12, gpr_idx(SRC0)
	v_mov_b32_e32 v93, v34
	s_set_gpr_idx_off
	s_set_gpr_idx_on s13, gpr_idx(SRC0)
	v_mov_b32_e32 v92, v34
	s_set_gpr_idx_off
	s_add_i32 s10, s10, 64
	v_fma_f64 v[86:87], v[92:93], v[94:95], v[86:87]
	s_set_gpr_idx_on s14, gpr_idx(SRC0)
	v_mov_b32_e32 v97, v34
	s_set_gpr_idx_off
	s_set_gpr_idx_on s15, gpr_idx(SRC0)
	v_mov_b32_e32 v96, v34
	s_set_gpr_idx_off
	ds_read2_b64 v[92:95], v90 offset0:6 offset1:7
	v_add_u32_e32 v90, s6, v91
	v_cmp_eq_u32_e32 vcc, 10, v90
	s_waitcnt lgkmcnt(0)
	v_fma_f64 v[86:87], v[96:97], v[92:93], v[86:87]
	s_set_gpr_idx_on s11, gpr_idx(SRC0)
	v_mov_b32_e32 v93, v35
	v_mov_b32_e32 v92, v34
	s_set_gpr_idx_off
	s_add_i32 s11, s6, -7
	s_or_b64 s[8:9], vcc, s[8:9]
	v_mov_b32_e32 v90, s11
	v_fma_f64 v[86:87], v[92:93], v[94:95], v[86:87]
	s_andn2_b64 exec, exec, s[8:9]
	s_cbranch_execnz .LBB73_89
; %bb.90:
	s_or_b64 exec, exec, s[8:9]
.LBB73_91:
	s_or_b64 exec, exec, s[2:3]
	v_and_b32_e32 v54, 7, v89
	v_cmp_ne_u32_e32 vcc, 0, v54
	s_and_saveexec_b64 s[6:7], vcc
	s_cbranch_execz .LBB73_95
; %bb.92:
	v_mov_b32_e32 v55, 0x50
	v_lshl_add_u32 v55, v90, 3, v55
	v_mov_b32_e32 v56, 0
	s_mov_b64 s[8:9], 0
.LBB73_93:                              ; =>This Inner Loop Header: Depth=1
	v_cmp_eq_u32_e32 vcc, 1, v90
	v_cndmask_b32_e32 v59, v35, v37, vcc
	v_cmp_eq_u32_e64 s[2:3], 2, v90
	v_cndmask_b32_e64 v59, v59, v39, s[2:3]
	v_cndmask_b32_e32 v60, v34, v36, vcc
	v_cmp_eq_u32_e32 vcc, 3, v90
	v_cndmask_b32_e32 v59, v59, v41, vcc
	v_cndmask_b32_e64 v60, v60, v38, s[2:3]
	v_cmp_eq_u32_e64 s[2:3], 4, v90
	v_cndmask_b32_e64 v59, v59, v43, s[2:3]
	v_cndmask_b32_e32 v60, v60, v40, vcc
	v_cmp_eq_u32_e32 vcc, 5, v90
	v_cndmask_b32_e32 v59, v59, v45, vcc
	v_cndmask_b32_e64 v60, v60, v42, s[2:3]
	v_cmp_eq_u32_e64 s[2:3], 6, v90
	ds_read_b64 v[57:58], v55
	v_cndmask_b32_e64 v59, v59, v47, s[2:3]
	v_cndmask_b32_e32 v60, v60, v44, vcc
	v_cmp_eq_u32_e32 vcc, 7, v90
	v_cndmask_b32_e32 v59, v59, v49, vcc
	v_cndmask_b32_e64 v60, v60, v46, s[2:3]
	v_cmp_eq_u32_e64 s[2:3], 8, v90
	v_cndmask_b32_e64 v59, v59, v51, s[2:3]
	v_cndmask_b32_e32 v61, v60, v48, vcc
	v_cmp_eq_u32_e32 vcc, 9, v90
	v_cndmask_b32_e32 v60, v59, v53, vcc
	v_cndmask_b32_e64 v59, v61, v50, s[2:3]
	v_cndmask_b32_e32 v59, v59, v52, vcc
	s_waitcnt lgkmcnt(0)
	v_fma_f64 v[86:87], v[59:60], v[57:58], v[86:87]
	v_add_u32_e32 v54, -1, v54
	v_cmp_eq_u32_e32 vcc, 0, v54
	s_or_b64 s[8:9], vcc, s[8:9]
	v_add_co_u32_e32 v90, vcc, 1, v90
	v_add_u32_e32 v55, 8, v55
	v_addc_co_u32_e32 v56, vcc, 0, v56, vcc
	s_andn2_b64 exec, exec, s[8:9]
	s_cbranch_execnz .LBB73_93
; %bb.94:
	s_or_b64 exec, exec, s[8:9]
.LBB73_95:
	s_or_b64 exec, exec, s[6:7]
.LBB73_96:
	s_or_b64 exec, exec, s[4:5]
	v_mov_b32_e32 v38, 0
	ds_read_b64 v[38:39], v38 offset:16
	s_waitcnt lgkmcnt(0)
	v_mul_f64 v[38:39], v[86:87], v[38:39]
.LBB73_97:
	s_or_b64 exec, exec, s[20:21]
	v_cmp_lt_u32_e64 s[2:3], 1, v0
	ds_write_b64 v88, v[36:37]
	s_waitcnt lgkmcnt(0)
	; wave barrier
	s_and_saveexec_b64 s[20:21], s[2:3]
	s_cbranch_execz .LBB73_113
; %bb.98:
	s_andn2_b64 vcc, exec, s[22:23]
	s_cbranch_vccnz .LBB73_100
; %bb.99:
	v_cmp_eq_u32_e32 vcc, 1, v0
	v_cndmask_b32_e32 v86, v35, v37, vcc
	v_cmp_eq_u32_e64 s[4:5], 2, v0
	v_cndmask_b32_e64 v86, v86, v39, s[4:5]
	v_cmp_eq_u32_e64 s[6:7], 3, v0
	v_cndmask_b32_e64 v86, v86, v41, s[6:7]
	;; [unrolled: 2-line block ×8, first 2 shown]
	v_cndmask_b32_e32 v86, v34, v36, vcc
	v_cndmask_b32_e64 v86, v86, v38, s[4:5]
	v_cndmask_b32_e64 v86, v86, v40, s[6:7]
	;; [unrolled: 1-line block ×4, first 2 shown]
	ds_read_b64 v[89:90], v88
	v_cndmask_b32_e64 v86, v86, v46, s[12:13]
	v_cndmask_b32_e64 v86, v86, v48, s[14:15]
	;; [unrolled: 1-line block ×4, first 2 shown]
	s_waitcnt lgkmcnt(0)
	v_mul_f64 v[86:87], v[86:87], v[89:90]
	s_cbranch_execz .LBB73_101
	s_branch .LBB73_102
.LBB73_100:
                                        ; implicit-def: $vgpr86_vgpr87
.LBB73_101:
	ds_read_b64 v[86:87], v88
.LBB73_102:
	s_and_saveexec_b64 s[4:5], s[0:1]
	s_cbranch_execz .LBB73_112
; %bb.103:
	v_add_u32_e32 v90, -3, v0
	v_add_u32_e32 v89, -2, v0
	v_cmp_lt_u32_e32 vcc, 6, v90
	v_mov_b32_e32 v90, 2
	s_and_saveexec_b64 s[0:1], vcc
	s_cbranch_execz .LBB73_107
; %bb.104:
	v_and_b32_e32 v90, -8, v89
	v_sub_u32_e32 v91, 0, v90
	s_mov_b64 s[6:7], 9
	s_movk_i32 s10, 0x60
	s_mov_b64 s[8:9], 0
.LBB73_105:                             ; =>This Inner Loop Header: Depth=1
	s_lshl_b32 s11, s6, 1
	s_add_i32 s12, s11, -13
	v_mov_b32_e32 v90, s10
	s_add_i32 s13, s11, -14
	s_set_gpr_idx_on s12, gpr_idx(SRC0)
	v_mov_b32_e32 v101, v34
	s_set_gpr_idx_off
	s_set_gpr_idx_on s13, gpr_idx(SRC0)
	v_mov_b32_e32 v100, v34
	s_set_gpr_idx_off
	ds_read_b128 v[92:95], v90
	ds_read_b128 v[96:99], v90 offset:16
	s_add_i32 s12, s11, -11
	s_add_i32 s13, s11, -12
	s_waitcnt lgkmcnt(1)
	v_fma_f64 v[86:87], v[100:101], v[92:93], v[86:87]
	ds_read_b128 v[100:103], v90 offset:32
	ds_read_b128 v[104:107], v90 offset:48
	s_set_gpr_idx_on s12, gpr_idx(SRC0)
	v_mov_b32_e32 v93, v34
	s_set_gpr_idx_off
	s_set_gpr_idx_on s13, gpr_idx(SRC0)
	v_mov_b32_e32 v92, v34
	s_set_gpr_idx_off
	s_add_i32 s12, s11, -9
	s_add_i32 s13, s11, -10
	v_fma_f64 v[86:87], v[92:93], v[94:95], v[86:87]
	s_set_gpr_idx_on s12, gpr_idx(SRC0)
	v_mov_b32_e32 v93, v34
	s_set_gpr_idx_off
	s_set_gpr_idx_on s13, gpr_idx(SRC0)
	v_mov_b32_e32 v92, v34
	s_set_gpr_idx_off
	s_add_i32 s12, s11, -7
	s_add_i32 s13, s11, -8
	s_waitcnt lgkmcnt(2)
	v_fma_f64 v[86:87], v[92:93], v[96:97], v[86:87]
	s_set_gpr_idx_on s12, gpr_idx(SRC0)
	v_mov_b32_e32 v93, v34
	s_set_gpr_idx_off
	s_set_gpr_idx_on s13, gpr_idx(SRC0)
	v_mov_b32_e32 v92, v34
	s_set_gpr_idx_off
	s_add_i32 s12, s11, -5
	s_add_i32 s13, s11, -6
	v_fma_f64 v[86:87], v[92:93], v[98:99], v[86:87]
	s_set_gpr_idx_on s12, gpr_idx(SRC0)
	v_mov_b32_e32 v93, v34
	s_set_gpr_idx_off
	s_set_gpr_idx_on s13, gpr_idx(SRC0)
	v_mov_b32_e32 v92, v34
	s_set_gpr_idx_off
	s_add_i32 s12, s11, -3
	s_add_i32 s13, s11, -4
	s_waitcnt lgkmcnt(1)
	v_fma_f64 v[86:87], v[92:93], v[100:101], v[86:87]
	s_set_gpr_idx_on s12, gpr_idx(SRC0)
	v_mov_b32_e32 v93, v34
	s_set_gpr_idx_off
	s_set_gpr_idx_on s13, gpr_idx(SRC0)
	v_mov_b32_e32 v92, v34
	s_set_gpr_idx_off
	s_add_i32 s12, s11, -1
	s_add_i32 s13, s11, -2
	s_add_u32 s6, s6, 8
	v_add_u32_e32 v90, s6, v91
	s_addc_u32 s7, s7, 0
	v_fma_f64 v[86:87], v[92:93], v[102:103], v[86:87]
	s_set_gpr_idx_on s12, gpr_idx(SRC0)
	v_mov_b32_e32 v93, v34
	s_set_gpr_idx_off
	s_set_gpr_idx_on s13, gpr_idx(SRC0)
	v_mov_b32_e32 v92, v34
	s_set_gpr_idx_off
	s_add_i32 s10, s10, 64
	v_cmp_eq_u32_e32 vcc, 9, v90
	s_waitcnt lgkmcnt(0)
	v_fma_f64 v[86:87], v[92:93], v[104:105], v[86:87]
	s_set_gpr_idx_on s11, gpr_idx(SRC0)
	v_mov_b32_e32 v93, v35
	v_mov_b32_e32 v92, v34
	s_set_gpr_idx_off
	s_add_i32 s11, s6, -7
	s_or_b64 s[8:9], vcc, s[8:9]
	v_mov_b32_e32 v90, s11
	v_fma_f64 v[86:87], v[92:93], v[106:107], v[86:87]
	s_andn2_b64 exec, exec, s[8:9]
	s_cbranch_execnz .LBB73_105
; %bb.106:
	s_or_b64 exec, exec, s[8:9]
.LBB73_107:
	s_or_b64 exec, exec, s[0:1]
	v_and_b32_e32 v54, 7, v89
	v_cmp_ne_u32_e32 vcc, 0, v54
	s_and_saveexec_b64 s[6:7], vcc
	s_cbranch_execz .LBB73_111
; %bb.108:
	v_mov_b32_e32 v55, 0x50
	v_lshl_add_u32 v55, v90, 3, v55
	v_mov_b32_e32 v56, 0
	s_mov_b64 s[8:9], 0
.LBB73_109:                             ; =>This Inner Loop Header: Depth=1
	v_cmp_eq_u32_e32 vcc, 1, v90
	v_cndmask_b32_e32 v59, v35, v37, vcc
	v_cmp_eq_u32_e64 s[0:1], 2, v90
	v_cndmask_b32_e64 v59, v59, v39, s[0:1]
	v_cndmask_b32_e32 v60, v34, v36, vcc
	v_cmp_eq_u32_e32 vcc, 3, v90
	v_cndmask_b32_e32 v59, v59, v41, vcc
	v_cndmask_b32_e64 v60, v60, v38, s[0:1]
	v_cmp_eq_u32_e64 s[0:1], 4, v90
	v_cndmask_b32_e64 v59, v59, v43, s[0:1]
	v_cndmask_b32_e32 v60, v60, v40, vcc
	v_cmp_eq_u32_e32 vcc, 5, v90
	v_cndmask_b32_e32 v59, v59, v45, vcc
	v_cndmask_b32_e64 v60, v60, v42, s[0:1]
	v_cmp_eq_u32_e64 s[0:1], 6, v90
	ds_read_b64 v[57:58], v55
	v_cndmask_b32_e64 v59, v59, v47, s[0:1]
	v_cndmask_b32_e32 v60, v60, v44, vcc
	v_cmp_eq_u32_e32 vcc, 7, v90
	v_cndmask_b32_e32 v59, v59, v49, vcc
	v_cndmask_b32_e64 v60, v60, v46, s[0:1]
	v_cmp_eq_u32_e64 s[0:1], 8, v90
	v_cndmask_b32_e64 v59, v59, v51, s[0:1]
	v_cndmask_b32_e32 v61, v60, v48, vcc
	v_cmp_eq_u32_e32 vcc, 9, v90
	v_cndmask_b32_e32 v60, v59, v53, vcc
	v_cndmask_b32_e64 v59, v61, v50, s[0:1]
	v_cndmask_b32_e32 v59, v59, v52, vcc
	s_waitcnt lgkmcnt(0)
	v_fma_f64 v[86:87], v[59:60], v[57:58], v[86:87]
	v_add_u32_e32 v54, -1, v54
	v_cmp_eq_u32_e32 vcc, 0, v54
	s_or_b64 s[8:9], vcc, s[8:9]
	v_add_co_u32_e32 v90, vcc, 1, v90
	v_add_u32_e32 v55, 8, v55
	v_addc_co_u32_e32 v56, vcc, 0, v56, vcc
	s_andn2_b64 exec, exec, s[8:9]
	s_cbranch_execnz .LBB73_109
; %bb.110:
	s_or_b64 exec, exec, s[8:9]
.LBB73_111:
	s_or_b64 exec, exec, s[6:7]
.LBB73_112:
	s_or_b64 exec, exec, s[4:5]
	v_mov_b32_e32 v36, 0
	ds_read_b64 v[36:37], v36 offset:8
	s_waitcnt lgkmcnt(0)
	v_mul_f64 v[36:37], v[86:87], v[36:37]
.LBB73_113:
	s_or_b64 exec, exec, s[20:21]
	v_cmp_ne_u32_e32 vcc, 0, v0
	ds_write_b64 v88, v[34:35]
	s_waitcnt lgkmcnt(0)
	; wave barrier
	s_and_saveexec_b64 s[18:19], vcc
	s_cbranch_execz .LBB73_129
; %bb.114:
	s_andn2_b64 vcc, exec, s[22:23]
	s_cbranch_vccnz .LBB73_116
; %bb.115:
	v_cmp_eq_u32_e32 vcc, 1, v0
	v_cndmask_b32_e32 v86, v35, v37, vcc
	v_cmp_eq_u32_e64 s[0:1], 2, v0
	v_cndmask_b32_e64 v86, v86, v39, s[0:1]
	v_cmp_eq_u32_e64 s[4:5], 3, v0
	v_cndmask_b32_e64 v86, v86, v41, s[4:5]
	;; [unrolled: 2-line block ×8, first 2 shown]
	v_cndmask_b32_e32 v86, v34, v36, vcc
	v_cndmask_b32_e64 v86, v86, v38, s[0:1]
	v_cndmask_b32_e64 v86, v86, v40, s[4:5]
	;; [unrolled: 1-line block ×4, first 2 shown]
	ds_read_b64 v[89:90], v88
	v_cndmask_b32_e64 v86, v86, v46, s[10:11]
	v_cndmask_b32_e64 v86, v86, v48, s[12:13]
	;; [unrolled: 1-line block ×4, first 2 shown]
	s_waitcnt lgkmcnt(0)
	v_mul_f64 v[86:87], v[86:87], v[89:90]
	s_cbranch_execz .LBB73_117
	s_branch .LBB73_118
.LBB73_116:
                                        ; implicit-def: $vgpr86_vgpr87
.LBB73_117:
	ds_read_b64 v[86:87], v88
.LBB73_118:
	s_and_saveexec_b64 s[4:5], s[2:3]
	s_cbranch_execz .LBB73_128
; %bb.119:
	v_add_u32_e32 v90, -2, v0
	v_add_u32_e32 v89, -1, v0
	v_cmp_lt_u32_e32 vcc, 6, v90
	v_mov_b32_e32 v90, 1
	s_and_saveexec_b64 s[0:1], vcc
	s_cbranch_execz .LBB73_123
; %bb.120:
	v_and_b32_e32 v90, -8, v89
	v_sub_u32_e32 v91, 0, v90
	s_mov_b64 s[2:3], 8
	s_movk_i32 s8, 0x58
	s_mov_b64 s[6:7], 0
.LBB73_121:                             ; =>This Inner Loop Header: Depth=1
	s_lshl_b32 s9, s2, 1
	s_add_i32 s10, s9, -13
	v_mov_b32_e32 v90, s8
	s_add_i32 s11, s9, -14
	s_set_gpr_idx_on s10, gpr_idx(SRC0)
	v_mov_b32_e32 v97, v34
	s_set_gpr_idx_off
	s_set_gpr_idx_on s11, gpr_idx(SRC0)
	v_mov_b32_e32 v96, v34
	s_set_gpr_idx_off
	ds_read2_b64 v[92:95], v90 offset1:1
	s_add_i32 s10, s9, -11
	s_add_i32 s11, s9, -12
	;; [unrolled: 1-line block ×4, first 2 shown]
	s_waitcnt lgkmcnt(0)
	v_fma_f64 v[86:87], v[96:97], v[92:93], v[86:87]
	s_set_gpr_idx_on s10, gpr_idx(SRC0)
	v_mov_b32_e32 v93, v34
	s_set_gpr_idx_off
	s_set_gpr_idx_on s11, gpr_idx(SRC0)
	v_mov_b32_e32 v92, v34
	s_set_gpr_idx_off
	s_add_i32 s10, s9, -7
	s_add_i32 s11, s9, -8
	v_fma_f64 v[86:87], v[92:93], v[94:95], v[86:87]
	s_set_gpr_idx_on s12, gpr_idx(SRC0)
	v_mov_b32_e32 v97, v34
	s_set_gpr_idx_off
	s_set_gpr_idx_on s13, gpr_idx(SRC0)
	v_mov_b32_e32 v96, v34
	s_set_gpr_idx_off
	ds_read2_b64 v[92:95], v90 offset0:2 offset1:3
	s_add_i32 s12, s9, -5
	s_add_i32 s13, s9, -6
	s_waitcnt lgkmcnt(0)
	v_fma_f64 v[86:87], v[96:97], v[92:93], v[86:87]
	s_set_gpr_idx_on s10, gpr_idx(SRC0)
	v_mov_b32_e32 v93, v34
	s_set_gpr_idx_off
	s_set_gpr_idx_on s11, gpr_idx(SRC0)
	v_mov_b32_e32 v92, v34
	s_set_gpr_idx_off
	s_add_i32 s10, s9, -3
	s_add_i32 s11, s9, -4
	v_fma_f64 v[86:87], v[92:93], v[94:95], v[86:87]
	s_set_gpr_idx_on s12, gpr_idx(SRC0)
	v_mov_b32_e32 v97, v34
	s_set_gpr_idx_off
	s_set_gpr_idx_on s13, gpr_idx(SRC0)
	v_mov_b32_e32 v96, v34
	s_set_gpr_idx_off
	ds_read2_b64 v[92:95], v90 offset0:4 offset1:5
	s_add_i32 s12, s9, -1
	s_add_i32 s13, s9, -2
	s_add_u32 s2, s2, 8
	s_addc_u32 s3, s3, 0
	s_waitcnt lgkmcnt(0)
	v_fma_f64 v[86:87], v[96:97], v[92:93], v[86:87]
	s_set_gpr_idx_on s10, gpr_idx(SRC0)
	v_mov_b32_e32 v93, v34
	s_set_gpr_idx_off
	s_set_gpr_idx_on s11, gpr_idx(SRC0)
	v_mov_b32_e32 v92, v34
	s_set_gpr_idx_off
	s_add_i32 s8, s8, 64
	v_fma_f64 v[86:87], v[92:93], v[94:95], v[86:87]
	s_set_gpr_idx_on s12, gpr_idx(SRC0)
	v_mov_b32_e32 v97, v34
	s_set_gpr_idx_off
	s_set_gpr_idx_on s13, gpr_idx(SRC0)
	v_mov_b32_e32 v96, v34
	s_set_gpr_idx_off
	ds_read2_b64 v[92:95], v90 offset0:6 offset1:7
	v_add_u32_e32 v90, s2, v91
	v_cmp_eq_u32_e32 vcc, 8, v90
	s_waitcnt lgkmcnt(0)
	v_fma_f64 v[86:87], v[96:97], v[92:93], v[86:87]
	s_set_gpr_idx_on s9, gpr_idx(SRC0)
	v_mov_b32_e32 v93, v35
	v_mov_b32_e32 v92, v34
	s_set_gpr_idx_off
	s_add_i32 s9, s2, -7
	s_or_b64 s[6:7], vcc, s[6:7]
	v_mov_b32_e32 v90, s9
	v_fma_f64 v[86:87], v[92:93], v[94:95], v[86:87]
	s_andn2_b64 exec, exec, s[6:7]
	s_cbranch_execnz .LBB73_121
; %bb.122:
	s_or_b64 exec, exec, s[6:7]
.LBB73_123:
	s_or_b64 exec, exec, s[0:1]
	v_and_b32_e32 v54, 7, v89
	v_cmp_ne_u32_e32 vcc, 0, v54
	s_and_saveexec_b64 s[2:3], vcc
	s_cbranch_execz .LBB73_127
; %bb.124:
	v_mov_b32_e32 v55, 0x50
	v_lshl_add_u32 v55, v90, 3, v55
	v_mov_b32_e32 v56, 0
	s_mov_b64 s[6:7], 0
.LBB73_125:                             ; =>This Inner Loop Header: Depth=1
	v_cmp_eq_u32_e32 vcc, 1, v90
	v_cndmask_b32_e32 v59, v35, v37, vcc
	v_cmp_eq_u32_e64 s[0:1], 2, v90
	v_cndmask_b32_e64 v59, v59, v39, s[0:1]
	v_cndmask_b32_e32 v60, v34, v36, vcc
	v_cmp_eq_u32_e32 vcc, 3, v90
	v_cndmask_b32_e32 v59, v59, v41, vcc
	v_cndmask_b32_e64 v60, v60, v38, s[0:1]
	v_cmp_eq_u32_e64 s[0:1], 4, v90
	v_cndmask_b32_e64 v59, v59, v43, s[0:1]
	v_cndmask_b32_e32 v60, v60, v40, vcc
	v_cmp_eq_u32_e32 vcc, 5, v90
	v_cndmask_b32_e32 v59, v59, v45, vcc
	v_cndmask_b32_e64 v60, v60, v42, s[0:1]
	v_cmp_eq_u32_e64 s[0:1], 6, v90
	ds_read_b64 v[57:58], v55
	v_cndmask_b32_e64 v59, v59, v47, s[0:1]
	v_cndmask_b32_e32 v60, v60, v44, vcc
	v_cmp_eq_u32_e32 vcc, 7, v90
	v_cndmask_b32_e32 v59, v59, v49, vcc
	v_cndmask_b32_e64 v60, v60, v46, s[0:1]
	v_cmp_eq_u32_e64 s[0:1], 8, v90
	v_cndmask_b32_e64 v59, v59, v51, s[0:1]
	v_cndmask_b32_e32 v61, v60, v48, vcc
	v_cmp_eq_u32_e32 vcc, 9, v90
	v_cndmask_b32_e32 v60, v59, v53, vcc
	v_cndmask_b32_e64 v59, v61, v50, s[0:1]
	v_cndmask_b32_e32 v59, v59, v52, vcc
	s_waitcnt lgkmcnt(0)
	v_fma_f64 v[86:87], v[59:60], v[57:58], v[86:87]
	v_add_u32_e32 v54, -1, v54
	v_cmp_eq_u32_e32 vcc, 0, v54
	s_or_b64 s[6:7], vcc, s[6:7]
	v_add_co_u32_e32 v90, vcc, 1, v90
	v_add_u32_e32 v55, 8, v55
	v_addc_co_u32_e32 v56, vcc, 0, v56, vcc
	s_andn2_b64 exec, exec, s[6:7]
	s_cbranch_execnz .LBB73_125
; %bb.126:
	s_or_b64 exec, exec, s[6:7]
.LBB73_127:
	s_or_b64 exec, exec, s[2:3]
.LBB73_128:
	s_or_b64 exec, exec, s[4:5]
	v_mov_b32_e32 v34, 0
	ds_read_b64 v[34:35], v34
	s_waitcnt lgkmcnt(0)
	v_mul_f64 v[34:35], v[86:87], v[34:35]
.LBB73_129:
	s_or_b64 exec, exec, s[18:19]
	s_branch .LBB73_223
.LBB73_130:
	v_cmp_eq_u32_e64 s[0:1], 0, v0
	s_waitcnt vmcnt(0) lgkmcnt(0)
	ds_write_b64 v88, v[4:5]
	s_waitcnt lgkmcnt(0)
	; wave barrier
	s_and_saveexec_b64 s[18:19], s[0:1]
	s_cbranch_execz .LBB73_136
; %bb.131:
	s_and_b64 vcc, exec, s[22:23]
	s_cbranch_vccz .LBB73_133
; %bb.132:
	v_cmp_eq_u32_e32 vcc, 1, v0
	v_cndmask_b32_e32 v5, v3, v5, vcc
	v_cmp_eq_u32_e64 s[2:3], 2, v0
	v_cndmask_b32_e32 v4, v2, v4, vcc
	v_cndmask_b32_e64 v5, v5, v7, s[2:3]
	v_cmp_eq_u32_e64 s[4:5], 3, v0
	v_cndmask_b32_e64 v4, v4, v6, s[2:3]
	v_cndmask_b32_e64 v5, v5, v9, s[4:5]
	v_cmp_eq_u32_e64 s[6:7], 4, v0
	v_cndmask_b32_e64 v4, v4, v8, s[4:5]
	;; [unrolled: 3-line block ×4, first 2 shown]
	ds_read_b64 v[22:23], v88
	v_cndmask_b32_e64 v5, v5, v15, s[10:11]
	v_cmp_eq_u32_e64 s[12:13], 7, v0
	v_cndmask_b32_e64 v4, v4, v14, s[10:11]
	v_cndmask_b32_e64 v5, v5, v17, s[12:13]
	v_cmp_eq_u32_e64 s[14:15], 8, v0
	v_cndmask_b32_e64 v4, v4, v16, s[12:13]
	;; [unrolled: 3-line block ×3, first 2 shown]
	v_cndmask_b32_e64 v5, v5, v21, s[16:17]
	v_cndmask_b32_e64 v4, v4, v20, s[16:17]
	s_waitcnt lgkmcnt(0)
	v_mul_f64 v[4:5], v[4:5], v[22:23]
	s_cbranch_execz .LBB73_134
	s_branch .LBB73_135
.LBB73_133:
                                        ; implicit-def: $vgpr4_vgpr5
.LBB73_134:
	ds_read_b64 v[4:5], v88
.LBB73_135:
	v_mov_b32_e32 v22, 0
	ds_read_b64 v[22:23], v22 offset:8
	s_waitcnt lgkmcnt(0)
	v_mul_f64 v[4:5], v[4:5], v[22:23]
.LBB73_136:
	s_or_b64 exec, exec, s[18:19]
	v_cndmask_b32_e64 v34, 0, 1, s[22:23]
	v_cmp_gt_u32_e64 s[2:3], 2, v0
	v_cmp_ne_u32_e64 s[4:5], 1, v34
	ds_write_b64 v88, v[6:7]
	s_waitcnt lgkmcnt(0)
	; wave barrier
	s_and_saveexec_b64 s[22:23], s[2:3]
	s_cbranch_execz .LBB73_142
; %bb.137:
	s_and_b64 vcc, exec, s[4:5]
	s_cbranch_vccnz .LBB73_139
; %bb.138:
	v_cmp_eq_u32_e32 vcc, 1, v0
	v_cndmask_b32_e32 v22, v3, v5, vcc
	v_cmp_eq_u32_e64 s[6:7], 2, v0
	v_cndmask_b32_e64 v7, v22, v7, s[6:7]
	v_cndmask_b32_e32 v22, v2, v4, vcc
	v_cmp_eq_u32_e64 s[8:9], 3, v0
	v_cndmask_b32_e64 v6, v22, v6, s[6:7]
	v_cndmask_b32_e64 v7, v7, v9, s[8:9]
	v_cmp_eq_u32_e64 s[10:11], 4, v0
	v_cndmask_b32_e64 v6, v6, v8, s[8:9]
	v_cndmask_b32_e64 v7, v7, v11, s[10:11]
	;; [unrolled: 3-line block ×3, first 2 shown]
	v_cmp_eq_u32_e64 s[14:15], 6, v0
	v_cndmask_b32_e64 v6, v6, v12, s[12:13]
	ds_read_b64 v[22:23], v88
	v_cndmask_b32_e64 v7, v7, v15, s[14:15]
	v_cmp_eq_u32_e64 s[16:17], 7, v0
	v_cndmask_b32_e64 v6, v6, v14, s[14:15]
	v_cndmask_b32_e64 v7, v7, v17, s[16:17]
	v_cmp_eq_u32_e64 s[18:19], 8, v0
	v_cndmask_b32_e64 v6, v6, v16, s[16:17]
	;; [unrolled: 3-line block ×3, first 2 shown]
	v_cndmask_b32_e64 v7, v7, v21, s[20:21]
	v_cndmask_b32_e64 v6, v6, v20, s[20:21]
	s_waitcnt lgkmcnt(0)
	v_mul_f64 v[6:7], v[6:7], v[22:23]
	s_cbranch_execz .LBB73_140
	s_branch .LBB73_141
.LBB73_139:
                                        ; implicit-def: $vgpr6_vgpr7
.LBB73_140:
	ds_read_b64 v[6:7], v88
.LBB73_141:
	v_mov_b32_e32 v22, 0
	ds_read2_b64 v[22:25], v22 offset0:2 offset1:11
	s_waitcnt lgkmcnt(0)
	v_fma_f64 v[24:25], v[4:5], v[24:25], v[6:7]
	v_cndmask_b32_e64 v7, v7, v25, s[0:1]
	v_cndmask_b32_e64 v6, v6, v24, s[0:1]
	v_mul_f64 v[6:7], v[6:7], v[22:23]
.LBB73_142:
	s_or_b64 exec, exec, s[22:23]
	v_add_u32_e32 v34, 1, v0
	v_cmp_gt_u32_e32 vcc, 3, v0
	ds_write_b64 v88, v[8:9]
	s_waitcnt lgkmcnt(0)
	; wave barrier
	s_and_saveexec_b64 s[22:23], vcc
	s_cbranch_execz .LBB73_150
; %bb.143:
	s_and_b64 vcc, exec, s[4:5]
	s_cbranch_vccnz .LBB73_145
; %bb.144:
	v_cmp_eq_u32_e32 vcc, 1, v0
	v_cndmask_b32_e32 v22, v3, v5, vcc
	v_cmp_eq_u32_e64 s[6:7], 2, v0
	v_cndmask_b32_e64 v22, v22, v7, s[6:7]
	v_cmp_eq_u32_e64 s[8:9], 3, v0
	v_cndmask_b32_e64 v22, v22, v9, s[8:9]
	v_cmp_eq_u32_e64 s[10:11], 4, v0
	v_cndmask_b32_e64 v22, v22, v11, s[10:11]
	v_cmp_eq_u32_e64 s[12:13], 5, v0
	v_cndmask_b32_e64 v22, v22, v13, s[12:13]
	v_cmp_eq_u32_e64 s[14:15], 6, v0
	v_cndmask_b32_e64 v22, v22, v15, s[14:15]
	v_cmp_eq_u32_e64 s[16:17], 7, v0
	v_cndmask_b32_e64 v22, v22, v17, s[16:17]
	v_cmp_eq_u32_e64 s[18:19], 8, v0
	v_cndmask_b32_e64 v22, v22, v19, s[18:19]
	v_cmp_eq_u32_e64 s[20:21], 9, v0
	v_cndmask_b32_e64 v23, v22, v21, s[20:21]
	v_cndmask_b32_e32 v22, v2, v4, vcc
	v_cndmask_b32_e64 v22, v22, v6, s[6:7]
	v_cndmask_b32_e64 v22, v22, v8, s[8:9]
	;; [unrolled: 1-line block ×4, first 2 shown]
	ds_read_b64 v[24:25], v88
	v_cndmask_b32_e64 v22, v22, v14, s[14:15]
	v_cndmask_b32_e64 v22, v22, v16, s[16:17]
	;; [unrolled: 1-line block ×4, first 2 shown]
	s_waitcnt lgkmcnt(0)
	v_mul_f64 v[22:23], v[22:23], v[24:25]
	s_cbranch_execz .LBB73_146
	s_branch .LBB73_147
.LBB73_145:
                                        ; implicit-def: $vgpr22_vgpr23
.LBB73_146:
	ds_read_b64 v[22:23], v88
.LBB73_147:
	v_cmp_ne_u32_e32 vcc, 2, v0
	s_and_saveexec_b64 s[24:25], vcc
	s_cbranch_execz .LBB73_149
; %bb.148:
	v_cmp_eq_u32_e32 vcc, 1, v34
	v_cndmask_b32_e32 v24, v3, v5, vcc
	v_cmp_eq_u32_e64 s[6:7], 2, v34
	v_cndmask_b32_e64 v24, v24, v7, s[6:7]
	v_cmp_eq_u32_e64 s[8:9], 3, v34
	v_cndmask_b32_e64 v9, v24, v9, s[8:9]
	v_cndmask_b32_e32 v24, v2, v4, vcc
	v_cndmask_b32_e64 v24, v24, v6, s[6:7]
	v_cmp_eq_u32_e64 s[10:11], 4, v34
	v_cndmask_b32_e64 v8, v24, v8, s[8:9]
	v_cndmask_b32_e64 v9, v9, v11, s[10:11]
	v_cmp_eq_u32_e64 s[12:13], 5, v34
	v_cndmask_b32_e64 v8, v8, v10, s[10:11]
	;; [unrolled: 3-line block ×3, first 2 shown]
	ds_read_b64 v[24:25], v88 offset:8
	v_cndmask_b32_e64 v9, v9, v15, s[14:15]
	v_cmp_eq_u32_e64 s[16:17], 7, v34
	v_cndmask_b32_e64 v8, v8, v14, s[14:15]
	v_cndmask_b32_e64 v9, v9, v17, s[16:17]
	v_cmp_eq_u32_e64 s[18:19], 8, v34
	v_cndmask_b32_e64 v8, v8, v16, s[16:17]
	v_cndmask_b32_e64 v9, v9, v19, s[18:19]
	v_cmp_eq_u32_e64 s[20:21], 9, v34
	v_cndmask_b32_e64 v8, v8, v18, s[18:19]
	v_cndmask_b32_e64 v9, v9, v21, s[20:21]
	v_cndmask_b32_e64 v8, v8, v20, s[20:21]
	v_mov_b32_e32 v26, 0
	ds_read_b64 v[26:27], v26 offset:96
	s_waitcnt lgkmcnt(1)
	v_fma_f64 v[8:9], v[8:9], v[24:25], v[22:23]
	s_waitcnt lgkmcnt(0)
	v_fma_f64 v[22:23], v[6:7], v[26:27], v[8:9]
	v_cndmask_b32_e64 v23, v9, v23, s[0:1]
	v_cndmask_b32_e64 v22, v8, v22, s[0:1]
.LBB73_149:
	s_or_b64 exec, exec, s[24:25]
	v_mov_b32_e32 v8, 0
	ds_read_b64 v[8:9], v8 offset:24
	s_waitcnt lgkmcnt(0)
	v_mul_f64 v[8:9], v[22:23], v[8:9]
.LBB73_150:
	s_or_b64 exec, exec, s[22:23]
	v_cmp_gt_u32_e64 s[6:7], 4, v0
	ds_write_b64 v88, v[10:11]
	s_waitcnt lgkmcnt(0)
	; wave barrier
	s_and_saveexec_b64 s[24:25], s[6:7]
	s_cbranch_execz .LBB73_160
; %bb.151:
	s_and_b64 vcc, exec, s[4:5]
	s_cbranch_vccnz .LBB73_153
; %bb.152:
	v_cmp_eq_u32_e32 vcc, 1, v0
	v_cndmask_b32_e32 v22, v3, v5, vcc
	v_cmp_eq_u32_e64 s[8:9], 2, v0
	v_cndmask_b32_e64 v22, v22, v7, s[8:9]
	v_cmp_eq_u32_e64 s[10:11], 3, v0
	v_cndmask_b32_e64 v22, v22, v9, s[10:11]
	;; [unrolled: 2-line block ×8, first 2 shown]
	v_cndmask_b32_e32 v22, v2, v4, vcc
	v_cndmask_b32_e64 v22, v22, v6, s[8:9]
	v_cndmask_b32_e64 v22, v22, v8, s[10:11]
	;; [unrolled: 1-line block ×4, first 2 shown]
	ds_read_b64 v[24:25], v88
	v_cndmask_b32_e64 v22, v22, v14, s[16:17]
	v_cndmask_b32_e64 v22, v22, v16, s[18:19]
	;; [unrolled: 1-line block ×4, first 2 shown]
	s_waitcnt lgkmcnt(0)
	v_mul_f64 v[22:23], v[22:23], v[24:25]
	s_cbranch_execz .LBB73_154
	s_branch .LBB73_155
.LBB73_153:
                                        ; implicit-def: $vgpr22_vgpr23
.LBB73_154:
	ds_read_b64 v[22:23], v88
.LBB73_155:
	v_cmp_ne_u32_e32 vcc, 3, v0
	s_and_saveexec_b64 s[10:11], vcc
	s_cbranch_execz .LBB73_159
; %bb.156:
	v_mov_b32_e32 v24, 0x58
	v_lshl_add_u32 v26, v0, 3, v24
	v_mov_b32_e32 v25, v1
	s_mov_b64 s[12:13], 0
	v_mov_b32_e32 v24, v0
.LBB73_157:                             ; =>This Inner Loop Header: Depth=1
	v_add_co_u32_e32 v24, vcc, 1, v24
	v_addc_co_u32_e32 v25, vcc, 0, v25, vcc
	v_cmp_eq_u32_e32 vcc, 1, v24
	v_cndmask_b32_e32 v29, v3, v5, vcc
	v_cmp_eq_u32_e64 s[8:9], 2, v24
	v_cndmask_b32_e64 v29, v29, v7, s[8:9]
	v_cndmask_b32_e32 v30, v2, v4, vcc
	v_cmp_eq_u32_e32 vcc, 3, v24
	v_cndmask_b32_e32 v29, v29, v9, vcc
	v_cndmask_b32_e64 v30, v30, v6, s[8:9]
	v_cmp_eq_u32_e64 s[8:9], 4, v24
	v_cndmask_b32_e64 v29, v29, v11, s[8:9]
	v_cndmask_b32_e32 v30, v30, v8, vcc
	v_cmp_eq_u32_e32 vcc, 5, v24
	v_cndmask_b32_e32 v29, v29, v13, vcc
	v_cndmask_b32_e64 v30, v30, v10, s[8:9]
	v_cmp_eq_u32_e64 s[8:9], 6, v24
	ds_read_b64 v[27:28], v26
	v_cndmask_b32_e64 v29, v29, v15, s[8:9]
	v_cndmask_b32_e32 v30, v30, v12, vcc
	v_cmp_eq_u32_e32 vcc, 7, v24
	v_cndmask_b32_e32 v29, v29, v17, vcc
	v_cndmask_b32_e64 v30, v30, v14, s[8:9]
	v_cmp_eq_u32_e64 s[8:9], 8, v24
	v_cndmask_b32_e64 v29, v29, v19, s[8:9]
	v_cndmask_b32_e32 v31, v30, v16, vcc
	v_cmp_eq_u32_e32 vcc, 9, v24
	v_cndmask_b32_e32 v30, v29, v21, vcc
	v_cndmask_b32_e64 v29, v31, v18, s[8:9]
	v_cndmask_b32_e32 v29, v29, v20, vcc
	s_waitcnt lgkmcnt(0)
	v_fma_f64 v[22:23], v[29:30], v[27:28], v[22:23]
	v_cmp_lt_u32_e32 vcc, 2, v24
	s_or_b64 s[12:13], vcc, s[12:13]
	v_add_u32_e32 v26, 8, v26
	s_andn2_b64 exec, exec, s[12:13]
	s_cbranch_execnz .LBB73_157
; %bb.158:
	s_or_b64 exec, exec, s[12:13]
.LBB73_159:
	s_or_b64 exec, exec, s[10:11]
	v_mov_b32_e32 v10, 0
	ds_read_b64 v[10:11], v10 offset:32
	s_waitcnt lgkmcnt(0)
	v_mul_f64 v[10:11], v[22:23], v[10:11]
.LBB73_160:
	s_or_b64 exec, exec, s[24:25]
	v_cmp_gt_u32_e32 vcc, 5, v0
	ds_write_b64 v88, v[12:13]
	s_waitcnt lgkmcnt(0)
	; wave barrier
	s_and_saveexec_b64 s[24:25], vcc
	s_cbranch_execz .LBB73_170
; %bb.161:
	s_and_b64 vcc, exec, s[4:5]
	s_cbranch_vccnz .LBB73_163
; %bb.162:
	v_cmp_eq_u32_e32 vcc, 1, v0
	v_cndmask_b32_e32 v22, v3, v5, vcc
	v_cmp_eq_u32_e64 s[8:9], 2, v0
	v_cndmask_b32_e64 v22, v22, v7, s[8:9]
	v_cmp_eq_u32_e64 s[10:11], 3, v0
	v_cndmask_b32_e64 v22, v22, v9, s[10:11]
	;; [unrolled: 2-line block ×8, first 2 shown]
	v_cndmask_b32_e32 v22, v2, v4, vcc
	v_cndmask_b32_e64 v22, v22, v6, s[8:9]
	v_cndmask_b32_e64 v22, v22, v8, s[10:11]
	;; [unrolled: 1-line block ×4, first 2 shown]
	ds_read_b64 v[24:25], v88
	v_cndmask_b32_e64 v22, v22, v14, s[16:17]
	v_cndmask_b32_e64 v22, v22, v16, s[18:19]
	;; [unrolled: 1-line block ×4, first 2 shown]
	s_waitcnt lgkmcnt(0)
	v_mul_f64 v[22:23], v[22:23], v[24:25]
	s_cbranch_execz .LBB73_164
	s_branch .LBB73_165
.LBB73_163:
                                        ; implicit-def: $vgpr22_vgpr23
.LBB73_164:
	ds_read_b64 v[22:23], v88
.LBB73_165:
	v_cmp_ne_u32_e32 vcc, 4, v0
	s_and_saveexec_b64 s[10:11], vcc
	s_cbranch_execz .LBB73_169
; %bb.166:
	v_mov_b32_e32 v24, 0x58
	v_lshl_add_u32 v26, v0, 3, v24
	v_mov_b32_e32 v25, v1
	s_mov_b64 s[12:13], 0
	v_mov_b32_e32 v24, v0
.LBB73_167:                             ; =>This Inner Loop Header: Depth=1
	v_add_co_u32_e32 v24, vcc, 1, v24
	v_addc_co_u32_e32 v25, vcc, 0, v25, vcc
	v_cmp_eq_u32_e32 vcc, 1, v24
	v_cndmask_b32_e32 v29, v3, v5, vcc
	v_cmp_eq_u32_e64 s[8:9], 2, v24
	v_cndmask_b32_e64 v29, v29, v7, s[8:9]
	v_cndmask_b32_e32 v30, v2, v4, vcc
	v_cmp_eq_u32_e32 vcc, 3, v24
	v_cndmask_b32_e32 v29, v29, v9, vcc
	v_cndmask_b32_e64 v30, v30, v6, s[8:9]
	v_cmp_eq_u32_e64 s[8:9], 4, v24
	v_cndmask_b32_e64 v29, v29, v11, s[8:9]
	v_cndmask_b32_e32 v30, v30, v8, vcc
	v_cmp_eq_u32_e32 vcc, 5, v24
	v_cndmask_b32_e32 v29, v29, v13, vcc
	v_cndmask_b32_e64 v30, v30, v10, s[8:9]
	v_cmp_eq_u32_e64 s[8:9], 6, v24
	ds_read_b64 v[27:28], v26
	v_cndmask_b32_e64 v29, v29, v15, s[8:9]
	v_cndmask_b32_e32 v30, v30, v12, vcc
	v_cmp_eq_u32_e32 vcc, 7, v24
	v_cndmask_b32_e32 v29, v29, v17, vcc
	v_cndmask_b32_e64 v30, v30, v14, s[8:9]
	v_cmp_eq_u32_e64 s[8:9], 8, v24
	v_cndmask_b32_e64 v29, v29, v19, s[8:9]
	v_cndmask_b32_e32 v31, v30, v16, vcc
	v_cmp_eq_u32_e32 vcc, 9, v24
	v_cndmask_b32_e32 v30, v29, v21, vcc
	v_cndmask_b32_e64 v29, v31, v18, s[8:9]
	v_cndmask_b32_e32 v29, v29, v20, vcc
	s_waitcnt lgkmcnt(0)
	v_fma_f64 v[22:23], v[29:30], v[27:28], v[22:23]
	v_cmp_lt_u32_e32 vcc, 3, v24
	s_or_b64 s[12:13], vcc, s[12:13]
	v_add_u32_e32 v26, 8, v26
	s_andn2_b64 exec, exec, s[12:13]
	s_cbranch_execnz .LBB73_167
; %bb.168:
	s_or_b64 exec, exec, s[12:13]
.LBB73_169:
	s_or_b64 exec, exec, s[10:11]
	v_mov_b32_e32 v12, 0
	ds_read_b64 v[12:13], v12 offset:40
	s_waitcnt lgkmcnt(0)
	v_mul_f64 v[12:13], v[22:23], v[12:13]
.LBB73_170:
	s_or_b64 exec, exec, s[24:25]
	v_cmp_gt_u32_e64 s[8:9], 6, v0
	ds_write_b64 v88, v[14:15]
	s_waitcnt lgkmcnt(0)
	; wave barrier
	s_and_saveexec_b64 s[26:27], s[8:9]
	s_cbranch_execz .LBB73_180
; %bb.171:
	s_and_b64 vcc, exec, s[4:5]
	s_cbranch_vccnz .LBB73_173
; %bb.172:
	v_cmp_eq_u32_e32 vcc, 1, v0
	v_cndmask_b32_e32 v22, v3, v5, vcc
	v_cmp_eq_u32_e64 s[10:11], 2, v0
	v_cndmask_b32_e64 v22, v22, v7, s[10:11]
	v_cmp_eq_u32_e64 s[12:13], 3, v0
	v_cndmask_b32_e64 v22, v22, v9, s[12:13]
	;; [unrolled: 2-line block ×8, first 2 shown]
	v_cndmask_b32_e32 v22, v2, v4, vcc
	v_cndmask_b32_e64 v22, v22, v6, s[10:11]
	v_cndmask_b32_e64 v22, v22, v8, s[12:13]
	;; [unrolled: 1-line block ×4, first 2 shown]
	ds_read_b64 v[24:25], v88
	v_cndmask_b32_e64 v22, v22, v14, s[18:19]
	v_cndmask_b32_e64 v22, v22, v16, s[20:21]
	;; [unrolled: 1-line block ×4, first 2 shown]
	s_waitcnt lgkmcnt(0)
	v_mul_f64 v[22:23], v[22:23], v[24:25]
	s_cbranch_execz .LBB73_174
	s_branch .LBB73_175
.LBB73_173:
                                        ; implicit-def: $vgpr22_vgpr23
.LBB73_174:
	ds_read_b64 v[22:23], v88
.LBB73_175:
	v_cmp_ne_u32_e32 vcc, 5, v0
	s_and_saveexec_b64 s[12:13], vcc
	s_cbranch_execz .LBB73_179
; %bb.176:
	v_mov_b32_e32 v24, 0x58
	v_lshl_add_u32 v26, v0, 3, v24
	v_mov_b32_e32 v25, v1
	s_mov_b64 s[14:15], 0
	v_mov_b32_e32 v24, v0
.LBB73_177:                             ; =>This Inner Loop Header: Depth=1
	v_add_co_u32_e32 v24, vcc, 1, v24
	v_addc_co_u32_e32 v25, vcc, 0, v25, vcc
	v_cmp_eq_u32_e32 vcc, 1, v24
	v_cndmask_b32_e32 v29, v3, v5, vcc
	v_cmp_eq_u32_e64 s[10:11], 2, v24
	v_cndmask_b32_e64 v29, v29, v7, s[10:11]
	v_cndmask_b32_e32 v30, v2, v4, vcc
	v_cmp_eq_u32_e32 vcc, 3, v24
	v_cndmask_b32_e32 v29, v29, v9, vcc
	v_cndmask_b32_e64 v30, v30, v6, s[10:11]
	v_cmp_eq_u32_e64 s[10:11], 4, v24
	v_cndmask_b32_e64 v29, v29, v11, s[10:11]
	v_cndmask_b32_e32 v30, v30, v8, vcc
	v_cmp_eq_u32_e32 vcc, 5, v24
	v_cndmask_b32_e32 v29, v29, v13, vcc
	v_cndmask_b32_e64 v30, v30, v10, s[10:11]
	v_cmp_eq_u32_e64 s[10:11], 6, v24
	ds_read_b64 v[27:28], v26
	v_cndmask_b32_e64 v29, v29, v15, s[10:11]
	v_cndmask_b32_e32 v30, v30, v12, vcc
	v_cmp_eq_u32_e32 vcc, 7, v24
	v_cndmask_b32_e32 v29, v29, v17, vcc
	v_cndmask_b32_e64 v30, v30, v14, s[10:11]
	v_cmp_eq_u32_e64 s[10:11], 8, v24
	v_cndmask_b32_e64 v29, v29, v19, s[10:11]
	v_cndmask_b32_e32 v31, v30, v16, vcc
	v_cmp_eq_u32_e32 vcc, 9, v24
	v_cndmask_b32_e32 v30, v29, v21, vcc
	v_cndmask_b32_e64 v29, v31, v18, s[10:11]
	v_cndmask_b32_e32 v29, v29, v20, vcc
	s_waitcnt lgkmcnt(0)
	v_fma_f64 v[22:23], v[29:30], v[27:28], v[22:23]
	v_cmp_lt_u32_e32 vcc, 4, v24
	s_or_b64 s[14:15], vcc, s[14:15]
	v_add_u32_e32 v26, 8, v26
	s_andn2_b64 exec, exec, s[14:15]
	s_cbranch_execnz .LBB73_177
; %bb.178:
	s_or_b64 exec, exec, s[14:15]
.LBB73_179:
	s_or_b64 exec, exec, s[12:13]
	v_mov_b32_e32 v14, 0
	ds_read_b64 v[14:15], v14 offset:48
	s_waitcnt lgkmcnt(0)
	v_mul_f64 v[14:15], v[22:23], v[14:15]
.LBB73_180:
	s_or_b64 exec, exec, s[26:27]
	v_cmp_gt_u32_e32 vcc, 7, v0
	ds_write_b64 v88, v[16:17]
	s_waitcnt lgkmcnt(0)
	; wave barrier
	s_and_saveexec_b64 s[26:27], vcc
	s_cbranch_execz .LBB73_190
; %bb.181:
	s_and_b64 vcc, exec, s[4:5]
	s_cbranch_vccnz .LBB73_183
; %bb.182:
	v_cmp_eq_u32_e32 vcc, 1, v0
	v_cndmask_b32_e32 v22, v3, v5, vcc
	v_cmp_eq_u32_e64 s[10:11], 2, v0
	v_cndmask_b32_e64 v22, v22, v7, s[10:11]
	v_cmp_eq_u32_e64 s[12:13], 3, v0
	v_cndmask_b32_e64 v22, v22, v9, s[12:13]
	;; [unrolled: 2-line block ×8, first 2 shown]
	v_cndmask_b32_e32 v22, v2, v4, vcc
	v_cndmask_b32_e64 v22, v22, v6, s[10:11]
	v_cndmask_b32_e64 v22, v22, v8, s[12:13]
	;; [unrolled: 1-line block ×4, first 2 shown]
	ds_read_b64 v[24:25], v88
	v_cndmask_b32_e64 v22, v22, v14, s[18:19]
	v_cndmask_b32_e64 v22, v22, v16, s[20:21]
	;; [unrolled: 1-line block ×4, first 2 shown]
	s_waitcnt lgkmcnt(0)
	v_mul_f64 v[22:23], v[22:23], v[24:25]
	s_cbranch_execz .LBB73_184
	s_branch .LBB73_185
.LBB73_183:
                                        ; implicit-def: $vgpr22_vgpr23
.LBB73_184:
	ds_read_b64 v[22:23], v88
.LBB73_185:
	v_cmp_ne_u32_e32 vcc, 6, v0
	s_and_saveexec_b64 s[12:13], vcc
	s_cbranch_execz .LBB73_189
; %bb.186:
	v_mov_b32_e32 v24, 0x58
	v_lshl_add_u32 v26, v0, 3, v24
	v_mov_b32_e32 v25, v1
	s_mov_b64 s[14:15], 0
	v_mov_b32_e32 v24, v0
.LBB73_187:                             ; =>This Inner Loop Header: Depth=1
	v_add_co_u32_e32 v24, vcc, 1, v24
	v_addc_co_u32_e32 v25, vcc, 0, v25, vcc
	v_cmp_eq_u32_e32 vcc, 1, v24
	v_cndmask_b32_e32 v29, v3, v5, vcc
	v_cmp_eq_u32_e64 s[10:11], 2, v24
	v_cndmask_b32_e64 v29, v29, v7, s[10:11]
	v_cndmask_b32_e32 v30, v2, v4, vcc
	v_cmp_eq_u32_e32 vcc, 3, v24
	v_cndmask_b32_e32 v29, v29, v9, vcc
	v_cndmask_b32_e64 v30, v30, v6, s[10:11]
	v_cmp_eq_u32_e64 s[10:11], 4, v24
	v_cndmask_b32_e64 v29, v29, v11, s[10:11]
	v_cndmask_b32_e32 v30, v30, v8, vcc
	v_cmp_eq_u32_e32 vcc, 5, v24
	v_cndmask_b32_e32 v29, v29, v13, vcc
	v_cndmask_b32_e64 v30, v30, v10, s[10:11]
	v_cmp_eq_u32_e64 s[10:11], 6, v24
	ds_read_b64 v[27:28], v26
	v_cndmask_b32_e64 v29, v29, v15, s[10:11]
	v_cndmask_b32_e32 v30, v30, v12, vcc
	v_cmp_eq_u32_e32 vcc, 7, v24
	v_cndmask_b32_e32 v29, v29, v17, vcc
	v_cndmask_b32_e64 v30, v30, v14, s[10:11]
	v_cmp_eq_u32_e64 s[10:11], 8, v24
	v_cndmask_b32_e64 v29, v29, v19, s[10:11]
	v_cndmask_b32_e32 v31, v30, v16, vcc
	v_cmp_eq_u32_e32 vcc, 9, v24
	v_cndmask_b32_e32 v30, v29, v21, vcc
	v_cndmask_b32_e64 v29, v31, v18, s[10:11]
	v_cndmask_b32_e32 v29, v29, v20, vcc
	s_waitcnt lgkmcnt(0)
	v_fma_f64 v[22:23], v[29:30], v[27:28], v[22:23]
	v_cmp_lt_u32_e32 vcc, 5, v24
	s_or_b64 s[14:15], vcc, s[14:15]
	v_add_u32_e32 v26, 8, v26
	s_andn2_b64 exec, exec, s[14:15]
	s_cbranch_execnz .LBB73_187
; %bb.188:
	s_or_b64 exec, exec, s[14:15]
.LBB73_189:
	s_or_b64 exec, exec, s[12:13]
	v_mov_b32_e32 v16, 0
	ds_read_b64 v[16:17], v16 offset:56
	s_waitcnt lgkmcnt(0)
	v_mul_f64 v[16:17], v[22:23], v[16:17]
.LBB73_190:
	s_or_b64 exec, exec, s[26:27]
	v_cmp_gt_u32_e64 s[10:11], 8, v0
	ds_write_b64 v88, v[18:19]
	s_waitcnt lgkmcnt(0)
	; wave barrier
	s_and_saveexec_b64 s[28:29], s[10:11]
	s_cbranch_execz .LBB73_200
; %bb.191:
	s_and_b64 vcc, exec, s[4:5]
	s_cbranch_vccnz .LBB73_193
; %bb.192:
	v_cmp_eq_u32_e32 vcc, 1, v0
	v_cndmask_b32_e32 v22, v3, v5, vcc
	v_cmp_eq_u32_e64 s[12:13], 2, v0
	v_cndmask_b32_e64 v22, v22, v7, s[12:13]
	v_cmp_eq_u32_e64 s[14:15], 3, v0
	v_cndmask_b32_e64 v22, v22, v9, s[14:15]
	;; [unrolled: 2-line block ×8, first 2 shown]
	v_cndmask_b32_e32 v22, v2, v4, vcc
	v_cndmask_b32_e64 v22, v22, v6, s[12:13]
	v_cndmask_b32_e64 v22, v22, v8, s[14:15]
	;; [unrolled: 1-line block ×4, first 2 shown]
	ds_read_b64 v[24:25], v88
	v_cndmask_b32_e64 v22, v22, v14, s[20:21]
	v_cndmask_b32_e64 v22, v22, v16, s[22:23]
	;; [unrolled: 1-line block ×4, first 2 shown]
	s_waitcnt lgkmcnt(0)
	v_mul_f64 v[22:23], v[22:23], v[24:25]
	s_cbranch_execz .LBB73_194
	s_branch .LBB73_195
.LBB73_193:
                                        ; implicit-def: $vgpr22_vgpr23
.LBB73_194:
	ds_read_b64 v[22:23], v88
.LBB73_195:
	v_cmp_ne_u32_e32 vcc, 7, v0
	s_and_saveexec_b64 s[14:15], vcc
	s_cbranch_execz .LBB73_199
; %bb.196:
	v_mov_b32_e32 v24, 0x58
	v_lshl_add_u32 v26, v0, 3, v24
	v_mov_b32_e32 v25, v1
	s_mov_b64 s[16:17], 0
	v_mov_b32_e32 v24, v0
.LBB73_197:                             ; =>This Inner Loop Header: Depth=1
	v_add_co_u32_e32 v24, vcc, 1, v24
	v_addc_co_u32_e32 v25, vcc, 0, v25, vcc
	v_cmp_eq_u32_e32 vcc, 1, v24
	v_cndmask_b32_e32 v1, v3, v5, vcc
	v_cmp_eq_u32_e64 s[12:13], 2, v24
	v_cndmask_b32_e64 v1, v1, v7, s[12:13]
	v_cndmask_b32_e32 v29, v2, v4, vcc
	v_cmp_eq_u32_e32 vcc, 3, v24
	v_cndmask_b32_e32 v1, v1, v9, vcc
	v_cndmask_b32_e64 v29, v29, v6, s[12:13]
	v_cmp_eq_u32_e64 s[12:13], 4, v24
	v_cndmask_b32_e64 v1, v1, v11, s[12:13]
	v_cndmask_b32_e32 v29, v29, v8, vcc
	v_cmp_eq_u32_e32 vcc, 5, v24
	v_cndmask_b32_e32 v1, v1, v13, vcc
	v_cndmask_b32_e64 v29, v29, v10, s[12:13]
	v_cmp_eq_u32_e64 s[12:13], 6, v24
	ds_read_b64 v[27:28], v26
	v_cndmask_b32_e64 v1, v1, v15, s[12:13]
	v_cndmask_b32_e32 v29, v29, v12, vcc
	v_cmp_eq_u32_e32 vcc, 7, v24
	v_cndmask_b32_e32 v1, v1, v17, vcc
	v_cndmask_b32_e64 v29, v29, v14, s[12:13]
	v_cmp_eq_u32_e64 s[12:13], 8, v24
	v_cndmask_b32_e64 v1, v1, v19, s[12:13]
	v_cndmask_b32_e32 v29, v29, v16, vcc
	v_cmp_eq_u32_e32 vcc, 9, v24
	v_cndmask_b32_e32 v30, v1, v21, vcc
	v_cndmask_b32_e64 v1, v29, v18, s[12:13]
	v_cndmask_b32_e32 v29, v1, v20, vcc
	s_waitcnt lgkmcnt(0)
	v_fma_f64 v[22:23], v[29:30], v[27:28], v[22:23]
	v_cmp_lt_u32_e32 vcc, 6, v24
	s_or_b64 s[16:17], vcc, s[16:17]
	v_add_u32_e32 v26, 8, v26
	s_andn2_b64 exec, exec, s[16:17]
	s_cbranch_execnz .LBB73_197
; %bb.198:
	s_or_b64 exec, exec, s[16:17]
.LBB73_199:
	s_or_b64 exec, exec, s[14:15]
	v_mov_b32_e32 v1, 0
	ds_read_b64 v[18:19], v1 offset:64
	s_waitcnt lgkmcnt(0)
	v_mul_f64 v[18:19], v[22:23], v[18:19]
.LBB73_200:
	s_or_b64 exec, exec, s[28:29]
	v_cmp_ne_u32_e32 vcc, 9, v0
	ds_write_b64 v88, v[20:21]
	s_waitcnt lgkmcnt(0)
	; wave barrier
	s_and_saveexec_b64 s[26:27], vcc
	s_cbranch_execz .LBB73_222
; %bb.201:
	s_and_b64 vcc, exec, s[4:5]
	s_cbranch_vccnz .LBB73_203
; %bb.202:
	v_cmp_eq_u32_e32 vcc, 1, v0
	v_cndmask_b32_e32 v1, v3, v5, vcc
	v_cmp_eq_u32_e64 s[4:5], 2, v0
	v_cndmask_b32_e64 v1, v1, v7, s[4:5]
	v_cmp_eq_u32_e64 s[12:13], 3, v0
	v_cndmask_b32_e64 v1, v1, v9, s[12:13]
	v_cmp_eq_u32_e64 s[14:15], 4, v0
	v_cndmask_b32_e64 v1, v1, v11, s[14:15]
	v_cmp_eq_u32_e64 s[16:17], 5, v0
	v_cndmask_b32_e64 v1, v1, v13, s[16:17]
	v_cmp_eq_u32_e64 s[18:19], 6, v0
	v_cndmask_b32_e64 v1, v1, v15, s[18:19]
	v_cmp_eq_u32_e64 s[20:21], 7, v0
	v_cndmask_b32_e64 v1, v1, v17, s[20:21]
	v_cmp_eq_u32_e64 s[22:23], 8, v0
	v_cndmask_b32_e64 v1, v1, v19, s[22:23]
	v_cmp_eq_u32_e64 s[24:25], 9, v0
	v_cndmask_b32_e64 v23, v1, v21, s[24:25]
	v_cndmask_b32_e32 v1, v2, v4, vcc
	v_cndmask_b32_e64 v1, v1, v6, s[4:5]
	v_cndmask_b32_e64 v1, v1, v8, s[12:13]
	v_cndmask_b32_e64 v1, v1, v10, s[14:15]
	v_cndmask_b32_e64 v1, v1, v12, s[16:17]
	ds_read_b64 v[24:25], v88
	v_cndmask_b32_e64 v1, v1, v14, s[18:19]
	v_cndmask_b32_e64 v1, v1, v16, s[20:21]
	;; [unrolled: 1-line block ×4, first 2 shown]
	s_waitcnt lgkmcnt(0)
	v_mul_f64 v[22:23], v[22:23], v[24:25]
	s_cbranch_execz .LBB73_204
	s_branch .LBB73_205
.LBB73_203:
                                        ; implicit-def: $vgpr22_vgpr23
.LBB73_204:
	ds_read_b64 v[22:23], v88
.LBB73_205:
	s_and_saveexec_b64 s[24:25], s[10:11]
	s_cbranch_execz .LBB73_221
; %bb.206:
	v_cmp_eq_u32_e32 vcc, 1, v34
	v_cndmask_b32_e32 v1, v3, v5, vcc
	v_cmp_eq_u32_e64 s[4:5], 2, v34
	v_cndmask_b32_e64 v1, v1, v7, s[4:5]
	v_cmp_eq_u32_e64 s[10:11], 3, v34
	v_cndmask_b32_e64 v1, v1, v9, s[10:11]
	;; [unrolled: 2-line block ×8, first 2 shown]
	v_cndmask_b32_e32 v1, v2, v4, vcc
	v_cndmask_b32_e64 v1, v1, v6, s[4:5]
	v_cndmask_b32_e64 v1, v1, v8, s[10:11]
	;; [unrolled: 1-line block ×4, first 2 shown]
	ds_read_b64 v[26:27], v88 offset:8
	v_cndmask_b32_e64 v1, v1, v14, s[16:17]
	v_cndmask_b32_e64 v1, v1, v16, s[18:19]
	;; [unrolled: 1-line block ×4, first 2 shown]
	s_waitcnt lgkmcnt(0)
	v_fma_f64 v[22:23], v[24:25], v[26:27], v[22:23]
	v_cmp_ne_u32_e32 vcc, 7, v0
	s_and_saveexec_b64 s[28:29], vcc
	s_cbranch_execz .LBB73_220
; %bb.207:
	v_add_u32_e32 v1, 2, v0
	v_cmp_eq_u32_e32 vcc, 1, v1
	v_cndmask_b32_e32 v24, v3, v5, vcc
	v_cmp_eq_u32_e64 s[4:5], 2, v1
	v_cmp_eq_u32_e64 s[10:11], 3, v1
	;; [unrolled: 1-line block ×8, first 2 shown]
	v_cndmask_b32_e32 v1, v2, v4, vcc
	v_cndmask_b32_e64 v24, v24, v7, s[4:5]
	v_cndmask_b32_e64 v1, v1, v6, s[4:5]
	;; [unrolled: 1-line block ×8, first 2 shown]
	ds_read_b64 v[26:27], v88 offset:16
	v_cndmask_b32_e64 v24, v24, v15, s[16:17]
	v_cndmask_b32_e64 v1, v1, v14, s[16:17]
	;; [unrolled: 1-line block ×8, first 2 shown]
	s_waitcnt lgkmcnt(0)
	v_fma_f64 v[22:23], v[24:25], v[26:27], v[22:23]
	s_and_saveexec_b64 s[22:23], s[8:9]
	s_cbranch_execz .LBB73_219
; %bb.208:
	v_add_u32_e32 v1, 3, v0
	v_cmp_eq_u32_e32 vcc, 1, v1
	v_cndmask_b32_e32 v24, v3, v5, vcc
	v_cmp_eq_u32_e64 s[4:5], 2, v1
	v_cmp_eq_u32_e64 s[8:9], 3, v1
	;; [unrolled: 1-line block ×8, first 2 shown]
	v_cndmask_b32_e32 v1, v2, v4, vcc
	v_cndmask_b32_e64 v24, v24, v7, s[4:5]
	v_cndmask_b32_e64 v1, v1, v6, s[4:5]
	;; [unrolled: 1-line block ×8, first 2 shown]
	ds_read_b64 v[26:27], v88 offset:24
	v_cndmask_b32_e64 v24, v24, v15, s[14:15]
	v_cndmask_b32_e64 v1, v1, v14, s[14:15]
	;; [unrolled: 1-line block ×8, first 2 shown]
	s_waitcnt lgkmcnt(0)
	v_fma_f64 v[22:23], v[24:25], v[26:27], v[22:23]
	v_cmp_ne_u32_e32 vcc, 5, v0
	s_and_saveexec_b64 s[30:31], vcc
	s_cbranch_execz .LBB73_218
; %bb.209:
	v_add_u32_e32 v1, 4, v0
	v_cmp_eq_u32_e32 vcc, 1, v1
	v_cndmask_b32_e32 v24, v3, v5, vcc
	v_cmp_eq_u32_e64 s[4:5], 2, v1
	v_cmp_eq_u32_e64 s[8:9], 3, v1
	;; [unrolled: 1-line block ×8, first 2 shown]
	v_cndmask_b32_e32 v1, v2, v4, vcc
	v_cndmask_b32_e64 v24, v24, v7, s[4:5]
	v_cndmask_b32_e64 v1, v1, v6, s[4:5]
	;; [unrolled: 1-line block ×8, first 2 shown]
	ds_read_b64 v[26:27], v88 offset:32
	v_cndmask_b32_e64 v24, v24, v15, s[14:15]
	v_cndmask_b32_e64 v1, v1, v14, s[14:15]
	;; [unrolled: 1-line block ×8, first 2 shown]
	s_waitcnt lgkmcnt(0)
	v_fma_f64 v[22:23], v[24:25], v[26:27], v[22:23]
	s_and_saveexec_b64 s[20:21], s[6:7]
	s_cbranch_execz .LBB73_217
; %bb.210:
	v_add_u32_e32 v1, 5, v0
	v_cmp_eq_u32_e32 vcc, 1, v1
	v_cndmask_b32_e32 v24, v3, v5, vcc
	v_cmp_eq_u32_e64 s[4:5], 2, v1
	v_cmp_eq_u32_e64 s[6:7], 3, v1
	;; [unrolled: 1-line block ×8, first 2 shown]
	v_cndmask_b32_e32 v1, v2, v4, vcc
	v_cndmask_b32_e64 v24, v24, v7, s[4:5]
	v_cndmask_b32_e64 v1, v1, v6, s[4:5]
	v_cndmask_b32_e64 v24, v24, v9, s[6:7]
	v_cndmask_b32_e64 v1, v1, v8, s[6:7]
	v_cndmask_b32_e64 v24, v24, v11, s[8:9]
	v_cndmask_b32_e64 v1, v1, v10, s[8:9]
	v_cndmask_b32_e64 v24, v24, v13, s[10:11]
	v_cndmask_b32_e64 v1, v1, v12, s[10:11]
	ds_read_b64 v[26:27], v88 offset:40
	v_cndmask_b32_e64 v24, v24, v15, s[12:13]
	v_cndmask_b32_e64 v1, v1, v14, s[12:13]
	;; [unrolled: 1-line block ×8, first 2 shown]
	s_waitcnt lgkmcnt(0)
	v_fma_f64 v[22:23], v[24:25], v[26:27], v[22:23]
	v_cmp_ne_u32_e32 vcc, 3, v0
	s_and_saveexec_b64 s[34:35], vcc
	s_cbranch_execz .LBB73_216
; %bb.211:
	v_add_u32_e32 v1, 6, v0
	v_cmp_eq_u32_e32 vcc, 1, v1
	v_cndmask_b32_e32 v24, v3, v5, vcc
	v_cmp_eq_u32_e64 s[4:5], 2, v1
	v_cmp_eq_u32_e64 s[6:7], 3, v1
	;; [unrolled: 1-line block ×8, first 2 shown]
	v_cndmask_b32_e32 v1, v2, v4, vcc
	v_cndmask_b32_e64 v24, v24, v7, s[4:5]
	v_cndmask_b32_e64 v1, v1, v6, s[4:5]
	;; [unrolled: 1-line block ×8, first 2 shown]
	ds_read_b64 v[26:27], v88 offset:48
	v_cndmask_b32_e64 v24, v24, v15, s[12:13]
	v_cndmask_b32_e64 v1, v1, v14, s[12:13]
	;; [unrolled: 1-line block ×8, first 2 shown]
	s_waitcnt lgkmcnt(0)
	v_fma_f64 v[22:23], v[24:25], v[26:27], v[22:23]
	s_and_saveexec_b64 s[18:19], s[2:3]
	s_cbranch_execz .LBB73_215
; %bb.212:
	v_add_u32_e32 v0, 7, v0
	v_cmp_eq_u32_e32 vcc, 1, v0
	v_cndmask_b32_e32 v1, v3, v5, vcc
	v_cmp_eq_u32_e64 s[2:3], 2, v0
	v_cmp_eq_u32_e64 s[4:5], 3, v0
	;; [unrolled: 1-line block ×8, first 2 shown]
	v_cndmask_b32_e32 v0, v2, v4, vcc
	v_cndmask_b32_e64 v1, v1, v7, s[2:3]
	v_cndmask_b32_e64 v0, v0, v6, s[2:3]
	;; [unrolled: 1-line block ×8, first 2 shown]
	ds_read_b64 v[24:25], v88 offset:56
	v_cndmask_b32_e64 v1, v1, v15, s[10:11]
	v_cndmask_b32_e64 v0, v0, v14, s[10:11]
	;; [unrolled: 1-line block ×8, first 2 shown]
	s_waitcnt lgkmcnt(0)
	v_fma_f64 v[22:23], v[0:1], v[24:25], v[22:23]
	s_and_saveexec_b64 s[2:3], s[0:1]
	s_cbranch_execz .LBB73_214
; %bb.213:
	ds_read_b64 v[0:1], v88 offset:64
	s_waitcnt lgkmcnt(0)
	v_fma_f64 v[22:23], v[18:19], v[0:1], v[22:23]
.LBB73_214:
	s_or_b64 exec, exec, s[2:3]
.LBB73_215:
	s_or_b64 exec, exec, s[18:19]
.LBB73_216:
	s_or_b64 exec, exec, s[34:35]
.LBB73_217:
	s_or_b64 exec, exec, s[20:21]
.LBB73_218:
	s_or_b64 exec, exec, s[30:31]
.LBB73_219:
	s_or_b64 exec, exec, s[22:23]
.LBB73_220:
	s_or_b64 exec, exec, s[28:29]
.LBB73_221:
	s_or_b64 exec, exec, s[24:25]
	v_mov_b32_e32 v0, 0
	ds_read_b64 v[0:1], v0 offset:72
	s_waitcnt lgkmcnt(0)
	v_mul_f64 v[20:21], v[22:23], v[0:1]
.LBB73_222:
	s_or_b64 exec, exec, s[26:27]
	v_mov_b32_e32 v65, v33
	v_mov_b32_e32 v64, v32
	;; [unrolled: 1-line block ×32, first 2 shown]
.LBB73_223:
	flat_store_dwordx2 v[82:83], v[34:35]
	flat_store_dwordx2 v[84:85], v[36:37]
	;; [unrolled: 1-line block ×10, first 2 shown]
.LBB73_224:
	s_endpgm
	.section	.rodata,"a",@progbits
	.p2align	6, 0x0
	.amdhsa_kernel _ZN9rocsolver6v33100L18trti2_kernel_smallILi10EdPKPdEEv13rocblas_fill_17rocblas_diagonal_T1_iil
		.amdhsa_group_segment_fixed_size 160
		.amdhsa_private_segment_fixed_size 0
		.amdhsa_kernarg_size 32
		.amdhsa_user_sgpr_count 6
		.amdhsa_user_sgpr_private_segment_buffer 1
		.amdhsa_user_sgpr_dispatch_ptr 0
		.amdhsa_user_sgpr_queue_ptr 0
		.amdhsa_user_sgpr_kernarg_segment_ptr 1
		.amdhsa_user_sgpr_dispatch_id 0
		.amdhsa_user_sgpr_flat_scratch_init 0
		.amdhsa_user_sgpr_private_segment_size 0
		.amdhsa_uses_dynamic_stack 0
		.amdhsa_system_sgpr_private_segment_wavefront_offset 0
		.amdhsa_system_sgpr_workgroup_id_x 1
		.amdhsa_system_sgpr_workgroup_id_y 0
		.amdhsa_system_sgpr_workgroup_id_z 0
		.amdhsa_system_sgpr_workgroup_info 0
		.amdhsa_system_vgpr_workitem_id 0
		.amdhsa_next_free_vgpr 108
		.amdhsa_next_free_sgpr 36
		.amdhsa_reserve_vcc 1
		.amdhsa_reserve_flat_scratch 0
		.amdhsa_float_round_mode_32 0
		.amdhsa_float_round_mode_16_64 0
		.amdhsa_float_denorm_mode_32 3
		.amdhsa_float_denorm_mode_16_64 3
		.amdhsa_dx10_clamp 1
		.amdhsa_ieee_mode 1
		.amdhsa_fp16_overflow 0
		.amdhsa_exception_fp_ieee_invalid_op 0
		.amdhsa_exception_fp_denorm_src 0
		.amdhsa_exception_fp_ieee_div_zero 0
		.amdhsa_exception_fp_ieee_overflow 0
		.amdhsa_exception_fp_ieee_underflow 0
		.amdhsa_exception_fp_ieee_inexact 0
		.amdhsa_exception_int_div_zero 0
	.end_amdhsa_kernel
	.section	.text._ZN9rocsolver6v33100L18trti2_kernel_smallILi10EdPKPdEEv13rocblas_fill_17rocblas_diagonal_T1_iil,"axG",@progbits,_ZN9rocsolver6v33100L18trti2_kernel_smallILi10EdPKPdEEv13rocblas_fill_17rocblas_diagonal_T1_iil,comdat
.Lfunc_end73:
	.size	_ZN9rocsolver6v33100L18trti2_kernel_smallILi10EdPKPdEEv13rocblas_fill_17rocblas_diagonal_T1_iil, .Lfunc_end73-_ZN9rocsolver6v33100L18trti2_kernel_smallILi10EdPKPdEEv13rocblas_fill_17rocblas_diagonal_T1_iil
                                        ; -- End function
	.set _ZN9rocsolver6v33100L18trti2_kernel_smallILi10EdPKPdEEv13rocblas_fill_17rocblas_diagonal_T1_iil.num_vgpr, 108
	.set _ZN9rocsolver6v33100L18trti2_kernel_smallILi10EdPKPdEEv13rocblas_fill_17rocblas_diagonal_T1_iil.num_agpr, 0
	.set _ZN9rocsolver6v33100L18trti2_kernel_smallILi10EdPKPdEEv13rocblas_fill_17rocblas_diagonal_T1_iil.numbered_sgpr, 36
	.set _ZN9rocsolver6v33100L18trti2_kernel_smallILi10EdPKPdEEv13rocblas_fill_17rocblas_diagonal_T1_iil.num_named_barrier, 0
	.set _ZN9rocsolver6v33100L18trti2_kernel_smallILi10EdPKPdEEv13rocblas_fill_17rocblas_diagonal_T1_iil.private_seg_size, 0
	.set _ZN9rocsolver6v33100L18trti2_kernel_smallILi10EdPKPdEEv13rocblas_fill_17rocblas_diagonal_T1_iil.uses_vcc, 1
	.set _ZN9rocsolver6v33100L18trti2_kernel_smallILi10EdPKPdEEv13rocblas_fill_17rocblas_diagonal_T1_iil.uses_flat_scratch, 0
	.set _ZN9rocsolver6v33100L18trti2_kernel_smallILi10EdPKPdEEv13rocblas_fill_17rocblas_diagonal_T1_iil.has_dyn_sized_stack, 0
	.set _ZN9rocsolver6v33100L18trti2_kernel_smallILi10EdPKPdEEv13rocblas_fill_17rocblas_diagonal_T1_iil.has_recursion, 0
	.set _ZN9rocsolver6v33100L18trti2_kernel_smallILi10EdPKPdEEv13rocblas_fill_17rocblas_diagonal_T1_iil.has_indirect_call, 0
	.section	.AMDGPU.csdata,"",@progbits
; Kernel info:
; codeLenInByte = 15180
; TotalNumSgprs: 40
; NumVgprs: 108
; ScratchSize: 0
; MemoryBound: 0
; FloatMode: 240
; IeeeMode: 1
; LDSByteSize: 160 bytes/workgroup (compile time only)
; SGPRBlocks: 4
; VGPRBlocks: 26
; NumSGPRsForWavesPerEU: 40
; NumVGPRsForWavesPerEU: 108
; Occupancy: 2
; WaveLimiterHint : 1
; COMPUTE_PGM_RSRC2:SCRATCH_EN: 0
; COMPUTE_PGM_RSRC2:USER_SGPR: 6
; COMPUTE_PGM_RSRC2:TRAP_HANDLER: 0
; COMPUTE_PGM_RSRC2:TGID_X_EN: 1
; COMPUTE_PGM_RSRC2:TGID_Y_EN: 0
; COMPUTE_PGM_RSRC2:TGID_Z_EN: 0
; COMPUTE_PGM_RSRC2:TIDIG_COMP_CNT: 0
	.section	.text._ZN9rocsolver6v33100L18trti2_kernel_smallILi11EdPKPdEEv13rocblas_fill_17rocblas_diagonal_T1_iil,"axG",@progbits,_ZN9rocsolver6v33100L18trti2_kernel_smallILi11EdPKPdEEv13rocblas_fill_17rocblas_diagonal_T1_iil,comdat
	.globl	_ZN9rocsolver6v33100L18trti2_kernel_smallILi11EdPKPdEEv13rocblas_fill_17rocblas_diagonal_T1_iil ; -- Begin function _ZN9rocsolver6v33100L18trti2_kernel_smallILi11EdPKPdEEv13rocblas_fill_17rocblas_diagonal_T1_iil
	.p2align	8
	.type	_ZN9rocsolver6v33100L18trti2_kernel_smallILi11EdPKPdEEv13rocblas_fill_17rocblas_diagonal_T1_iil,@function
_ZN9rocsolver6v33100L18trti2_kernel_smallILi11EdPKPdEEv13rocblas_fill_17rocblas_diagonal_T1_iil: ; @_ZN9rocsolver6v33100L18trti2_kernel_smallILi11EdPKPdEEv13rocblas_fill_17rocblas_diagonal_T1_iil
; %bb.0:
	v_cmp_gt_u32_e32 vcc, 11, v0
	s_and_saveexec_b64 s[0:1], vcc
	s_cbranch_execz .LBB74_250
; %bb.1:
	s_load_dwordx2 s[0:1], s[4:5], 0x10
	s_load_dwordx4 s[20:23], s[4:5], 0x0
	s_ashr_i32 s7, s6, 31
	s_lshl_b64 s[2:3], s[6:7], 3
	v_lshlrev_b32_e32 v36, 3, v0
	s_waitcnt lgkmcnt(0)
	s_ashr_i32 s5, s0, 31
	s_add_u32 s2, s22, s2
	s_addc_u32 s3, s23, s3
	s_load_dwordx2 s[2:3], s[2:3], 0x0
	s_mov_b32 s4, s0
	s_lshl_b64 s[4:5], s[4:5], 3
	v_mov_b32_e32 v34, 0
	v_mov_b32_e32 v35, 0xbff00000
	s_waitcnt lgkmcnt(0)
	s_add_u32 s0, s2, s4
	s_addc_u32 s2, s3, s5
	s_add_i32 s3, s1, s1
	v_add_u32_e32 v1, s3, v0
	v_ashrrev_i32_e32 v2, 31, v1
	v_lshlrev_b64 v[2:3], 3, v[1:2]
	v_add_u32_e32 v1, s1, v1
	v_mov_b32_e32 v4, s2
	v_add_co_u32_e32 v66, vcc, s0, v2
	v_ashrrev_i32_e32 v2, 31, v1
	v_addc_co_u32_e32 v67, vcc, v4, v3, vcc
	v_lshlrev_b64 v[2:3], 3, v[1:2]
	v_add_u32_e32 v1, s1, v1
	v_add_co_u32_e32 v68, vcc, s0, v2
	v_ashrrev_i32_e32 v2, 31, v1
	v_addc_co_u32_e32 v69, vcc, v4, v3, vcc
	v_lshlrev_b64 v[2:3], 3, v[1:2]
	v_add_u32_e32 v1, s1, v1
	;; [unrolled: 5-line block ×7, first 2 shown]
	v_add_co_u32_e32 v80, vcc, s0, v2
	v_ashrrev_i32_e32 v2, 31, v1
	v_lshlrev_b64 v[1:2], 3, v[1:2]
	v_addc_co_u32_e32 v81, vcc, v4, v3, vcc
	v_mov_b32_e32 v3, s2
	v_add_co_u32_e32 v82, vcc, s0, v1
	v_addc_co_u32_e32 v83, vcc, v3, v2, vcc
	v_mov_b32_e32 v1, s2
	v_add_co_u32_e32 v84, vcc, s0, v36
	s_ashr_i32 s3, s1, 31
	s_mov_b32 s2, s1
	v_addc_co_u32_e32 v85, vcc, 0, v1, vcc
	s_lshl_b64 s[0:1], s[2:3], 3
	v_mov_b32_e32 v1, s1
	v_add_co_u32_e32 v86, vcc, s0, v84
	v_addc_co_u32_e32 v87, vcc, v85, v1, vcc
	flat_load_dwordx2 v[2:3], v[84:85]
	flat_load_dwordx2 v[4:5], v[86:87]
	;; [unrolled: 1-line block ×11, first 2 shown]
	s_cmpk_lg_i32 s21, 0x84
	s_cselect_b64 s[22:23], -1, 0
	s_cmpk_eq_i32 s21, 0x84
	v_mov_b32_e32 v1, 0
	s_cbranch_scc1 .LBB74_3
; %bb.2:
	v_cmp_eq_u32_e64 s[0:1], 1, v0
	s_waitcnt vmcnt(0) lgkmcnt(0)
	v_cndmask_b32_e64 v24, v3, v5, s[0:1]
	v_cmp_eq_u32_e64 s[2:3], 2, v0
	v_cndmask_b32_e64 v24, v24, v7, s[2:3]
	v_cmp_eq_u32_e64 s[4:5], 3, v0
	;; [unrolled: 2-line block ×9, first 2 shown]
	v_cndmask_b32_e64 v25, v24, v23, s[18:19]
	v_cndmask_b32_e64 v24, v2, v4, s[0:1]
	;; [unrolled: 1-line block ×11, first 2 shown]
	v_div_scale_f64 v[26:27], s[24:25], v[24:25], v[24:25], 1.0
	v_rcp_f64_e32 v[28:29], v[26:27]
	v_fma_f64 v[30:31], -v[26:27], v[28:29], 1.0
	v_fma_f64 v[28:29], v[28:29], v[30:31], v[28:29]
	v_div_scale_f64 v[30:31], vcc, 1.0, v[24:25], 1.0
	v_fma_f64 v[32:33], -v[26:27], v[28:29], 1.0
	v_fma_f64 v[28:29], v[28:29], v[32:33], v[28:29]
	v_mul_f64 v[32:33], v[30:31], v[28:29]
	v_fma_f64 v[26:27], -v[26:27], v[32:33], v[30:31]
	v_div_fmas_f64 v[26:27], v[26:27], v[28:29], v[32:33]
	v_cmp_eq_u32_e32 vcc, 0, v0
	v_div_fixup_f64 v[34:35], v[26:27], v[24:25], 1.0
	v_cndmask_b32_e64 v23, v23, v35, s[18:19]
	v_cndmask_b32_e64 v22, v22, v34, s[18:19]
	v_cndmask_b32_e64 v21, v21, v35, s[16:17]
	v_cndmask_b32_e64 v20, v20, v34, s[16:17]
	v_cndmask_b32_e64 v19, v19, v35, s[14:15]
	v_cndmask_b32_e64 v18, v18, v34, s[14:15]
	v_cndmask_b32_e64 v17, v17, v35, s[12:13]
	v_cndmask_b32_e64 v16, v16, v34, s[12:13]
	v_cndmask_b32_e64 v15, v15, v35, s[10:11]
	v_cndmask_b32_e64 v14, v14, v34, s[10:11]
	v_cndmask_b32_e64 v13, v13, v35, s[8:9]
	v_cndmask_b32_e64 v12, v12, v34, s[8:9]
	v_cndmask_b32_e64 v11, v11, v35, s[6:7]
	v_cndmask_b32_e64 v10, v10, v34, s[6:7]
	v_cndmask_b32_e64 v9, v9, v35, s[4:5]
	v_cndmask_b32_e64 v8, v8, v34, s[4:5]
	v_cndmask_b32_e64 v7, v7, v35, s[2:3]
	v_cndmask_b32_e64 v6, v6, v34, s[2:3]
	v_cndmask_b32_e64 v5, v5, v35, s[0:1]
	v_cndmask_b32_e64 v4, v4, v34, s[0:1]
	v_cndmask_b32_e32 v3, v3, v35, vcc
	v_cndmask_b32_e32 v2, v2, v34, vcc
	v_xor_b32_e32 v35, 0x80000000, v35
.LBB74_3:
	s_cmpk_eq_i32 s20, 0x79
	v_add_u32_e32 v90, 0x60, v36
	ds_write_b64 v36, v[34:35]
	s_cbranch_scc1 .LBB74_7
; %bb.4:
	s_waitcnt vmcnt(0) lgkmcnt(0)
	v_mov_b32_e32 v65, v33
	v_mov_b32_e32 v64, v32
	;; [unrolled: 1-line block ×32, first 2 shown]
	v_cmp_eq_u32_e64 s[2:3], 10, v0
	ds_write_b64 v90, v[20:21]
	s_waitcnt lgkmcnt(0)
	; wave barrier
	s_and_saveexec_b64 s[20:21], s[2:3]
	s_cbranch_execz .LBB74_11
; %bb.5:
	s_and_b64 vcc, exec, s[22:23]
	s_cbranch_vccz .LBB74_8
; %bb.6:
	v_cmp_eq_u32_e32 vcc, 1, v0
	v_cndmask_b32_e32 v34, v3, v5, vcc
	v_cmp_eq_u32_e64 s[0:1], 2, v0
	v_cndmask_b32_e64 v34, v34, v7, s[0:1]
	v_cmp_eq_u32_e64 s[4:5], 3, v0
	v_cndmask_b32_e64 v34, v34, v9, s[4:5]
	;; [unrolled: 2-line block ×9, first 2 shown]
	v_cndmask_b32_e32 v34, v2, v4, vcc
	v_cndmask_b32_e64 v34, v34, v6, s[0:1]
	v_cndmask_b32_e64 v34, v34, v8, s[4:5]
	;; [unrolled: 1-line block ×5, first 2 shown]
	ds_read_b64 v[36:37], v90
	v_cndmask_b32_e64 v34, v34, v16, s[12:13]
	v_cndmask_b32_e64 v34, v34, v18, s[14:15]
	;; [unrolled: 1-line block ×4, first 2 shown]
	s_waitcnt lgkmcnt(0)
	v_mul_f64 v[38:39], v[34:35], v[36:37]
	s_cbranch_execz .LBB74_9
	s_branch .LBB74_10
.LBB74_7:
                                        ; implicit-def: $vgpr34_vgpr35_vgpr36_vgpr37_vgpr38_vgpr39_vgpr40_vgpr41_vgpr42_vgpr43_vgpr44_vgpr45_vgpr46_vgpr47_vgpr48_vgpr49_vgpr50_vgpr51_vgpr52_vgpr53_vgpr54_vgpr55_vgpr56_vgpr57_vgpr58_vgpr59_vgpr60_vgpr61_vgpr62_vgpr63_vgpr64_vgpr65
	s_cbranch_execnz .LBB74_146
	s_branch .LBB74_249
.LBB74_8:
                                        ; implicit-def: $vgpr38_vgpr39
.LBB74_9:
	ds_read_b64 v[38:39], v90
.LBB74_10:
	v_mov_b32_e32 v34, 0
	ds_read_b64 v[40:41], v34 offset:72
	v_mov_b32_e32 v34, v2
	v_mov_b32_e32 v35, v3
	;; [unrolled: 1-line block ×4, first 2 shown]
	s_waitcnt lgkmcnt(0)
	v_mul_f64 v[52:53], v[38:39], v[40:41]
	v_mov_b32_e32 v38, v6
	v_mov_b32_e32 v39, v7
	;; [unrolled: 1-line block ×16, first 2 shown]
.LBB74_11:
	s_or_b64 exec, exec, s[20:21]
	v_cmp_lt_u32_e64 s[0:1], 8, v0
	ds_write_b64 v90, v[50:51]
	s_waitcnt lgkmcnt(0)
	; wave barrier
	s_and_saveexec_b64 s[24:25], s[0:1]
	s_cbranch_execz .LBB74_17
; %bb.12:
	s_andn2_b64 vcc, exec, s[22:23]
	s_cbranch_vccnz .LBB74_14
; %bb.13:
	v_cmp_eq_u32_e32 vcc, 1, v0
	v_cndmask_b32_e32 v56, v35, v37, vcc
	v_cmp_eq_u32_e64 s[4:5], 2, v0
	v_cndmask_b32_e64 v56, v56, v39, s[4:5]
	v_cmp_eq_u32_e64 s[6:7], 3, v0
	v_cndmask_b32_e64 v56, v56, v41, s[6:7]
	v_cmp_eq_u32_e64 s[8:9], 4, v0
	v_cndmask_b32_e64 v56, v56, v43, s[8:9]
	v_cmp_eq_u32_e64 s[10:11], 5, v0
	v_cndmask_b32_e64 v56, v56, v45, s[10:11]
	v_cmp_eq_u32_e64 s[12:13], 6, v0
	v_cndmask_b32_e64 v56, v56, v47, s[12:13]
	v_cmp_eq_u32_e64 s[14:15], 7, v0
	v_cndmask_b32_e64 v56, v56, v49, s[14:15]
	v_cmp_eq_u32_e64 s[16:17], 8, v0
	v_cndmask_b32_e64 v51, v56, v51, s[16:17]
	v_cndmask_b32_e32 v56, v34, v36, vcc
	v_cndmask_b32_e64 v56, v56, v38, s[4:5]
	v_cndmask_b32_e64 v56, v56, v40, s[6:7]
	;; [unrolled: 1-line block ×5, first 2 shown]
	ds_read_b64 v[56:57], v90
	v_cndmask_b32_e64 v58, v58, v48, s[14:15]
	v_cmp_eq_u32_e64 s[18:19], 9, v0
	v_cndmask_b32_e64 v50, v58, v50, s[16:17]
	v_cndmask_b32_e64 v51, v51, v53, s[18:19]
	v_cmp_eq_u32_e64 s[20:21], 10, v0
	v_cndmask_b32_e64 v50, v50, v52, s[18:19]
	v_cndmask_b32_e64 v51, v51, v55, s[20:21]
	;; [unrolled: 1-line block ×3, first 2 shown]
	s_waitcnt lgkmcnt(0)
	v_mul_f64 v[50:51], v[50:51], v[56:57]
	s_cbranch_execz .LBB74_15
	s_branch .LBB74_16
.LBB74_14:
                                        ; implicit-def: $vgpr50_vgpr51
.LBB74_15:
	ds_read_b64 v[50:51], v90
.LBB74_16:
	v_mov_b32_e32 v56, 0
	ds_read2_b64 v[56:59], v56 offset0:8 offset1:21
	s_waitcnt lgkmcnt(0)
	v_fma_f64 v[58:59], v[52:53], v[58:59], v[50:51]
	v_cndmask_b32_e64 v51, v51, v59, s[2:3]
	v_cndmask_b32_e64 v50, v50, v58, s[2:3]
	v_mul_f64 v[50:51], v[50:51], v[56:57]
.LBB74_17:
	s_or_b64 exec, exec, s[24:25]
	v_cmp_lt_u32_e64 s[2:3], 7, v0
	ds_write_b64 v90, v[48:49]
	s_waitcnt lgkmcnt(0)
	; wave barrier
	s_and_saveexec_b64 s[24:25], s[2:3]
	s_cbranch_execz .LBB74_33
; %bb.18:
	s_andn2_b64 vcc, exec, s[22:23]
	s_cbranch_vccnz .LBB74_20
; %bb.19:
	v_cmp_eq_u32_e32 vcc, 1, v0
	v_cndmask_b32_e32 v88, v35, v37, vcc
	v_cmp_eq_u32_e64 s[4:5], 2, v0
	v_cndmask_b32_e64 v88, v88, v39, s[4:5]
	v_cmp_eq_u32_e64 s[6:7], 3, v0
	v_cndmask_b32_e64 v88, v88, v41, s[6:7]
	;; [unrolled: 2-line block ×9, first 2 shown]
	v_cndmask_b32_e32 v88, v34, v36, vcc
	v_cndmask_b32_e64 v88, v88, v38, s[4:5]
	v_cndmask_b32_e64 v88, v88, v40, s[6:7]
	;; [unrolled: 1-line block ×5, first 2 shown]
	ds_read_b64 v[91:92], v90
	v_cndmask_b32_e64 v88, v88, v48, s[14:15]
	v_cndmask_b32_e64 v88, v88, v50, s[16:17]
	v_cndmask_b32_e64 v88, v88, v52, s[18:19]
	v_cndmask_b32_e64 v88, v88, v54, s[20:21]
	s_waitcnt lgkmcnt(0)
	v_mul_f64 v[88:89], v[88:89], v[91:92]
	s_cbranch_execz .LBB74_21
	s_branch .LBB74_22
.LBB74_20:
                                        ; implicit-def: $vgpr88_vgpr89
.LBB74_21:
	ds_read_b64 v[88:89], v90
.LBB74_22:
	s_and_saveexec_b64 s[4:5], s[0:1]
	s_cbranch_execz .LBB74_32
; %bb.23:
	v_add_u32_e32 v91, -9, v0
	v_cmp_lt_u32_e32 vcc, 6, v91
	v_mov_b32_e32 v91, 8
	s_and_saveexec_b64 s[0:1], vcc
	s_cbranch_execz .LBB74_27
; %bb.24:
	v_and_b32_e32 v91, 8, v0
	v_sub_u32_e32 v92, 0, v91
	s_mov_b64 s[6:7], 15
	s_movk_i32 s10, 0xa0
	s_mov_b64 s[8:9], 0
.LBB74_25:                              ; =>This Inner Loop Header: Depth=1
	s_lshl_b32 s11, s6, 1
	s_add_i32 s12, s11, -13
	v_mov_b32_e32 v91, s10
	s_add_i32 s13, s11, -14
	s_set_gpr_idx_on s12, gpr_idx(SRC0)
	v_mov_b32_e32 v102, v34
	s_set_gpr_idx_off
	s_set_gpr_idx_on s13, gpr_idx(SRC0)
	v_mov_b32_e32 v101, v34
	s_set_gpr_idx_off
	ds_read_b128 v[93:96], v91
	ds_read_b128 v[97:100], v91 offset:16
	s_add_i32 s12, s11, -11
	s_add_i32 s13, s11, -12
	s_waitcnt lgkmcnt(1)
	v_fma_f64 v[88:89], v[101:102], v[93:94], v[88:89]
	ds_read_b128 v[101:104], v91 offset:32
	ds_read_b128 v[105:108], v91 offset:48
	s_set_gpr_idx_on s12, gpr_idx(SRC0)
	v_mov_b32_e32 v94, v34
	s_set_gpr_idx_off
	s_set_gpr_idx_on s13, gpr_idx(SRC0)
	v_mov_b32_e32 v93, v34
	s_set_gpr_idx_off
	s_add_i32 s12, s11, -9
	s_add_i32 s13, s11, -10
	v_fma_f64 v[88:89], v[93:94], v[95:96], v[88:89]
	s_set_gpr_idx_on s12, gpr_idx(SRC0)
	v_mov_b32_e32 v94, v34
	s_set_gpr_idx_off
	s_set_gpr_idx_on s13, gpr_idx(SRC0)
	v_mov_b32_e32 v93, v34
	s_set_gpr_idx_off
	s_add_i32 s12, s11, -7
	s_add_i32 s13, s11, -8
	s_waitcnt lgkmcnt(2)
	v_fma_f64 v[88:89], v[93:94], v[97:98], v[88:89]
	s_set_gpr_idx_on s12, gpr_idx(SRC0)
	v_mov_b32_e32 v94, v34
	s_set_gpr_idx_off
	s_set_gpr_idx_on s13, gpr_idx(SRC0)
	v_mov_b32_e32 v93, v34
	s_set_gpr_idx_off
	s_add_i32 s12, s11, -5
	s_add_i32 s13, s11, -6
	v_fma_f64 v[88:89], v[93:94], v[99:100], v[88:89]
	s_set_gpr_idx_on s12, gpr_idx(SRC0)
	v_mov_b32_e32 v94, v34
	s_set_gpr_idx_off
	s_set_gpr_idx_on s13, gpr_idx(SRC0)
	v_mov_b32_e32 v93, v34
	s_set_gpr_idx_off
	s_add_i32 s12, s11, -3
	s_add_i32 s13, s11, -4
	s_waitcnt lgkmcnt(1)
	v_fma_f64 v[88:89], v[93:94], v[101:102], v[88:89]
	s_set_gpr_idx_on s12, gpr_idx(SRC0)
	v_mov_b32_e32 v94, v34
	s_set_gpr_idx_off
	s_set_gpr_idx_on s13, gpr_idx(SRC0)
	v_mov_b32_e32 v93, v34
	s_set_gpr_idx_off
	s_add_i32 s12, s11, -1
	s_add_i32 s13, s11, -2
	s_add_u32 s6, s6, 8
	v_add_u32_e32 v91, s6, v92
	s_addc_u32 s7, s7, 0
	v_fma_f64 v[88:89], v[93:94], v[103:104], v[88:89]
	s_set_gpr_idx_on s12, gpr_idx(SRC0)
	v_mov_b32_e32 v94, v34
	s_set_gpr_idx_off
	s_set_gpr_idx_on s13, gpr_idx(SRC0)
	v_mov_b32_e32 v93, v34
	s_set_gpr_idx_off
	s_add_i32 s10, s10, 64
	v_cmp_eq_u32_e32 vcc, 7, v91
	s_waitcnt lgkmcnt(0)
	v_fma_f64 v[88:89], v[93:94], v[105:106], v[88:89]
	s_set_gpr_idx_on s11, gpr_idx(SRC0)
	v_mov_b32_e32 v94, v35
	v_mov_b32_e32 v93, v34
	s_set_gpr_idx_off
	s_add_i32 s11, s6, -7
	s_or_b64 s[8:9], vcc, s[8:9]
	v_mov_b32_e32 v91, s11
	v_fma_f64 v[88:89], v[93:94], v[107:108], v[88:89]
	s_andn2_b64 exec, exec, s[8:9]
	s_cbranch_execnz .LBB74_25
; %bb.26:
	s_or_b64 exec, exec, s[8:9]
.LBB74_27:
	s_or_b64 exec, exec, s[0:1]
	v_and_b32_e32 v56, 7, v0
	v_cmp_ne_u32_e32 vcc, 0, v56
	s_and_saveexec_b64 s[6:7], vcc
	s_cbranch_execz .LBB74_31
; %bb.28:
	v_mov_b32_e32 v57, 0x60
	v_lshl_add_u32 v57, v91, 3, v57
	v_mov_b32_e32 v58, 0
	s_mov_b64 s[8:9], 0
.LBB74_29:                              ; =>This Inner Loop Header: Depth=1
	v_cmp_eq_u32_e32 vcc, 1, v91
	v_cndmask_b32_e32 v61, v35, v37, vcc
	v_cmp_eq_u32_e64 s[0:1], 2, v91
	v_cndmask_b32_e64 v61, v61, v39, s[0:1]
	v_cndmask_b32_e32 v62, v34, v36, vcc
	v_cmp_eq_u32_e32 vcc, 3, v91
	v_cndmask_b32_e32 v61, v61, v41, vcc
	v_cndmask_b32_e64 v62, v62, v38, s[0:1]
	v_cmp_eq_u32_e64 s[0:1], 4, v91
	v_cndmask_b32_e64 v61, v61, v43, s[0:1]
	v_cndmask_b32_e32 v62, v62, v40, vcc
	v_cmp_eq_u32_e32 vcc, 5, v91
	v_cndmask_b32_e32 v61, v61, v45, vcc
	v_cndmask_b32_e64 v62, v62, v42, s[0:1]
	v_cmp_eq_u32_e64 s[0:1], 6, v91
	v_cndmask_b32_e64 v61, v61, v47, s[0:1]
	v_cndmask_b32_e32 v62, v62, v44, vcc
	v_cmp_eq_u32_e32 vcc, 7, v91
	ds_read_b64 v[59:60], v57
	v_cndmask_b32_e32 v61, v61, v49, vcc
	v_cndmask_b32_e64 v62, v62, v46, s[0:1]
	v_cmp_eq_u32_e64 s[0:1], 8, v91
	v_cndmask_b32_e64 v61, v61, v51, s[0:1]
	v_cndmask_b32_e32 v62, v62, v48, vcc
	v_cmp_eq_u32_e32 vcc, 9, v91
	v_cndmask_b32_e32 v61, v61, v53, vcc
	v_cndmask_b32_e64 v63, v62, v50, s[0:1]
	v_cmp_eq_u32_e64 s[0:1], 10, v91
	v_cndmask_b32_e64 v62, v61, v55, s[0:1]
	v_cndmask_b32_e32 v61, v63, v52, vcc
	v_cndmask_b32_e64 v61, v61, v54, s[0:1]
	s_waitcnt lgkmcnt(0)
	v_fma_f64 v[88:89], v[61:62], v[59:60], v[88:89]
	v_add_u32_e32 v56, -1, v56
	v_cmp_eq_u32_e32 vcc, 0, v56
	s_or_b64 s[8:9], vcc, s[8:9]
	v_add_co_u32_e32 v91, vcc, 1, v91
	v_add_u32_e32 v57, 8, v57
	v_addc_co_u32_e32 v58, vcc, 0, v58, vcc
	s_andn2_b64 exec, exec, s[8:9]
	s_cbranch_execnz .LBB74_29
; %bb.30:
	s_or_b64 exec, exec, s[8:9]
.LBB74_31:
	s_or_b64 exec, exec, s[6:7]
.LBB74_32:
	s_or_b64 exec, exec, s[4:5]
	v_mov_b32_e32 v48, 0
	ds_read_b64 v[48:49], v48 offset:56
	s_waitcnt lgkmcnt(0)
	v_mul_f64 v[48:49], v[88:89], v[48:49]
.LBB74_33:
	s_or_b64 exec, exec, s[24:25]
	v_cmp_lt_u32_e64 s[0:1], 6, v0
	ds_write_b64 v90, v[46:47]
	s_waitcnt lgkmcnt(0)
	; wave barrier
	s_and_saveexec_b64 s[24:25], s[0:1]
	s_cbranch_execz .LBB74_49
; %bb.34:
	s_andn2_b64 vcc, exec, s[22:23]
	s_cbranch_vccnz .LBB74_36
; %bb.35:
	v_cmp_eq_u32_e32 vcc, 1, v0
	v_cndmask_b32_e32 v88, v35, v37, vcc
	v_cmp_eq_u32_e64 s[4:5], 2, v0
	v_cndmask_b32_e64 v88, v88, v39, s[4:5]
	v_cmp_eq_u32_e64 s[6:7], 3, v0
	v_cndmask_b32_e64 v88, v88, v41, s[6:7]
	;; [unrolled: 2-line block ×9, first 2 shown]
	v_cndmask_b32_e32 v88, v34, v36, vcc
	v_cndmask_b32_e64 v88, v88, v38, s[4:5]
	v_cndmask_b32_e64 v88, v88, v40, s[6:7]
	;; [unrolled: 1-line block ×5, first 2 shown]
	ds_read_b64 v[91:92], v90
	v_cndmask_b32_e64 v88, v88, v48, s[14:15]
	v_cndmask_b32_e64 v88, v88, v50, s[16:17]
	v_cndmask_b32_e64 v88, v88, v52, s[18:19]
	v_cndmask_b32_e64 v88, v88, v54, s[20:21]
	s_waitcnt lgkmcnt(0)
	v_mul_f64 v[88:89], v[88:89], v[91:92]
	s_cbranch_execz .LBB74_37
	s_branch .LBB74_38
.LBB74_36:
                                        ; implicit-def: $vgpr88_vgpr89
.LBB74_37:
	ds_read_b64 v[88:89], v90
.LBB74_38:
	s_and_saveexec_b64 s[4:5], s[2:3]
	s_cbranch_execz .LBB74_48
; %bb.39:
	v_add_u32_e32 v92, -8, v0
	v_add_u32_e32 v91, -7, v0
	v_cmp_lt_u32_e32 vcc, 6, v92
	v_mov_b32_e32 v92, 7
	s_and_saveexec_b64 s[2:3], vcc
	s_cbranch_execz .LBB74_43
; %bb.40:
	v_and_b32_e32 v92, -8, v91
	v_sub_u32_e32 v93, 0, v92
	s_mov_b64 s[6:7], 14
	s_movk_i32 s10, 0x98
	s_mov_b64 s[8:9], 0
.LBB74_41:                              ; =>This Inner Loop Header: Depth=1
	s_lshl_b32 s11, s6, 1
	s_add_i32 s12, s11, -13
	v_mov_b32_e32 v92, s10
	s_add_i32 s13, s11, -14
	s_set_gpr_idx_on s12, gpr_idx(SRC0)
	v_mov_b32_e32 v99, v34
	s_set_gpr_idx_off
	s_set_gpr_idx_on s13, gpr_idx(SRC0)
	v_mov_b32_e32 v98, v34
	s_set_gpr_idx_off
	ds_read2_b64 v[94:97], v92 offset1:1
	s_add_i32 s12, s11, -11
	s_add_i32 s13, s11, -12
	;; [unrolled: 1-line block ×4, first 2 shown]
	s_waitcnt lgkmcnt(0)
	v_fma_f64 v[88:89], v[98:99], v[94:95], v[88:89]
	s_set_gpr_idx_on s12, gpr_idx(SRC0)
	v_mov_b32_e32 v95, v34
	s_set_gpr_idx_off
	s_set_gpr_idx_on s13, gpr_idx(SRC0)
	v_mov_b32_e32 v94, v34
	s_set_gpr_idx_off
	s_add_i32 s12, s11, -7
	s_add_i32 s13, s11, -8
	v_fma_f64 v[88:89], v[94:95], v[96:97], v[88:89]
	s_set_gpr_idx_on s14, gpr_idx(SRC0)
	v_mov_b32_e32 v99, v34
	s_set_gpr_idx_off
	s_set_gpr_idx_on s15, gpr_idx(SRC0)
	v_mov_b32_e32 v98, v34
	s_set_gpr_idx_off
	ds_read2_b64 v[94:97], v92 offset0:2 offset1:3
	s_add_i32 s14, s11, -5
	s_add_i32 s15, s11, -6
	s_waitcnt lgkmcnt(0)
	v_fma_f64 v[88:89], v[98:99], v[94:95], v[88:89]
	s_set_gpr_idx_on s12, gpr_idx(SRC0)
	v_mov_b32_e32 v95, v34
	s_set_gpr_idx_off
	s_set_gpr_idx_on s13, gpr_idx(SRC0)
	v_mov_b32_e32 v94, v34
	s_set_gpr_idx_off
	s_add_i32 s12, s11, -3
	s_add_i32 s13, s11, -4
	v_fma_f64 v[88:89], v[94:95], v[96:97], v[88:89]
	s_set_gpr_idx_on s14, gpr_idx(SRC0)
	v_mov_b32_e32 v99, v34
	s_set_gpr_idx_off
	s_set_gpr_idx_on s15, gpr_idx(SRC0)
	v_mov_b32_e32 v98, v34
	s_set_gpr_idx_off
	ds_read2_b64 v[94:97], v92 offset0:4 offset1:5
	s_add_i32 s14, s11, -1
	s_add_i32 s15, s11, -2
	s_add_u32 s6, s6, 8
	s_addc_u32 s7, s7, 0
	s_waitcnt lgkmcnt(0)
	v_fma_f64 v[88:89], v[98:99], v[94:95], v[88:89]
	s_set_gpr_idx_on s12, gpr_idx(SRC0)
	v_mov_b32_e32 v95, v34
	s_set_gpr_idx_off
	s_set_gpr_idx_on s13, gpr_idx(SRC0)
	v_mov_b32_e32 v94, v34
	s_set_gpr_idx_off
	s_add_i32 s10, s10, 64
	v_fma_f64 v[88:89], v[94:95], v[96:97], v[88:89]
	s_set_gpr_idx_on s14, gpr_idx(SRC0)
	v_mov_b32_e32 v99, v34
	s_set_gpr_idx_off
	s_set_gpr_idx_on s15, gpr_idx(SRC0)
	v_mov_b32_e32 v98, v34
	s_set_gpr_idx_off
	ds_read2_b64 v[94:97], v92 offset0:6 offset1:7
	v_add_u32_e32 v92, s6, v93
	v_cmp_eq_u32_e32 vcc, 14, v92
	s_waitcnt lgkmcnt(0)
	v_fma_f64 v[88:89], v[98:99], v[94:95], v[88:89]
	s_set_gpr_idx_on s11, gpr_idx(SRC0)
	v_mov_b32_e32 v95, v35
	v_mov_b32_e32 v94, v34
	s_set_gpr_idx_off
	s_add_i32 s11, s6, -7
	s_or_b64 s[8:9], vcc, s[8:9]
	v_mov_b32_e32 v92, s11
	v_fma_f64 v[88:89], v[94:95], v[96:97], v[88:89]
	s_andn2_b64 exec, exec, s[8:9]
	s_cbranch_execnz .LBB74_41
; %bb.42:
	s_or_b64 exec, exec, s[8:9]
.LBB74_43:
	s_or_b64 exec, exec, s[2:3]
	v_and_b32_e32 v56, 7, v91
	v_cmp_ne_u32_e32 vcc, 0, v56
	s_and_saveexec_b64 s[6:7], vcc
	s_cbranch_execz .LBB74_47
; %bb.44:
	v_mov_b32_e32 v57, 0x60
	v_lshl_add_u32 v57, v92, 3, v57
	v_mov_b32_e32 v58, 0
	s_mov_b64 s[8:9], 0
.LBB74_45:                              ; =>This Inner Loop Header: Depth=1
	v_cmp_eq_u32_e32 vcc, 1, v92
	v_cndmask_b32_e32 v61, v35, v37, vcc
	v_cmp_eq_u32_e64 s[2:3], 2, v92
	v_cndmask_b32_e64 v61, v61, v39, s[2:3]
	v_cndmask_b32_e32 v62, v34, v36, vcc
	v_cmp_eq_u32_e32 vcc, 3, v92
	v_cndmask_b32_e32 v61, v61, v41, vcc
	v_cndmask_b32_e64 v62, v62, v38, s[2:3]
	v_cmp_eq_u32_e64 s[2:3], 4, v92
	v_cndmask_b32_e64 v61, v61, v43, s[2:3]
	v_cndmask_b32_e32 v62, v62, v40, vcc
	v_cmp_eq_u32_e32 vcc, 5, v92
	v_cndmask_b32_e32 v61, v61, v45, vcc
	v_cndmask_b32_e64 v62, v62, v42, s[2:3]
	v_cmp_eq_u32_e64 s[2:3], 6, v92
	v_cndmask_b32_e64 v61, v61, v47, s[2:3]
	v_cndmask_b32_e32 v62, v62, v44, vcc
	v_cmp_eq_u32_e32 vcc, 7, v92
	ds_read_b64 v[59:60], v57
	v_cndmask_b32_e32 v61, v61, v49, vcc
	v_cndmask_b32_e64 v62, v62, v46, s[2:3]
	v_cmp_eq_u32_e64 s[2:3], 8, v92
	v_cndmask_b32_e64 v61, v61, v51, s[2:3]
	v_cndmask_b32_e32 v62, v62, v48, vcc
	v_cmp_eq_u32_e32 vcc, 9, v92
	v_cndmask_b32_e32 v61, v61, v53, vcc
	v_cndmask_b32_e64 v63, v62, v50, s[2:3]
	v_cmp_eq_u32_e64 s[2:3], 10, v92
	v_cndmask_b32_e64 v62, v61, v55, s[2:3]
	v_cndmask_b32_e32 v61, v63, v52, vcc
	v_cndmask_b32_e64 v61, v61, v54, s[2:3]
	s_waitcnt lgkmcnt(0)
	v_fma_f64 v[88:89], v[61:62], v[59:60], v[88:89]
	v_add_u32_e32 v56, -1, v56
	v_cmp_eq_u32_e32 vcc, 0, v56
	s_or_b64 s[8:9], vcc, s[8:9]
	v_add_co_u32_e32 v92, vcc, 1, v92
	v_add_u32_e32 v57, 8, v57
	v_addc_co_u32_e32 v58, vcc, 0, v58, vcc
	s_andn2_b64 exec, exec, s[8:9]
	s_cbranch_execnz .LBB74_45
; %bb.46:
	s_or_b64 exec, exec, s[8:9]
.LBB74_47:
	s_or_b64 exec, exec, s[6:7]
.LBB74_48:
	s_or_b64 exec, exec, s[4:5]
	v_mov_b32_e32 v46, 0
	ds_read_b64 v[46:47], v46 offset:48
	s_waitcnt lgkmcnt(0)
	v_mul_f64 v[46:47], v[88:89], v[46:47]
.LBB74_49:
	s_or_b64 exec, exec, s[24:25]
	v_cmp_lt_u32_e64 s[2:3], 5, v0
	ds_write_b64 v90, v[44:45]
	s_waitcnt lgkmcnt(0)
	; wave barrier
	s_and_saveexec_b64 s[24:25], s[2:3]
	s_cbranch_execz .LBB74_65
; %bb.50:
	s_andn2_b64 vcc, exec, s[22:23]
	s_cbranch_vccnz .LBB74_52
; %bb.51:
	v_cmp_eq_u32_e32 vcc, 1, v0
	v_cndmask_b32_e32 v88, v35, v37, vcc
	v_cmp_eq_u32_e64 s[4:5], 2, v0
	v_cndmask_b32_e64 v88, v88, v39, s[4:5]
	v_cmp_eq_u32_e64 s[6:7], 3, v0
	v_cndmask_b32_e64 v88, v88, v41, s[6:7]
	;; [unrolled: 2-line block ×9, first 2 shown]
	v_cndmask_b32_e32 v88, v34, v36, vcc
	v_cndmask_b32_e64 v88, v88, v38, s[4:5]
	v_cndmask_b32_e64 v88, v88, v40, s[6:7]
	v_cndmask_b32_e64 v88, v88, v42, s[8:9]
	v_cndmask_b32_e64 v88, v88, v44, s[10:11]
	v_cndmask_b32_e64 v88, v88, v46, s[12:13]
	ds_read_b64 v[91:92], v90
	v_cndmask_b32_e64 v88, v88, v48, s[14:15]
	v_cndmask_b32_e64 v88, v88, v50, s[16:17]
	;; [unrolled: 1-line block ×4, first 2 shown]
	s_waitcnt lgkmcnt(0)
	v_mul_f64 v[88:89], v[88:89], v[91:92]
	s_cbranch_execz .LBB74_53
	s_branch .LBB74_54
.LBB74_52:
                                        ; implicit-def: $vgpr88_vgpr89
.LBB74_53:
	ds_read_b64 v[88:89], v90
.LBB74_54:
	s_and_saveexec_b64 s[4:5], s[0:1]
	s_cbranch_execz .LBB74_64
; %bb.55:
	v_add_u32_e32 v93, -7, v0
	v_add_u32_e32 v91, -6, v0
	v_mov_b32_e32 v92, 6
	v_cmp_lt_u32_e32 vcc, 6, v93
	s_and_saveexec_b64 s[0:1], vcc
	s_cbranch_execz .LBB74_59
; %bb.56:
	v_and_b32_e32 v92, -8, v91
	v_sub_u32_e32 v93, 0, v92
	s_mov_b64 s[6:7], 13
	s_movk_i32 s10, 0x90
	s_mov_b64 s[8:9], 0
.LBB74_57:                              ; =>This Inner Loop Header: Depth=1
	s_lshl_b32 s11, s6, 1
	s_add_i32 s12, s11, -13
	v_mov_b32_e32 v92, s10
	s_add_i32 s13, s11, -14
	s_set_gpr_idx_on s12, gpr_idx(SRC0)
	v_mov_b32_e32 v103, v34
	s_set_gpr_idx_off
	s_set_gpr_idx_on s13, gpr_idx(SRC0)
	v_mov_b32_e32 v102, v34
	s_set_gpr_idx_off
	ds_read_b128 v[94:97], v92
	ds_read_b128 v[98:101], v92 offset:16
	s_add_i32 s12, s11, -11
	s_add_i32 s13, s11, -12
	s_waitcnt lgkmcnt(1)
	v_fma_f64 v[88:89], v[102:103], v[94:95], v[88:89]
	ds_read_b128 v[102:105], v92 offset:32
	ds_read_b128 v[106:109], v92 offset:48
	s_set_gpr_idx_on s12, gpr_idx(SRC0)
	v_mov_b32_e32 v95, v34
	s_set_gpr_idx_off
	s_set_gpr_idx_on s13, gpr_idx(SRC0)
	v_mov_b32_e32 v94, v34
	s_set_gpr_idx_off
	s_add_i32 s12, s11, -9
	s_add_i32 s13, s11, -10
	v_fma_f64 v[88:89], v[94:95], v[96:97], v[88:89]
	s_set_gpr_idx_on s12, gpr_idx(SRC0)
	v_mov_b32_e32 v95, v34
	s_set_gpr_idx_off
	s_set_gpr_idx_on s13, gpr_idx(SRC0)
	v_mov_b32_e32 v94, v34
	s_set_gpr_idx_off
	s_add_i32 s12, s11, -7
	s_add_i32 s13, s11, -8
	s_waitcnt lgkmcnt(2)
	v_fma_f64 v[88:89], v[94:95], v[98:99], v[88:89]
	s_set_gpr_idx_on s12, gpr_idx(SRC0)
	v_mov_b32_e32 v95, v34
	s_set_gpr_idx_off
	s_set_gpr_idx_on s13, gpr_idx(SRC0)
	v_mov_b32_e32 v94, v34
	s_set_gpr_idx_off
	s_add_i32 s12, s11, -5
	s_add_i32 s13, s11, -6
	v_fma_f64 v[88:89], v[94:95], v[100:101], v[88:89]
	s_set_gpr_idx_on s12, gpr_idx(SRC0)
	v_mov_b32_e32 v95, v34
	s_set_gpr_idx_off
	s_set_gpr_idx_on s13, gpr_idx(SRC0)
	v_mov_b32_e32 v94, v34
	s_set_gpr_idx_off
	s_add_i32 s12, s11, -3
	s_add_i32 s13, s11, -4
	s_waitcnt lgkmcnt(1)
	v_fma_f64 v[88:89], v[94:95], v[102:103], v[88:89]
	s_set_gpr_idx_on s12, gpr_idx(SRC0)
	v_mov_b32_e32 v95, v34
	s_set_gpr_idx_off
	s_set_gpr_idx_on s13, gpr_idx(SRC0)
	v_mov_b32_e32 v94, v34
	s_set_gpr_idx_off
	s_add_i32 s12, s11, -1
	s_add_i32 s13, s11, -2
	s_add_u32 s6, s6, 8
	v_add_u32_e32 v92, s6, v93
	s_addc_u32 s7, s7, 0
	v_fma_f64 v[88:89], v[94:95], v[104:105], v[88:89]
	s_set_gpr_idx_on s12, gpr_idx(SRC0)
	v_mov_b32_e32 v95, v34
	s_set_gpr_idx_off
	s_set_gpr_idx_on s13, gpr_idx(SRC0)
	v_mov_b32_e32 v94, v34
	s_set_gpr_idx_off
	s_add_i32 s10, s10, 64
	v_cmp_eq_u32_e32 vcc, 13, v92
	s_waitcnt lgkmcnt(0)
	v_fma_f64 v[88:89], v[94:95], v[106:107], v[88:89]
	s_set_gpr_idx_on s11, gpr_idx(SRC0)
	v_mov_b32_e32 v95, v35
	v_mov_b32_e32 v94, v34
	s_set_gpr_idx_off
	s_add_i32 s11, s6, -7
	s_or_b64 s[8:9], vcc, s[8:9]
	v_mov_b32_e32 v92, s11
	v_fma_f64 v[88:89], v[94:95], v[108:109], v[88:89]
	s_andn2_b64 exec, exec, s[8:9]
	s_cbranch_execnz .LBB74_57
; %bb.58:
	s_or_b64 exec, exec, s[8:9]
.LBB74_59:
	s_or_b64 exec, exec, s[0:1]
	v_and_b32_e32 v56, 7, v91
	v_cmp_ne_u32_e32 vcc, 0, v56
	s_and_saveexec_b64 s[6:7], vcc
	s_cbranch_execz .LBB74_63
; %bb.60:
	v_mov_b32_e32 v57, 0x60
	v_lshl_add_u32 v57, v92, 3, v57
	v_mov_b32_e32 v58, 0
	s_mov_b64 s[8:9], 0
.LBB74_61:                              ; =>This Inner Loop Header: Depth=1
	v_cmp_eq_u32_e32 vcc, 1, v92
	v_cndmask_b32_e32 v61, v35, v37, vcc
	v_cmp_eq_u32_e64 s[0:1], 2, v92
	v_cndmask_b32_e64 v61, v61, v39, s[0:1]
	v_cndmask_b32_e32 v62, v34, v36, vcc
	v_cmp_eq_u32_e32 vcc, 3, v92
	v_cndmask_b32_e32 v61, v61, v41, vcc
	v_cndmask_b32_e64 v62, v62, v38, s[0:1]
	v_cmp_eq_u32_e64 s[0:1], 4, v92
	v_cndmask_b32_e64 v61, v61, v43, s[0:1]
	v_cndmask_b32_e32 v62, v62, v40, vcc
	v_cmp_eq_u32_e32 vcc, 5, v92
	v_cndmask_b32_e32 v61, v61, v45, vcc
	v_cndmask_b32_e64 v62, v62, v42, s[0:1]
	v_cmp_eq_u32_e64 s[0:1], 6, v92
	v_cndmask_b32_e64 v61, v61, v47, s[0:1]
	v_cndmask_b32_e32 v62, v62, v44, vcc
	v_cmp_eq_u32_e32 vcc, 7, v92
	ds_read_b64 v[59:60], v57
	v_cndmask_b32_e32 v61, v61, v49, vcc
	v_cndmask_b32_e64 v62, v62, v46, s[0:1]
	v_cmp_eq_u32_e64 s[0:1], 8, v92
	v_cndmask_b32_e64 v61, v61, v51, s[0:1]
	v_cndmask_b32_e32 v62, v62, v48, vcc
	v_cmp_eq_u32_e32 vcc, 9, v92
	v_cndmask_b32_e32 v61, v61, v53, vcc
	v_cndmask_b32_e64 v63, v62, v50, s[0:1]
	v_cmp_eq_u32_e64 s[0:1], 10, v92
	v_cndmask_b32_e64 v62, v61, v55, s[0:1]
	v_cndmask_b32_e32 v61, v63, v52, vcc
	v_cndmask_b32_e64 v61, v61, v54, s[0:1]
	s_waitcnt lgkmcnt(0)
	v_fma_f64 v[88:89], v[61:62], v[59:60], v[88:89]
	v_add_u32_e32 v56, -1, v56
	v_cmp_eq_u32_e32 vcc, 0, v56
	s_or_b64 s[8:9], vcc, s[8:9]
	v_add_co_u32_e32 v92, vcc, 1, v92
	v_add_u32_e32 v57, 8, v57
	v_addc_co_u32_e32 v58, vcc, 0, v58, vcc
	s_andn2_b64 exec, exec, s[8:9]
	s_cbranch_execnz .LBB74_61
; %bb.62:
	s_or_b64 exec, exec, s[8:9]
.LBB74_63:
	s_or_b64 exec, exec, s[6:7]
.LBB74_64:
	s_or_b64 exec, exec, s[4:5]
	v_mov_b32_e32 v44, 0
	ds_read_b64 v[44:45], v44 offset:40
	s_waitcnt lgkmcnt(0)
	v_mul_f64 v[44:45], v[88:89], v[44:45]
.LBB74_65:
	s_or_b64 exec, exec, s[24:25]
	v_cmp_lt_u32_e64 s[0:1], 4, v0
	ds_write_b64 v90, v[42:43]
	s_waitcnt lgkmcnt(0)
	; wave barrier
	s_and_saveexec_b64 s[24:25], s[0:1]
	s_cbranch_execz .LBB74_81
; %bb.66:
	s_andn2_b64 vcc, exec, s[22:23]
	s_cbranch_vccnz .LBB74_68
; %bb.67:
	v_cmp_eq_u32_e32 vcc, 1, v0
	v_cndmask_b32_e32 v88, v35, v37, vcc
	v_cmp_eq_u32_e64 s[4:5], 2, v0
	v_cndmask_b32_e64 v88, v88, v39, s[4:5]
	v_cmp_eq_u32_e64 s[6:7], 3, v0
	v_cndmask_b32_e64 v88, v88, v41, s[6:7]
	;; [unrolled: 2-line block ×9, first 2 shown]
	v_cndmask_b32_e32 v88, v34, v36, vcc
	v_cndmask_b32_e64 v88, v88, v38, s[4:5]
	v_cndmask_b32_e64 v88, v88, v40, s[6:7]
	;; [unrolled: 1-line block ×5, first 2 shown]
	ds_read_b64 v[91:92], v90
	v_cndmask_b32_e64 v88, v88, v48, s[14:15]
	v_cndmask_b32_e64 v88, v88, v50, s[16:17]
	;; [unrolled: 1-line block ×4, first 2 shown]
	s_waitcnt lgkmcnt(0)
	v_mul_f64 v[88:89], v[88:89], v[91:92]
	s_cbranch_execz .LBB74_69
	s_branch .LBB74_70
.LBB74_68:
                                        ; implicit-def: $vgpr88_vgpr89
.LBB74_69:
	ds_read_b64 v[88:89], v90
.LBB74_70:
	s_and_saveexec_b64 s[4:5], s[2:3]
	s_cbranch_execz .LBB74_80
; %bb.71:
	v_add_u32_e32 v92, -6, v0
	v_add_u32_e32 v91, -5, v0
	v_cmp_lt_u32_e32 vcc, 6, v92
	v_mov_b32_e32 v92, 5
	s_and_saveexec_b64 s[2:3], vcc
	s_cbranch_execz .LBB74_75
; %bb.72:
	v_and_b32_e32 v92, -8, v91
	v_sub_u32_e32 v93, 0, v92
	s_mov_b64 s[6:7], 12
	s_movk_i32 s10, 0x88
	s_mov_b64 s[8:9], 0
.LBB74_73:                              ; =>This Inner Loop Header: Depth=1
	s_lshl_b32 s11, s6, 1
	s_add_i32 s12, s11, -13
	v_mov_b32_e32 v92, s10
	s_add_i32 s13, s11, -14
	s_set_gpr_idx_on s12, gpr_idx(SRC0)
	v_mov_b32_e32 v99, v34
	s_set_gpr_idx_off
	s_set_gpr_idx_on s13, gpr_idx(SRC0)
	v_mov_b32_e32 v98, v34
	s_set_gpr_idx_off
	ds_read2_b64 v[94:97], v92 offset1:1
	s_add_i32 s12, s11, -11
	s_add_i32 s13, s11, -12
	;; [unrolled: 1-line block ×4, first 2 shown]
	s_waitcnt lgkmcnt(0)
	v_fma_f64 v[88:89], v[98:99], v[94:95], v[88:89]
	s_set_gpr_idx_on s12, gpr_idx(SRC0)
	v_mov_b32_e32 v95, v34
	s_set_gpr_idx_off
	s_set_gpr_idx_on s13, gpr_idx(SRC0)
	v_mov_b32_e32 v94, v34
	s_set_gpr_idx_off
	s_add_i32 s12, s11, -7
	s_add_i32 s13, s11, -8
	v_fma_f64 v[88:89], v[94:95], v[96:97], v[88:89]
	s_set_gpr_idx_on s14, gpr_idx(SRC0)
	v_mov_b32_e32 v99, v34
	s_set_gpr_idx_off
	s_set_gpr_idx_on s15, gpr_idx(SRC0)
	v_mov_b32_e32 v98, v34
	s_set_gpr_idx_off
	ds_read2_b64 v[94:97], v92 offset0:2 offset1:3
	s_add_i32 s14, s11, -5
	s_add_i32 s15, s11, -6
	s_waitcnt lgkmcnt(0)
	v_fma_f64 v[88:89], v[98:99], v[94:95], v[88:89]
	s_set_gpr_idx_on s12, gpr_idx(SRC0)
	v_mov_b32_e32 v95, v34
	s_set_gpr_idx_off
	s_set_gpr_idx_on s13, gpr_idx(SRC0)
	v_mov_b32_e32 v94, v34
	s_set_gpr_idx_off
	s_add_i32 s12, s11, -3
	s_add_i32 s13, s11, -4
	v_fma_f64 v[88:89], v[94:95], v[96:97], v[88:89]
	s_set_gpr_idx_on s14, gpr_idx(SRC0)
	v_mov_b32_e32 v99, v34
	s_set_gpr_idx_off
	s_set_gpr_idx_on s15, gpr_idx(SRC0)
	v_mov_b32_e32 v98, v34
	s_set_gpr_idx_off
	ds_read2_b64 v[94:97], v92 offset0:4 offset1:5
	s_add_i32 s14, s11, -1
	s_add_i32 s15, s11, -2
	s_add_u32 s6, s6, 8
	s_addc_u32 s7, s7, 0
	s_waitcnt lgkmcnt(0)
	v_fma_f64 v[88:89], v[98:99], v[94:95], v[88:89]
	s_set_gpr_idx_on s12, gpr_idx(SRC0)
	v_mov_b32_e32 v95, v34
	s_set_gpr_idx_off
	s_set_gpr_idx_on s13, gpr_idx(SRC0)
	v_mov_b32_e32 v94, v34
	s_set_gpr_idx_off
	s_add_i32 s10, s10, 64
	v_fma_f64 v[88:89], v[94:95], v[96:97], v[88:89]
	s_set_gpr_idx_on s14, gpr_idx(SRC0)
	v_mov_b32_e32 v99, v34
	s_set_gpr_idx_off
	s_set_gpr_idx_on s15, gpr_idx(SRC0)
	v_mov_b32_e32 v98, v34
	s_set_gpr_idx_off
	ds_read2_b64 v[94:97], v92 offset0:6 offset1:7
	v_add_u32_e32 v92, s6, v93
	v_cmp_eq_u32_e32 vcc, 12, v92
	s_waitcnt lgkmcnt(0)
	v_fma_f64 v[88:89], v[98:99], v[94:95], v[88:89]
	s_set_gpr_idx_on s11, gpr_idx(SRC0)
	v_mov_b32_e32 v95, v35
	v_mov_b32_e32 v94, v34
	s_set_gpr_idx_off
	s_add_i32 s11, s6, -7
	s_or_b64 s[8:9], vcc, s[8:9]
	v_mov_b32_e32 v92, s11
	v_fma_f64 v[88:89], v[94:95], v[96:97], v[88:89]
	s_andn2_b64 exec, exec, s[8:9]
	s_cbranch_execnz .LBB74_73
; %bb.74:
	s_or_b64 exec, exec, s[8:9]
.LBB74_75:
	s_or_b64 exec, exec, s[2:3]
	v_and_b32_e32 v56, 7, v91
	v_cmp_ne_u32_e32 vcc, 0, v56
	s_and_saveexec_b64 s[6:7], vcc
	s_cbranch_execz .LBB74_79
; %bb.76:
	v_mov_b32_e32 v57, 0x60
	v_lshl_add_u32 v57, v92, 3, v57
	v_mov_b32_e32 v58, 0
	s_mov_b64 s[8:9], 0
.LBB74_77:                              ; =>This Inner Loop Header: Depth=1
	v_cmp_eq_u32_e32 vcc, 1, v92
	v_cndmask_b32_e32 v61, v35, v37, vcc
	v_cmp_eq_u32_e64 s[2:3], 2, v92
	v_cndmask_b32_e64 v61, v61, v39, s[2:3]
	v_cndmask_b32_e32 v62, v34, v36, vcc
	v_cmp_eq_u32_e32 vcc, 3, v92
	v_cndmask_b32_e32 v61, v61, v41, vcc
	v_cndmask_b32_e64 v62, v62, v38, s[2:3]
	v_cmp_eq_u32_e64 s[2:3], 4, v92
	v_cndmask_b32_e64 v61, v61, v43, s[2:3]
	v_cndmask_b32_e32 v62, v62, v40, vcc
	v_cmp_eq_u32_e32 vcc, 5, v92
	v_cndmask_b32_e32 v61, v61, v45, vcc
	v_cndmask_b32_e64 v62, v62, v42, s[2:3]
	v_cmp_eq_u32_e64 s[2:3], 6, v92
	v_cndmask_b32_e64 v61, v61, v47, s[2:3]
	v_cndmask_b32_e32 v62, v62, v44, vcc
	v_cmp_eq_u32_e32 vcc, 7, v92
	ds_read_b64 v[59:60], v57
	v_cndmask_b32_e32 v61, v61, v49, vcc
	v_cndmask_b32_e64 v62, v62, v46, s[2:3]
	v_cmp_eq_u32_e64 s[2:3], 8, v92
	v_cndmask_b32_e64 v61, v61, v51, s[2:3]
	v_cndmask_b32_e32 v62, v62, v48, vcc
	v_cmp_eq_u32_e32 vcc, 9, v92
	v_cndmask_b32_e32 v61, v61, v53, vcc
	v_cndmask_b32_e64 v63, v62, v50, s[2:3]
	v_cmp_eq_u32_e64 s[2:3], 10, v92
	v_cndmask_b32_e64 v62, v61, v55, s[2:3]
	v_cndmask_b32_e32 v61, v63, v52, vcc
	v_cndmask_b32_e64 v61, v61, v54, s[2:3]
	s_waitcnt lgkmcnt(0)
	v_fma_f64 v[88:89], v[61:62], v[59:60], v[88:89]
	v_add_u32_e32 v56, -1, v56
	v_cmp_eq_u32_e32 vcc, 0, v56
	s_or_b64 s[8:9], vcc, s[8:9]
	v_add_co_u32_e32 v92, vcc, 1, v92
	v_add_u32_e32 v57, 8, v57
	v_addc_co_u32_e32 v58, vcc, 0, v58, vcc
	s_andn2_b64 exec, exec, s[8:9]
	s_cbranch_execnz .LBB74_77
; %bb.78:
	s_or_b64 exec, exec, s[8:9]
.LBB74_79:
	s_or_b64 exec, exec, s[6:7]
.LBB74_80:
	s_or_b64 exec, exec, s[4:5]
	v_mov_b32_e32 v42, 0
	ds_read_b64 v[42:43], v42 offset:32
	s_waitcnt lgkmcnt(0)
	v_mul_f64 v[42:43], v[88:89], v[42:43]
.LBB74_81:
	s_or_b64 exec, exec, s[24:25]
	v_cmp_lt_u32_e64 s[2:3], 3, v0
	ds_write_b64 v90, v[40:41]
	s_waitcnt lgkmcnt(0)
	; wave barrier
	s_and_saveexec_b64 s[24:25], s[2:3]
	s_cbranch_execz .LBB74_97
; %bb.82:
	s_andn2_b64 vcc, exec, s[22:23]
	s_cbranch_vccnz .LBB74_84
; %bb.83:
	v_cmp_eq_u32_e32 vcc, 1, v0
	v_cndmask_b32_e32 v88, v35, v37, vcc
	v_cmp_eq_u32_e64 s[4:5], 2, v0
	v_cndmask_b32_e64 v88, v88, v39, s[4:5]
	v_cmp_eq_u32_e64 s[6:7], 3, v0
	v_cndmask_b32_e64 v88, v88, v41, s[6:7]
	v_cmp_eq_u32_e64 s[8:9], 4, v0
	v_cndmask_b32_e64 v88, v88, v43, s[8:9]
	v_cmp_eq_u32_e64 s[10:11], 5, v0
	v_cndmask_b32_e64 v88, v88, v45, s[10:11]
	v_cmp_eq_u32_e64 s[12:13], 6, v0
	v_cndmask_b32_e64 v88, v88, v47, s[12:13]
	v_cmp_eq_u32_e64 s[14:15], 7, v0
	v_cndmask_b32_e64 v88, v88, v49, s[14:15]
	v_cmp_eq_u32_e64 s[16:17], 8, v0
	v_cndmask_b32_e64 v88, v88, v51, s[16:17]
	v_cmp_eq_u32_e64 s[18:19], 9, v0
	v_cndmask_b32_e64 v88, v88, v53, s[18:19]
	v_cmp_eq_u32_e64 s[20:21], 10, v0
	v_cndmask_b32_e64 v89, v88, v55, s[20:21]
	v_cndmask_b32_e32 v88, v34, v36, vcc
	v_cndmask_b32_e64 v88, v88, v38, s[4:5]
	v_cndmask_b32_e64 v88, v88, v40, s[6:7]
	;; [unrolled: 1-line block ×5, first 2 shown]
	ds_read_b64 v[91:92], v90
	v_cndmask_b32_e64 v88, v88, v48, s[14:15]
	v_cndmask_b32_e64 v88, v88, v50, s[16:17]
	;; [unrolled: 1-line block ×4, first 2 shown]
	s_waitcnt lgkmcnt(0)
	v_mul_f64 v[88:89], v[88:89], v[91:92]
	s_cbranch_execz .LBB74_85
	s_branch .LBB74_86
.LBB74_84:
                                        ; implicit-def: $vgpr88_vgpr89
.LBB74_85:
	ds_read_b64 v[88:89], v90
.LBB74_86:
	s_and_saveexec_b64 s[4:5], s[0:1]
	s_cbranch_execz .LBB74_96
; %bb.87:
	v_add_u32_e32 v92, -5, v0
	v_add_u32_e32 v91, -4, v0
	v_cmp_lt_u32_e32 vcc, 6, v92
	v_mov_b32_e32 v92, 4
	s_and_saveexec_b64 s[0:1], vcc
	s_cbranch_execz .LBB74_91
; %bb.88:
	v_and_b32_e32 v92, -8, v91
	v_sub_u32_e32 v93, 0, v92
	s_mov_b64 s[6:7], 5
	s_movk_i32 s10, 0x80
	s_mov_b64 s[8:9], 0
.LBB74_89:                              ; =>This Inner Loop Header: Depth=1
	s_lshl_b32 s11, s6, 1
	s_add_i32 s12, s11, -1
	v_mov_b32_e32 v92, s10
	s_add_i32 s13, s11, -2
	s_set_gpr_idx_on s12, gpr_idx(SRC0)
	v_mov_b32_e32 v103, v34
	s_set_gpr_idx_off
	s_set_gpr_idx_on s13, gpr_idx(SRC0)
	v_mov_b32_e32 v102, v34
	s_set_gpr_idx_off
	ds_read_b128 v[94:97], v92
	ds_read_b128 v[98:101], v92 offset:16
	s_add_i32 s12, s11, 3
	s_add_i32 s13, s11, 2
	s_waitcnt lgkmcnt(1)
	v_fma_f64 v[88:89], v[102:103], v[94:95], v[88:89]
	ds_read_b128 v[102:105], v92 offset:32
	ds_read_b128 v[106:109], v92 offset:48
	s_set_gpr_idx_on s11, gpr_idx(SRC0)
	v_mov_b32_e32 v95, v35
	v_mov_b32_e32 v94, v34
	s_set_gpr_idx_off
	v_fma_f64 v[88:89], v[94:95], v[96:97], v[88:89]
	s_set_gpr_idx_on s12, gpr_idx(SRC0)
	v_mov_b32_e32 v95, v34
	s_set_gpr_idx_off
	s_set_gpr_idx_on s13, gpr_idx(SRC0)
	v_mov_b32_e32 v94, v34
	s_set_gpr_idx_off
	s_add_i32 s12, s11, 5
	s_add_i32 s13, s11, 4
	s_waitcnt lgkmcnt(2)
	v_fma_f64 v[88:89], v[94:95], v[98:99], v[88:89]
	s_set_gpr_idx_on s12, gpr_idx(SRC0)
	v_mov_b32_e32 v95, v34
	s_set_gpr_idx_off
	s_set_gpr_idx_on s13, gpr_idx(SRC0)
	v_mov_b32_e32 v94, v34
	s_set_gpr_idx_off
	s_add_i32 s12, s11, 7
	s_add_i32 s13, s11, 6
	v_fma_f64 v[88:89], v[94:95], v[100:101], v[88:89]
	s_set_gpr_idx_on s12, gpr_idx(SRC0)
	v_mov_b32_e32 v95, v34
	s_set_gpr_idx_off
	s_set_gpr_idx_on s13, gpr_idx(SRC0)
	v_mov_b32_e32 v94, v34
	s_set_gpr_idx_off
	s_add_i32 s12, s11, 9
	s_add_i32 s13, s11, 8
	s_waitcnt lgkmcnt(1)
	v_fma_f64 v[88:89], v[94:95], v[102:103], v[88:89]
	s_set_gpr_idx_on s12, gpr_idx(SRC0)
	v_mov_b32_e32 v95, v34
	s_set_gpr_idx_off
	s_set_gpr_idx_on s13, gpr_idx(SRC0)
	v_mov_b32_e32 v94, v34
	s_set_gpr_idx_off
	s_add_i32 s12, s11, 11
	s_add_i32 s13, s11, 10
	v_fma_f64 v[88:89], v[94:95], v[104:105], v[88:89]
	s_set_gpr_idx_on s12, gpr_idx(SRC0)
	v_mov_b32_e32 v95, v34
	s_set_gpr_idx_off
	s_set_gpr_idx_on s13, gpr_idx(SRC0)
	v_mov_b32_e32 v94, v34
	s_set_gpr_idx_off
	s_add_i32 s12, s11, 13
	s_add_i32 s11, s11, 12
	s_add_u32 s6, s6, 8
	v_add_u32_e32 v92, s6, v93
	s_addc_u32 s7, s7, 0
	s_waitcnt lgkmcnt(0)
	v_fma_f64 v[88:89], v[94:95], v[106:107], v[88:89]
	s_set_gpr_idx_on s12, gpr_idx(SRC0)
	v_mov_b32_e32 v95, v34
	s_set_gpr_idx_off
	s_set_gpr_idx_on s11, gpr_idx(SRC0)
	v_mov_b32_e32 v94, v34
	s_set_gpr_idx_off
	s_add_i32 s10, s10, 64
	s_add_i32 s11, s6, -1
	v_cmp_eq_u32_e32 vcc, 5, v92
	s_or_b64 s[8:9], vcc, s[8:9]
	v_mov_b32_e32 v92, s11
	v_fma_f64 v[88:89], v[94:95], v[108:109], v[88:89]
	s_andn2_b64 exec, exec, s[8:9]
	s_cbranch_execnz .LBB74_89
; %bb.90:
	s_or_b64 exec, exec, s[8:9]
.LBB74_91:
	s_or_b64 exec, exec, s[0:1]
	v_and_b32_e32 v56, 7, v91
	v_cmp_ne_u32_e32 vcc, 0, v56
	s_and_saveexec_b64 s[6:7], vcc
	s_cbranch_execz .LBB74_95
; %bb.92:
	v_mov_b32_e32 v57, 0x60
	v_lshl_add_u32 v57, v92, 3, v57
	v_mov_b32_e32 v58, 0
	s_mov_b64 s[8:9], 0
.LBB74_93:                              ; =>This Inner Loop Header: Depth=1
	v_cmp_eq_u32_e32 vcc, 1, v92
	v_cndmask_b32_e32 v61, v35, v37, vcc
	v_cmp_eq_u32_e64 s[0:1], 2, v92
	v_cndmask_b32_e64 v61, v61, v39, s[0:1]
	v_cndmask_b32_e32 v62, v34, v36, vcc
	v_cmp_eq_u32_e32 vcc, 3, v92
	v_cndmask_b32_e32 v61, v61, v41, vcc
	v_cndmask_b32_e64 v62, v62, v38, s[0:1]
	v_cmp_eq_u32_e64 s[0:1], 4, v92
	v_cndmask_b32_e64 v61, v61, v43, s[0:1]
	v_cndmask_b32_e32 v62, v62, v40, vcc
	v_cmp_eq_u32_e32 vcc, 5, v92
	v_cndmask_b32_e32 v61, v61, v45, vcc
	v_cndmask_b32_e64 v62, v62, v42, s[0:1]
	v_cmp_eq_u32_e64 s[0:1], 6, v92
	v_cndmask_b32_e64 v61, v61, v47, s[0:1]
	v_cndmask_b32_e32 v62, v62, v44, vcc
	v_cmp_eq_u32_e32 vcc, 7, v92
	ds_read_b64 v[59:60], v57
	v_cndmask_b32_e32 v61, v61, v49, vcc
	v_cndmask_b32_e64 v62, v62, v46, s[0:1]
	v_cmp_eq_u32_e64 s[0:1], 8, v92
	v_cndmask_b32_e64 v61, v61, v51, s[0:1]
	v_cndmask_b32_e32 v62, v62, v48, vcc
	v_cmp_eq_u32_e32 vcc, 9, v92
	v_cndmask_b32_e32 v61, v61, v53, vcc
	v_cndmask_b32_e64 v63, v62, v50, s[0:1]
	v_cmp_eq_u32_e64 s[0:1], 10, v92
	v_cndmask_b32_e64 v62, v61, v55, s[0:1]
	v_cndmask_b32_e32 v61, v63, v52, vcc
	v_cndmask_b32_e64 v61, v61, v54, s[0:1]
	s_waitcnt lgkmcnt(0)
	v_fma_f64 v[88:89], v[61:62], v[59:60], v[88:89]
	v_add_u32_e32 v56, -1, v56
	v_cmp_eq_u32_e32 vcc, 0, v56
	s_or_b64 s[8:9], vcc, s[8:9]
	v_add_co_u32_e32 v92, vcc, 1, v92
	v_add_u32_e32 v57, 8, v57
	v_addc_co_u32_e32 v58, vcc, 0, v58, vcc
	s_andn2_b64 exec, exec, s[8:9]
	s_cbranch_execnz .LBB74_93
; %bb.94:
	s_or_b64 exec, exec, s[8:9]
.LBB74_95:
	s_or_b64 exec, exec, s[6:7]
.LBB74_96:
	s_or_b64 exec, exec, s[4:5]
	v_mov_b32_e32 v40, 0
	ds_read_b64 v[40:41], v40 offset:24
	s_waitcnt lgkmcnt(0)
	v_mul_f64 v[40:41], v[88:89], v[40:41]
.LBB74_97:
	s_or_b64 exec, exec, s[24:25]
	v_cmp_lt_u32_e64 s[0:1], 2, v0
	ds_write_b64 v90, v[38:39]
	s_waitcnt lgkmcnt(0)
	; wave barrier
	s_and_saveexec_b64 s[24:25], s[0:1]
	s_cbranch_execz .LBB74_113
; %bb.98:
	s_andn2_b64 vcc, exec, s[22:23]
	s_cbranch_vccnz .LBB74_100
; %bb.99:
	v_cmp_eq_u32_e32 vcc, 1, v0
	v_cndmask_b32_e32 v88, v35, v37, vcc
	v_cmp_eq_u32_e64 s[4:5], 2, v0
	v_cndmask_b32_e64 v88, v88, v39, s[4:5]
	v_cmp_eq_u32_e64 s[6:7], 3, v0
	v_cndmask_b32_e64 v88, v88, v41, s[6:7]
	;; [unrolled: 2-line block ×9, first 2 shown]
	v_cndmask_b32_e32 v88, v34, v36, vcc
	v_cndmask_b32_e64 v88, v88, v38, s[4:5]
	v_cndmask_b32_e64 v88, v88, v40, s[6:7]
	;; [unrolled: 1-line block ×5, first 2 shown]
	ds_read_b64 v[91:92], v90
	v_cndmask_b32_e64 v88, v88, v48, s[14:15]
	v_cndmask_b32_e64 v88, v88, v50, s[16:17]
	;; [unrolled: 1-line block ×4, first 2 shown]
	s_waitcnt lgkmcnt(0)
	v_mul_f64 v[88:89], v[88:89], v[91:92]
	s_cbranch_execz .LBB74_101
	s_branch .LBB74_102
.LBB74_100:
                                        ; implicit-def: $vgpr88_vgpr89
.LBB74_101:
	ds_read_b64 v[88:89], v90
.LBB74_102:
	s_and_saveexec_b64 s[4:5], s[2:3]
	s_cbranch_execz .LBB74_112
; %bb.103:
	v_add_u32_e32 v92, -4, v0
	v_add_u32_e32 v91, -3, v0
	v_cmp_lt_u32_e32 vcc, 6, v92
	v_mov_b32_e32 v92, 3
	s_and_saveexec_b64 s[2:3], vcc
	s_cbranch_execz .LBB74_107
; %bb.104:
	v_and_b32_e32 v92, -8, v91
	v_sub_u32_e32 v93, 0, v92
	s_mov_b64 s[6:7], 10
	s_movk_i32 s10, 0x78
	s_mov_b64 s[8:9], 0
.LBB74_105:                             ; =>This Inner Loop Header: Depth=1
	s_lshl_b32 s11, s6, 1
	s_add_i32 s12, s11, -13
	v_mov_b32_e32 v92, s10
	s_add_i32 s13, s11, -14
	s_set_gpr_idx_on s12, gpr_idx(SRC0)
	v_mov_b32_e32 v99, v34
	s_set_gpr_idx_off
	s_set_gpr_idx_on s13, gpr_idx(SRC0)
	v_mov_b32_e32 v98, v34
	s_set_gpr_idx_off
	ds_read2_b64 v[94:97], v92 offset1:1
	s_add_i32 s12, s11, -11
	s_add_i32 s13, s11, -12
	;; [unrolled: 1-line block ×4, first 2 shown]
	s_waitcnt lgkmcnt(0)
	v_fma_f64 v[88:89], v[98:99], v[94:95], v[88:89]
	s_set_gpr_idx_on s12, gpr_idx(SRC0)
	v_mov_b32_e32 v95, v34
	s_set_gpr_idx_off
	s_set_gpr_idx_on s13, gpr_idx(SRC0)
	v_mov_b32_e32 v94, v34
	s_set_gpr_idx_off
	s_add_i32 s12, s11, -7
	s_add_i32 s13, s11, -8
	v_fma_f64 v[88:89], v[94:95], v[96:97], v[88:89]
	s_set_gpr_idx_on s14, gpr_idx(SRC0)
	v_mov_b32_e32 v99, v34
	s_set_gpr_idx_off
	s_set_gpr_idx_on s15, gpr_idx(SRC0)
	v_mov_b32_e32 v98, v34
	s_set_gpr_idx_off
	ds_read2_b64 v[94:97], v92 offset0:2 offset1:3
	s_add_i32 s14, s11, -5
	s_add_i32 s15, s11, -6
	s_waitcnt lgkmcnt(0)
	v_fma_f64 v[88:89], v[98:99], v[94:95], v[88:89]
	s_set_gpr_idx_on s12, gpr_idx(SRC0)
	v_mov_b32_e32 v95, v34
	s_set_gpr_idx_off
	s_set_gpr_idx_on s13, gpr_idx(SRC0)
	v_mov_b32_e32 v94, v34
	s_set_gpr_idx_off
	s_add_i32 s12, s11, -3
	s_add_i32 s13, s11, -4
	v_fma_f64 v[88:89], v[94:95], v[96:97], v[88:89]
	s_set_gpr_idx_on s14, gpr_idx(SRC0)
	v_mov_b32_e32 v99, v34
	s_set_gpr_idx_off
	s_set_gpr_idx_on s15, gpr_idx(SRC0)
	v_mov_b32_e32 v98, v34
	s_set_gpr_idx_off
	ds_read2_b64 v[94:97], v92 offset0:4 offset1:5
	s_add_i32 s14, s11, -1
	s_add_i32 s15, s11, -2
	s_add_u32 s6, s6, 8
	s_addc_u32 s7, s7, 0
	s_waitcnt lgkmcnt(0)
	v_fma_f64 v[88:89], v[98:99], v[94:95], v[88:89]
	s_set_gpr_idx_on s12, gpr_idx(SRC0)
	v_mov_b32_e32 v95, v34
	s_set_gpr_idx_off
	s_set_gpr_idx_on s13, gpr_idx(SRC0)
	v_mov_b32_e32 v94, v34
	s_set_gpr_idx_off
	s_add_i32 s10, s10, 64
	v_fma_f64 v[88:89], v[94:95], v[96:97], v[88:89]
	s_set_gpr_idx_on s14, gpr_idx(SRC0)
	v_mov_b32_e32 v99, v34
	s_set_gpr_idx_off
	s_set_gpr_idx_on s15, gpr_idx(SRC0)
	v_mov_b32_e32 v98, v34
	s_set_gpr_idx_off
	ds_read2_b64 v[94:97], v92 offset0:6 offset1:7
	v_add_u32_e32 v92, s6, v93
	v_cmp_eq_u32_e32 vcc, 10, v92
	s_waitcnt lgkmcnt(0)
	v_fma_f64 v[88:89], v[98:99], v[94:95], v[88:89]
	s_set_gpr_idx_on s11, gpr_idx(SRC0)
	v_mov_b32_e32 v95, v35
	v_mov_b32_e32 v94, v34
	s_set_gpr_idx_off
	s_add_i32 s11, s6, -7
	s_or_b64 s[8:9], vcc, s[8:9]
	v_mov_b32_e32 v92, s11
	v_fma_f64 v[88:89], v[94:95], v[96:97], v[88:89]
	s_andn2_b64 exec, exec, s[8:9]
	s_cbranch_execnz .LBB74_105
; %bb.106:
	s_or_b64 exec, exec, s[8:9]
.LBB74_107:
	s_or_b64 exec, exec, s[2:3]
	v_and_b32_e32 v56, 7, v91
	v_cmp_ne_u32_e32 vcc, 0, v56
	s_and_saveexec_b64 s[6:7], vcc
	s_cbranch_execz .LBB74_111
; %bb.108:
	v_mov_b32_e32 v57, 0x60
	v_lshl_add_u32 v57, v92, 3, v57
	v_mov_b32_e32 v58, 0
	s_mov_b64 s[8:9], 0
.LBB74_109:                             ; =>This Inner Loop Header: Depth=1
	v_cmp_eq_u32_e32 vcc, 1, v92
	v_cndmask_b32_e32 v61, v35, v37, vcc
	v_cmp_eq_u32_e64 s[2:3], 2, v92
	v_cndmask_b32_e64 v61, v61, v39, s[2:3]
	v_cndmask_b32_e32 v62, v34, v36, vcc
	v_cmp_eq_u32_e32 vcc, 3, v92
	v_cndmask_b32_e32 v61, v61, v41, vcc
	v_cndmask_b32_e64 v62, v62, v38, s[2:3]
	v_cmp_eq_u32_e64 s[2:3], 4, v92
	v_cndmask_b32_e64 v61, v61, v43, s[2:3]
	v_cndmask_b32_e32 v62, v62, v40, vcc
	v_cmp_eq_u32_e32 vcc, 5, v92
	v_cndmask_b32_e32 v61, v61, v45, vcc
	v_cndmask_b32_e64 v62, v62, v42, s[2:3]
	v_cmp_eq_u32_e64 s[2:3], 6, v92
	v_cndmask_b32_e64 v61, v61, v47, s[2:3]
	v_cndmask_b32_e32 v62, v62, v44, vcc
	v_cmp_eq_u32_e32 vcc, 7, v92
	ds_read_b64 v[59:60], v57
	v_cndmask_b32_e32 v61, v61, v49, vcc
	v_cndmask_b32_e64 v62, v62, v46, s[2:3]
	v_cmp_eq_u32_e64 s[2:3], 8, v92
	v_cndmask_b32_e64 v61, v61, v51, s[2:3]
	v_cndmask_b32_e32 v62, v62, v48, vcc
	v_cmp_eq_u32_e32 vcc, 9, v92
	v_cndmask_b32_e32 v61, v61, v53, vcc
	v_cndmask_b32_e64 v63, v62, v50, s[2:3]
	v_cmp_eq_u32_e64 s[2:3], 10, v92
	v_cndmask_b32_e64 v62, v61, v55, s[2:3]
	v_cndmask_b32_e32 v61, v63, v52, vcc
	v_cndmask_b32_e64 v61, v61, v54, s[2:3]
	s_waitcnt lgkmcnt(0)
	v_fma_f64 v[88:89], v[61:62], v[59:60], v[88:89]
	v_add_u32_e32 v56, -1, v56
	v_cmp_eq_u32_e32 vcc, 0, v56
	s_or_b64 s[8:9], vcc, s[8:9]
	v_add_co_u32_e32 v92, vcc, 1, v92
	v_add_u32_e32 v57, 8, v57
	v_addc_co_u32_e32 v58, vcc, 0, v58, vcc
	s_andn2_b64 exec, exec, s[8:9]
	s_cbranch_execnz .LBB74_109
; %bb.110:
	s_or_b64 exec, exec, s[8:9]
.LBB74_111:
	s_or_b64 exec, exec, s[6:7]
.LBB74_112:
	s_or_b64 exec, exec, s[4:5]
	v_mov_b32_e32 v38, 0
	ds_read_b64 v[38:39], v38 offset:16
	s_waitcnt lgkmcnt(0)
	v_mul_f64 v[38:39], v[88:89], v[38:39]
.LBB74_113:
	s_or_b64 exec, exec, s[24:25]
	v_cmp_lt_u32_e64 s[2:3], 1, v0
	ds_write_b64 v90, v[36:37]
	s_waitcnt lgkmcnt(0)
	; wave barrier
	s_and_saveexec_b64 s[24:25], s[2:3]
	s_cbranch_execz .LBB74_129
; %bb.114:
	s_andn2_b64 vcc, exec, s[22:23]
	s_cbranch_vccnz .LBB74_116
; %bb.115:
	v_cmp_eq_u32_e32 vcc, 1, v0
	v_cndmask_b32_e32 v88, v35, v37, vcc
	v_cmp_eq_u32_e64 s[4:5], 2, v0
	v_cndmask_b32_e64 v88, v88, v39, s[4:5]
	v_cmp_eq_u32_e64 s[6:7], 3, v0
	v_cndmask_b32_e64 v88, v88, v41, s[6:7]
	;; [unrolled: 2-line block ×9, first 2 shown]
	v_cndmask_b32_e32 v88, v34, v36, vcc
	v_cndmask_b32_e64 v88, v88, v38, s[4:5]
	v_cndmask_b32_e64 v88, v88, v40, s[6:7]
	;; [unrolled: 1-line block ×5, first 2 shown]
	ds_read_b64 v[91:92], v90
	v_cndmask_b32_e64 v88, v88, v48, s[14:15]
	v_cndmask_b32_e64 v88, v88, v50, s[16:17]
	;; [unrolled: 1-line block ×4, first 2 shown]
	s_waitcnt lgkmcnt(0)
	v_mul_f64 v[88:89], v[88:89], v[91:92]
	s_cbranch_execz .LBB74_117
	s_branch .LBB74_118
.LBB74_116:
                                        ; implicit-def: $vgpr88_vgpr89
.LBB74_117:
	ds_read_b64 v[88:89], v90
.LBB74_118:
	s_and_saveexec_b64 s[4:5], s[0:1]
	s_cbranch_execz .LBB74_128
; %bb.119:
	v_add_u32_e32 v92, -3, v0
	v_add_u32_e32 v91, -2, v0
	v_cmp_lt_u32_e32 vcc, 6, v92
	v_mov_b32_e32 v92, 2
	s_and_saveexec_b64 s[0:1], vcc
	s_cbranch_execz .LBB74_123
; %bb.120:
	v_and_b32_e32 v92, -8, v91
	v_sub_u32_e32 v93, 0, v92
	s_mov_b64 s[6:7], 9
	s_movk_i32 s10, 0x70
	s_mov_b64 s[8:9], 0
.LBB74_121:                             ; =>This Inner Loop Header: Depth=1
	s_lshl_b32 s11, s6, 1
	s_add_i32 s12, s11, -13
	v_mov_b32_e32 v92, s10
	s_add_i32 s13, s11, -14
	s_set_gpr_idx_on s12, gpr_idx(SRC0)
	v_mov_b32_e32 v103, v34
	s_set_gpr_idx_off
	s_set_gpr_idx_on s13, gpr_idx(SRC0)
	v_mov_b32_e32 v102, v34
	s_set_gpr_idx_off
	ds_read_b128 v[94:97], v92
	ds_read_b128 v[98:101], v92 offset:16
	s_add_i32 s12, s11, -11
	s_add_i32 s13, s11, -12
	s_waitcnt lgkmcnt(1)
	v_fma_f64 v[88:89], v[102:103], v[94:95], v[88:89]
	ds_read_b128 v[102:105], v92 offset:32
	ds_read_b128 v[106:109], v92 offset:48
	s_set_gpr_idx_on s12, gpr_idx(SRC0)
	v_mov_b32_e32 v95, v34
	s_set_gpr_idx_off
	s_set_gpr_idx_on s13, gpr_idx(SRC0)
	v_mov_b32_e32 v94, v34
	s_set_gpr_idx_off
	s_add_i32 s12, s11, -9
	s_add_i32 s13, s11, -10
	v_fma_f64 v[88:89], v[94:95], v[96:97], v[88:89]
	s_set_gpr_idx_on s12, gpr_idx(SRC0)
	v_mov_b32_e32 v95, v34
	s_set_gpr_idx_off
	s_set_gpr_idx_on s13, gpr_idx(SRC0)
	v_mov_b32_e32 v94, v34
	s_set_gpr_idx_off
	s_add_i32 s12, s11, -7
	s_add_i32 s13, s11, -8
	s_waitcnt lgkmcnt(2)
	v_fma_f64 v[88:89], v[94:95], v[98:99], v[88:89]
	s_set_gpr_idx_on s12, gpr_idx(SRC0)
	v_mov_b32_e32 v95, v34
	s_set_gpr_idx_off
	s_set_gpr_idx_on s13, gpr_idx(SRC0)
	v_mov_b32_e32 v94, v34
	s_set_gpr_idx_off
	s_add_i32 s12, s11, -5
	s_add_i32 s13, s11, -6
	v_fma_f64 v[88:89], v[94:95], v[100:101], v[88:89]
	s_set_gpr_idx_on s12, gpr_idx(SRC0)
	v_mov_b32_e32 v95, v34
	s_set_gpr_idx_off
	s_set_gpr_idx_on s13, gpr_idx(SRC0)
	v_mov_b32_e32 v94, v34
	s_set_gpr_idx_off
	s_add_i32 s12, s11, -3
	s_add_i32 s13, s11, -4
	s_waitcnt lgkmcnt(1)
	v_fma_f64 v[88:89], v[94:95], v[102:103], v[88:89]
	s_set_gpr_idx_on s12, gpr_idx(SRC0)
	v_mov_b32_e32 v95, v34
	s_set_gpr_idx_off
	s_set_gpr_idx_on s13, gpr_idx(SRC0)
	v_mov_b32_e32 v94, v34
	s_set_gpr_idx_off
	s_add_i32 s12, s11, -1
	s_add_i32 s13, s11, -2
	s_add_u32 s6, s6, 8
	v_add_u32_e32 v92, s6, v93
	s_addc_u32 s7, s7, 0
	v_fma_f64 v[88:89], v[94:95], v[104:105], v[88:89]
	s_set_gpr_idx_on s12, gpr_idx(SRC0)
	v_mov_b32_e32 v95, v34
	s_set_gpr_idx_off
	s_set_gpr_idx_on s13, gpr_idx(SRC0)
	v_mov_b32_e32 v94, v34
	s_set_gpr_idx_off
	s_add_i32 s10, s10, 64
	v_cmp_eq_u32_e32 vcc, 9, v92
	s_waitcnt lgkmcnt(0)
	v_fma_f64 v[88:89], v[94:95], v[106:107], v[88:89]
	s_set_gpr_idx_on s11, gpr_idx(SRC0)
	v_mov_b32_e32 v95, v35
	v_mov_b32_e32 v94, v34
	s_set_gpr_idx_off
	s_add_i32 s11, s6, -7
	s_or_b64 s[8:9], vcc, s[8:9]
	v_mov_b32_e32 v92, s11
	v_fma_f64 v[88:89], v[94:95], v[108:109], v[88:89]
	s_andn2_b64 exec, exec, s[8:9]
	s_cbranch_execnz .LBB74_121
; %bb.122:
	s_or_b64 exec, exec, s[8:9]
.LBB74_123:
	s_or_b64 exec, exec, s[0:1]
	v_and_b32_e32 v56, 7, v91
	v_cmp_ne_u32_e32 vcc, 0, v56
	s_and_saveexec_b64 s[6:7], vcc
	s_cbranch_execz .LBB74_127
; %bb.124:
	v_mov_b32_e32 v57, 0x60
	v_lshl_add_u32 v57, v92, 3, v57
	v_mov_b32_e32 v58, 0
	s_mov_b64 s[8:9], 0
.LBB74_125:                             ; =>This Inner Loop Header: Depth=1
	v_cmp_eq_u32_e32 vcc, 1, v92
	v_cndmask_b32_e32 v61, v35, v37, vcc
	v_cmp_eq_u32_e64 s[0:1], 2, v92
	v_cndmask_b32_e64 v61, v61, v39, s[0:1]
	v_cndmask_b32_e32 v62, v34, v36, vcc
	v_cmp_eq_u32_e32 vcc, 3, v92
	v_cndmask_b32_e32 v61, v61, v41, vcc
	v_cndmask_b32_e64 v62, v62, v38, s[0:1]
	v_cmp_eq_u32_e64 s[0:1], 4, v92
	v_cndmask_b32_e64 v61, v61, v43, s[0:1]
	v_cndmask_b32_e32 v62, v62, v40, vcc
	v_cmp_eq_u32_e32 vcc, 5, v92
	v_cndmask_b32_e32 v61, v61, v45, vcc
	v_cndmask_b32_e64 v62, v62, v42, s[0:1]
	v_cmp_eq_u32_e64 s[0:1], 6, v92
	v_cndmask_b32_e64 v61, v61, v47, s[0:1]
	v_cndmask_b32_e32 v62, v62, v44, vcc
	v_cmp_eq_u32_e32 vcc, 7, v92
	ds_read_b64 v[59:60], v57
	v_cndmask_b32_e32 v61, v61, v49, vcc
	v_cndmask_b32_e64 v62, v62, v46, s[0:1]
	v_cmp_eq_u32_e64 s[0:1], 8, v92
	v_cndmask_b32_e64 v61, v61, v51, s[0:1]
	v_cndmask_b32_e32 v62, v62, v48, vcc
	v_cmp_eq_u32_e32 vcc, 9, v92
	v_cndmask_b32_e32 v61, v61, v53, vcc
	v_cndmask_b32_e64 v63, v62, v50, s[0:1]
	v_cmp_eq_u32_e64 s[0:1], 10, v92
	v_cndmask_b32_e64 v62, v61, v55, s[0:1]
	v_cndmask_b32_e32 v61, v63, v52, vcc
	v_cndmask_b32_e64 v61, v61, v54, s[0:1]
	s_waitcnt lgkmcnt(0)
	v_fma_f64 v[88:89], v[61:62], v[59:60], v[88:89]
	v_add_u32_e32 v56, -1, v56
	v_cmp_eq_u32_e32 vcc, 0, v56
	s_or_b64 s[8:9], vcc, s[8:9]
	v_add_co_u32_e32 v92, vcc, 1, v92
	v_add_u32_e32 v57, 8, v57
	v_addc_co_u32_e32 v58, vcc, 0, v58, vcc
	s_andn2_b64 exec, exec, s[8:9]
	s_cbranch_execnz .LBB74_125
; %bb.126:
	s_or_b64 exec, exec, s[8:9]
.LBB74_127:
	s_or_b64 exec, exec, s[6:7]
.LBB74_128:
	s_or_b64 exec, exec, s[4:5]
	v_mov_b32_e32 v36, 0
	ds_read_b64 v[36:37], v36 offset:8
	s_waitcnt lgkmcnt(0)
	v_mul_f64 v[36:37], v[88:89], v[36:37]
.LBB74_129:
	s_or_b64 exec, exec, s[24:25]
	v_cmp_ne_u32_e32 vcc, 0, v0
	ds_write_b64 v90, v[34:35]
	s_waitcnt lgkmcnt(0)
	; wave barrier
	s_and_saveexec_b64 s[20:21], vcc
	s_cbranch_execz .LBB74_145
; %bb.130:
	s_andn2_b64 vcc, exec, s[22:23]
	s_cbranch_vccnz .LBB74_132
; %bb.131:
	v_cmp_eq_u32_e32 vcc, 1, v0
	v_cndmask_b32_e32 v88, v35, v37, vcc
	v_cmp_eq_u32_e64 s[0:1], 2, v0
	v_cndmask_b32_e64 v88, v88, v39, s[0:1]
	v_cmp_eq_u32_e64 s[4:5], 3, v0
	v_cndmask_b32_e64 v88, v88, v41, s[4:5]
	;; [unrolled: 2-line block ×9, first 2 shown]
	v_cndmask_b32_e32 v88, v34, v36, vcc
	v_cndmask_b32_e64 v88, v88, v38, s[0:1]
	v_cndmask_b32_e64 v88, v88, v40, s[4:5]
	;; [unrolled: 1-line block ×5, first 2 shown]
	ds_read_b64 v[91:92], v90
	v_cndmask_b32_e64 v88, v88, v48, s[12:13]
	v_cndmask_b32_e64 v88, v88, v50, s[14:15]
	;; [unrolled: 1-line block ×4, first 2 shown]
	s_waitcnt lgkmcnt(0)
	v_mul_f64 v[88:89], v[88:89], v[91:92]
	s_cbranch_execz .LBB74_133
	s_branch .LBB74_134
.LBB74_132:
                                        ; implicit-def: $vgpr88_vgpr89
.LBB74_133:
	ds_read_b64 v[88:89], v90
.LBB74_134:
	s_and_saveexec_b64 s[4:5], s[2:3]
	s_cbranch_execz .LBB74_144
; %bb.135:
	v_add_u32_e32 v92, -2, v0
	v_add_u32_e32 v91, -1, v0
	v_cmp_lt_u32_e32 vcc, 6, v92
	v_mov_b32_e32 v92, 1
	s_and_saveexec_b64 s[0:1], vcc
	s_cbranch_execz .LBB74_139
; %bb.136:
	v_and_b32_e32 v92, -8, v91
	v_sub_u32_e32 v93, 0, v92
	s_mov_b64 s[2:3], 8
	s_movk_i32 s8, 0x68
	s_mov_b64 s[6:7], 0
.LBB74_137:                             ; =>This Inner Loop Header: Depth=1
	s_lshl_b32 s9, s2, 1
	s_add_i32 s10, s9, -13
	v_mov_b32_e32 v92, s8
	s_add_i32 s11, s9, -14
	s_set_gpr_idx_on s10, gpr_idx(SRC0)
	v_mov_b32_e32 v99, v34
	s_set_gpr_idx_off
	s_set_gpr_idx_on s11, gpr_idx(SRC0)
	v_mov_b32_e32 v98, v34
	s_set_gpr_idx_off
	ds_read2_b64 v[94:97], v92 offset1:1
	s_add_i32 s10, s9, -11
	s_add_i32 s11, s9, -12
	;; [unrolled: 1-line block ×4, first 2 shown]
	s_waitcnt lgkmcnt(0)
	v_fma_f64 v[88:89], v[98:99], v[94:95], v[88:89]
	s_set_gpr_idx_on s10, gpr_idx(SRC0)
	v_mov_b32_e32 v95, v34
	s_set_gpr_idx_off
	s_set_gpr_idx_on s11, gpr_idx(SRC0)
	v_mov_b32_e32 v94, v34
	s_set_gpr_idx_off
	s_add_i32 s10, s9, -7
	s_add_i32 s11, s9, -8
	v_fma_f64 v[88:89], v[94:95], v[96:97], v[88:89]
	s_set_gpr_idx_on s12, gpr_idx(SRC0)
	v_mov_b32_e32 v99, v34
	s_set_gpr_idx_off
	s_set_gpr_idx_on s13, gpr_idx(SRC0)
	v_mov_b32_e32 v98, v34
	s_set_gpr_idx_off
	ds_read2_b64 v[94:97], v92 offset0:2 offset1:3
	s_add_i32 s12, s9, -5
	s_add_i32 s13, s9, -6
	s_waitcnt lgkmcnt(0)
	v_fma_f64 v[88:89], v[98:99], v[94:95], v[88:89]
	s_set_gpr_idx_on s10, gpr_idx(SRC0)
	v_mov_b32_e32 v95, v34
	s_set_gpr_idx_off
	s_set_gpr_idx_on s11, gpr_idx(SRC0)
	v_mov_b32_e32 v94, v34
	s_set_gpr_idx_off
	s_add_i32 s10, s9, -3
	s_add_i32 s11, s9, -4
	v_fma_f64 v[88:89], v[94:95], v[96:97], v[88:89]
	s_set_gpr_idx_on s12, gpr_idx(SRC0)
	v_mov_b32_e32 v99, v34
	s_set_gpr_idx_off
	s_set_gpr_idx_on s13, gpr_idx(SRC0)
	v_mov_b32_e32 v98, v34
	s_set_gpr_idx_off
	ds_read2_b64 v[94:97], v92 offset0:4 offset1:5
	s_add_i32 s12, s9, -1
	s_add_i32 s13, s9, -2
	s_add_u32 s2, s2, 8
	s_addc_u32 s3, s3, 0
	s_waitcnt lgkmcnt(0)
	v_fma_f64 v[88:89], v[98:99], v[94:95], v[88:89]
	s_set_gpr_idx_on s10, gpr_idx(SRC0)
	v_mov_b32_e32 v95, v34
	s_set_gpr_idx_off
	s_set_gpr_idx_on s11, gpr_idx(SRC0)
	v_mov_b32_e32 v94, v34
	s_set_gpr_idx_off
	s_add_i32 s8, s8, 64
	v_fma_f64 v[88:89], v[94:95], v[96:97], v[88:89]
	s_set_gpr_idx_on s12, gpr_idx(SRC0)
	v_mov_b32_e32 v99, v34
	s_set_gpr_idx_off
	s_set_gpr_idx_on s13, gpr_idx(SRC0)
	v_mov_b32_e32 v98, v34
	s_set_gpr_idx_off
	ds_read2_b64 v[94:97], v92 offset0:6 offset1:7
	v_add_u32_e32 v92, s2, v93
	v_cmp_eq_u32_e32 vcc, 8, v92
	s_waitcnt lgkmcnt(0)
	v_fma_f64 v[88:89], v[98:99], v[94:95], v[88:89]
	s_set_gpr_idx_on s9, gpr_idx(SRC0)
	v_mov_b32_e32 v95, v35
	v_mov_b32_e32 v94, v34
	s_set_gpr_idx_off
	s_add_i32 s9, s2, -7
	s_or_b64 s[6:7], vcc, s[6:7]
	v_mov_b32_e32 v92, s9
	v_fma_f64 v[88:89], v[94:95], v[96:97], v[88:89]
	s_andn2_b64 exec, exec, s[6:7]
	s_cbranch_execnz .LBB74_137
; %bb.138:
	s_or_b64 exec, exec, s[6:7]
.LBB74_139:
	s_or_b64 exec, exec, s[0:1]
	v_and_b32_e32 v56, 7, v91
	v_cmp_ne_u32_e32 vcc, 0, v56
	s_and_saveexec_b64 s[2:3], vcc
	s_cbranch_execz .LBB74_143
; %bb.140:
	v_mov_b32_e32 v57, 0x60
	v_lshl_add_u32 v57, v92, 3, v57
	v_mov_b32_e32 v58, 0
	s_mov_b64 s[6:7], 0
.LBB74_141:                             ; =>This Inner Loop Header: Depth=1
	v_cmp_eq_u32_e32 vcc, 1, v92
	v_cndmask_b32_e32 v61, v35, v37, vcc
	v_cmp_eq_u32_e64 s[0:1], 2, v92
	v_cndmask_b32_e64 v61, v61, v39, s[0:1]
	v_cndmask_b32_e32 v62, v34, v36, vcc
	v_cmp_eq_u32_e32 vcc, 3, v92
	v_cndmask_b32_e32 v61, v61, v41, vcc
	v_cndmask_b32_e64 v62, v62, v38, s[0:1]
	v_cmp_eq_u32_e64 s[0:1], 4, v92
	v_cndmask_b32_e64 v61, v61, v43, s[0:1]
	v_cndmask_b32_e32 v62, v62, v40, vcc
	v_cmp_eq_u32_e32 vcc, 5, v92
	v_cndmask_b32_e32 v61, v61, v45, vcc
	v_cndmask_b32_e64 v62, v62, v42, s[0:1]
	v_cmp_eq_u32_e64 s[0:1], 6, v92
	v_cndmask_b32_e64 v61, v61, v47, s[0:1]
	v_cndmask_b32_e32 v62, v62, v44, vcc
	v_cmp_eq_u32_e32 vcc, 7, v92
	ds_read_b64 v[59:60], v57
	v_cndmask_b32_e32 v61, v61, v49, vcc
	v_cndmask_b32_e64 v62, v62, v46, s[0:1]
	v_cmp_eq_u32_e64 s[0:1], 8, v92
	v_cndmask_b32_e64 v61, v61, v51, s[0:1]
	v_cndmask_b32_e32 v62, v62, v48, vcc
	v_cmp_eq_u32_e32 vcc, 9, v92
	v_cndmask_b32_e32 v61, v61, v53, vcc
	v_cndmask_b32_e64 v63, v62, v50, s[0:1]
	v_cmp_eq_u32_e64 s[0:1], 10, v92
	v_cndmask_b32_e64 v62, v61, v55, s[0:1]
	v_cndmask_b32_e32 v61, v63, v52, vcc
	v_cndmask_b32_e64 v61, v61, v54, s[0:1]
	s_waitcnt lgkmcnt(0)
	v_fma_f64 v[88:89], v[61:62], v[59:60], v[88:89]
	v_add_u32_e32 v56, -1, v56
	v_cmp_eq_u32_e32 vcc, 0, v56
	s_or_b64 s[6:7], vcc, s[6:7]
	v_add_co_u32_e32 v92, vcc, 1, v92
	v_add_u32_e32 v57, 8, v57
	v_addc_co_u32_e32 v58, vcc, 0, v58, vcc
	s_andn2_b64 exec, exec, s[6:7]
	s_cbranch_execnz .LBB74_141
; %bb.142:
	s_or_b64 exec, exec, s[6:7]
.LBB74_143:
	s_or_b64 exec, exec, s[2:3]
.LBB74_144:
	s_or_b64 exec, exec, s[4:5]
	v_mov_b32_e32 v34, 0
	ds_read_b64 v[34:35], v34
	s_waitcnt lgkmcnt(0)
	v_mul_f64 v[34:35], v[88:89], v[34:35]
.LBB74_145:
	s_or_b64 exec, exec, s[20:21]
	s_branch .LBB74_249
.LBB74_146:
	v_cmp_eq_u32_e64 s[0:1], 0, v0
	s_waitcnt vmcnt(0) lgkmcnt(0)
	ds_write_b64 v90, v[4:5]
	s_waitcnt lgkmcnt(0)
	; wave barrier
	s_and_saveexec_b64 s[20:21], s[0:1]
	s_cbranch_execz .LBB74_152
; %bb.147:
	s_and_b64 vcc, exec, s[22:23]
	s_cbranch_vccz .LBB74_149
; %bb.148:
	v_cmp_eq_u32_e32 vcc, 1, v0
	v_cndmask_b32_e32 v5, v3, v5, vcc
	v_cmp_eq_u32_e64 s[2:3], 2, v0
	v_cndmask_b32_e32 v4, v2, v4, vcc
	v_cndmask_b32_e64 v5, v5, v7, s[2:3]
	v_cmp_eq_u32_e64 s[4:5], 3, v0
	v_cndmask_b32_e64 v4, v4, v6, s[2:3]
	v_cndmask_b32_e64 v5, v5, v9, s[4:5]
	v_cmp_eq_u32_e64 s[6:7], 4, v0
	v_cndmask_b32_e64 v4, v4, v8, s[4:5]
	;; [unrolled: 3-line block ×5, first 2 shown]
	ds_read_b64 v[24:25], v90
	v_cndmask_b32_e64 v5, v5, v17, s[12:13]
	v_cmp_eq_u32_e64 s[14:15], 8, v0
	v_cndmask_b32_e64 v4, v4, v16, s[12:13]
	v_cndmask_b32_e64 v5, v5, v19, s[14:15]
	v_cmp_eq_u32_e64 s[16:17], 9, v0
	v_cndmask_b32_e64 v4, v4, v18, s[14:15]
	;; [unrolled: 3-line block ×3, first 2 shown]
	v_cndmask_b32_e64 v5, v5, v23, s[18:19]
	v_cndmask_b32_e64 v4, v4, v22, s[18:19]
	s_waitcnt lgkmcnt(0)
	v_mul_f64 v[4:5], v[4:5], v[24:25]
	s_cbranch_execz .LBB74_150
	s_branch .LBB74_151
.LBB74_149:
                                        ; implicit-def: $vgpr4_vgpr5
.LBB74_150:
	ds_read_b64 v[4:5], v90
.LBB74_151:
	v_mov_b32_e32 v24, 0
	ds_read_b64 v[24:25], v24 offset:8
	s_waitcnt lgkmcnt(0)
	v_mul_f64 v[4:5], v[4:5], v[24:25]
.LBB74_152:
	s_or_b64 exec, exec, s[20:21]
	v_cndmask_b32_e64 v34, 0, 1, s[22:23]
	v_cmp_gt_u32_e32 vcc, 2, v0
	v_cmp_ne_u32_e64 s[2:3], 1, v34
	ds_write_b64 v90, v[6:7]
	s_waitcnt lgkmcnt(0)
	; wave barrier
	s_and_saveexec_b64 s[22:23], vcc
	s_cbranch_execz .LBB74_158
; %bb.153:
	s_and_b64 vcc, exec, s[2:3]
	s_cbranch_vccnz .LBB74_155
; %bb.154:
	v_cmp_eq_u32_e32 vcc, 1, v0
	v_cndmask_b32_e32 v24, v3, v5, vcc
	v_cmp_eq_u32_e64 s[4:5], 2, v0
	v_cndmask_b32_e64 v7, v24, v7, s[4:5]
	v_cndmask_b32_e32 v24, v2, v4, vcc
	v_cmp_eq_u32_e64 s[6:7], 3, v0
	v_cndmask_b32_e64 v6, v24, v6, s[4:5]
	v_cndmask_b32_e64 v7, v7, v9, s[6:7]
	v_cmp_eq_u32_e64 s[8:9], 4, v0
	v_cndmask_b32_e64 v6, v6, v8, s[6:7]
	v_cndmask_b32_e64 v7, v7, v11, s[8:9]
	;; [unrolled: 3-line block ×4, first 2 shown]
	v_cmp_eq_u32_e64 s[14:15], 7, v0
	v_cndmask_b32_e64 v6, v6, v14, s[12:13]
	ds_read_b64 v[24:25], v90
	v_cndmask_b32_e64 v7, v7, v17, s[14:15]
	v_cmp_eq_u32_e64 s[16:17], 8, v0
	v_cndmask_b32_e64 v6, v6, v16, s[14:15]
	v_cndmask_b32_e64 v7, v7, v19, s[16:17]
	v_cmp_eq_u32_e64 s[18:19], 9, v0
	v_cndmask_b32_e64 v6, v6, v18, s[16:17]
	;; [unrolled: 3-line block ×3, first 2 shown]
	v_cndmask_b32_e64 v7, v7, v23, s[20:21]
	v_cndmask_b32_e64 v6, v6, v22, s[20:21]
	s_waitcnt lgkmcnt(0)
	v_mul_f64 v[6:7], v[6:7], v[24:25]
	s_cbranch_execz .LBB74_156
	s_branch .LBB74_157
.LBB74_155:
                                        ; implicit-def: $vgpr6_vgpr7
.LBB74_156:
	ds_read_b64 v[6:7], v90
.LBB74_157:
	v_mov_b32_e32 v24, 0
	ds_read2_b64 v[24:27], v24 offset0:2 offset1:13
	s_waitcnt lgkmcnt(0)
	v_fma_f64 v[26:27], v[4:5], v[26:27], v[6:7]
	v_cndmask_b32_e64 v7, v7, v27, s[0:1]
	v_cndmask_b32_e64 v6, v6, v26, s[0:1]
	v_mul_f64 v[6:7], v[6:7], v[24:25]
.LBB74_158:
	s_or_b64 exec, exec, s[22:23]
	v_add_u32_e32 v34, 1, v0
	v_cmp_gt_u32_e64 s[4:5], 3, v0
	ds_write_b64 v90, v[8:9]
	s_waitcnt lgkmcnt(0)
	; wave barrier
	s_and_saveexec_b64 s[24:25], s[4:5]
	s_cbranch_execz .LBB74_166
; %bb.159:
	s_and_b64 vcc, exec, s[2:3]
	s_cbranch_vccnz .LBB74_161
; %bb.160:
	v_cmp_eq_u32_e32 vcc, 1, v0
	v_cndmask_b32_e32 v24, v3, v5, vcc
	v_cmp_eq_u32_e64 s[6:7], 2, v0
	v_cndmask_b32_e64 v24, v24, v7, s[6:7]
	v_cmp_eq_u32_e64 s[8:9], 3, v0
	v_cndmask_b32_e64 v24, v24, v9, s[8:9]
	;; [unrolled: 2-line block ×9, first 2 shown]
	v_cndmask_b32_e32 v24, v2, v4, vcc
	v_cndmask_b32_e64 v24, v24, v6, s[6:7]
	v_cndmask_b32_e64 v24, v24, v8, s[8:9]
	v_cndmask_b32_e64 v24, v24, v10, s[10:11]
	v_cndmask_b32_e64 v24, v24, v12, s[12:13]
	v_cndmask_b32_e64 v24, v24, v14, s[14:15]
	ds_read_b64 v[26:27], v90
	v_cndmask_b32_e64 v24, v24, v16, s[16:17]
	v_cndmask_b32_e64 v24, v24, v18, s[18:19]
	;; [unrolled: 1-line block ×4, first 2 shown]
	s_waitcnt lgkmcnt(0)
	v_mul_f64 v[24:25], v[24:25], v[26:27]
	s_cbranch_execz .LBB74_162
	s_branch .LBB74_163
.LBB74_161:
                                        ; implicit-def: $vgpr24_vgpr25
.LBB74_162:
	ds_read_b64 v[24:25], v90
.LBB74_163:
	v_cmp_ne_u32_e32 vcc, 2, v0
	s_and_saveexec_b64 s[26:27], vcc
	s_cbranch_execz .LBB74_165
; %bb.164:
	v_cmp_eq_u32_e32 vcc, 1, v34
	v_cndmask_b32_e32 v26, v3, v5, vcc
	v_cmp_eq_u32_e64 s[6:7], 2, v34
	v_cndmask_b32_e64 v26, v26, v7, s[6:7]
	v_cmp_eq_u32_e64 s[8:9], 3, v34
	v_cndmask_b32_e64 v9, v26, v9, s[8:9]
	v_cndmask_b32_e32 v26, v2, v4, vcc
	v_cndmask_b32_e64 v26, v26, v6, s[6:7]
	v_cmp_eq_u32_e64 s[10:11], 4, v34
	v_cndmask_b32_e64 v8, v26, v8, s[8:9]
	v_cndmask_b32_e64 v9, v9, v11, s[10:11]
	v_cmp_eq_u32_e64 s[12:13], 5, v34
	v_cndmask_b32_e64 v8, v8, v10, s[10:11]
	v_cndmask_b32_e64 v9, v9, v13, s[12:13]
	v_cmp_eq_u32_e64 s[14:15], 6, v34
	v_cndmask_b32_e64 v8, v8, v12, s[12:13]
	v_cndmask_b32_e64 v9, v9, v15, s[14:15]
	v_cmp_eq_u32_e64 s[16:17], 7, v34
	v_cndmask_b32_e64 v8, v8, v14, s[14:15]
	ds_read_b64 v[26:27], v90 offset:8
	v_cndmask_b32_e64 v9, v9, v17, s[16:17]
	v_cmp_eq_u32_e64 s[18:19], 8, v34
	v_cndmask_b32_e64 v8, v8, v16, s[16:17]
	v_cndmask_b32_e64 v9, v9, v19, s[18:19]
	v_cmp_eq_u32_e64 s[20:21], 9, v34
	v_cndmask_b32_e64 v8, v8, v18, s[18:19]
	;; [unrolled: 3-line block ×3, first 2 shown]
	v_cndmask_b32_e64 v9, v9, v23, s[22:23]
	v_cndmask_b32_e64 v8, v8, v22, s[22:23]
	v_mov_b32_e32 v28, 0
	ds_read_b64 v[28:29], v28 offset:112
	s_waitcnt lgkmcnt(1)
	v_fma_f64 v[8:9], v[8:9], v[26:27], v[24:25]
	s_waitcnt lgkmcnt(0)
	v_fma_f64 v[24:25], v[6:7], v[28:29], v[8:9]
	v_cndmask_b32_e64 v25, v9, v25, s[0:1]
	v_cndmask_b32_e64 v24, v8, v24, s[0:1]
.LBB74_165:
	s_or_b64 exec, exec, s[26:27]
	v_mov_b32_e32 v8, 0
	ds_read_b64 v[8:9], v8 offset:24
	s_waitcnt lgkmcnt(0)
	v_mul_f64 v[8:9], v[24:25], v[8:9]
.LBB74_166:
	s_or_b64 exec, exec, s[24:25]
	v_cmp_gt_u32_e32 vcc, 4, v0
	ds_write_b64 v90, v[10:11]
	s_waitcnt lgkmcnt(0)
	; wave barrier
	s_and_saveexec_b64 s[24:25], vcc
	s_cbranch_execz .LBB74_176
; %bb.167:
	s_and_b64 vcc, exec, s[2:3]
	s_cbranch_vccnz .LBB74_169
; %bb.168:
	v_cmp_eq_u32_e32 vcc, 1, v0
	v_cndmask_b32_e32 v24, v3, v5, vcc
	v_cmp_eq_u32_e64 s[6:7], 2, v0
	v_cndmask_b32_e64 v24, v24, v7, s[6:7]
	v_cmp_eq_u32_e64 s[8:9], 3, v0
	v_cndmask_b32_e64 v24, v24, v9, s[8:9]
	v_cmp_eq_u32_e64 s[10:11], 4, v0
	v_cndmask_b32_e64 v24, v24, v11, s[10:11]
	v_cmp_eq_u32_e64 s[12:13], 5, v0
	v_cndmask_b32_e64 v24, v24, v13, s[12:13]
	v_cmp_eq_u32_e64 s[14:15], 6, v0
	v_cndmask_b32_e64 v24, v24, v15, s[14:15]
	v_cmp_eq_u32_e64 s[16:17], 7, v0
	v_cndmask_b32_e64 v24, v24, v17, s[16:17]
	v_cmp_eq_u32_e64 s[18:19], 8, v0
	v_cndmask_b32_e64 v24, v24, v19, s[18:19]
	v_cmp_eq_u32_e64 s[20:21], 9, v0
	v_cndmask_b32_e64 v24, v24, v21, s[20:21]
	v_cmp_eq_u32_e64 s[22:23], 10, v0
	v_cndmask_b32_e64 v25, v24, v23, s[22:23]
	v_cndmask_b32_e32 v24, v2, v4, vcc
	v_cndmask_b32_e64 v24, v24, v6, s[6:7]
	v_cndmask_b32_e64 v24, v24, v8, s[8:9]
	;; [unrolled: 1-line block ×5, first 2 shown]
	ds_read_b64 v[26:27], v90
	v_cndmask_b32_e64 v24, v24, v16, s[16:17]
	v_cndmask_b32_e64 v24, v24, v18, s[18:19]
	;; [unrolled: 1-line block ×4, first 2 shown]
	s_waitcnt lgkmcnt(0)
	v_mul_f64 v[24:25], v[24:25], v[26:27]
	s_cbranch_execz .LBB74_170
	s_branch .LBB74_171
.LBB74_169:
                                        ; implicit-def: $vgpr24_vgpr25
.LBB74_170:
	ds_read_b64 v[24:25], v90
.LBB74_171:
	v_cmp_ne_u32_e32 vcc, 3, v0
	s_and_saveexec_b64 s[8:9], vcc
	s_cbranch_execz .LBB74_175
; %bb.172:
	v_mov_b32_e32 v26, 0x68
	v_lshl_add_u32 v28, v0, 3, v26
	v_mov_b32_e32 v27, v1
	s_mov_b64 s[10:11], 0
	v_mov_b32_e32 v26, v0
.LBB74_173:                             ; =>This Inner Loop Header: Depth=1
	v_add_co_u32_e32 v26, vcc, 1, v26
	v_addc_co_u32_e32 v27, vcc, 0, v27, vcc
	v_cmp_eq_u32_e32 vcc, 1, v26
	v_cndmask_b32_e32 v31, v3, v5, vcc
	v_cmp_eq_u32_e64 s[6:7], 2, v26
	v_cndmask_b32_e64 v31, v31, v7, s[6:7]
	v_cndmask_b32_e32 v32, v2, v4, vcc
	v_cmp_eq_u32_e32 vcc, 3, v26
	v_cndmask_b32_e32 v31, v31, v9, vcc
	v_cndmask_b32_e64 v32, v32, v6, s[6:7]
	v_cmp_eq_u32_e64 s[6:7], 4, v26
	v_cndmask_b32_e64 v31, v31, v11, s[6:7]
	v_cndmask_b32_e32 v32, v32, v8, vcc
	v_cmp_eq_u32_e32 vcc, 5, v26
	v_cndmask_b32_e32 v31, v31, v13, vcc
	v_cndmask_b32_e64 v32, v32, v10, s[6:7]
	v_cmp_eq_u32_e64 s[6:7], 6, v26
	v_cndmask_b32_e64 v31, v31, v15, s[6:7]
	v_cndmask_b32_e32 v32, v32, v12, vcc
	v_cmp_eq_u32_e32 vcc, 7, v26
	ds_read_b64 v[29:30], v28
	v_cndmask_b32_e32 v31, v31, v17, vcc
	v_cndmask_b32_e64 v32, v32, v14, s[6:7]
	v_cmp_eq_u32_e64 s[6:7], 8, v26
	v_cndmask_b32_e64 v31, v31, v19, s[6:7]
	v_cndmask_b32_e32 v32, v32, v16, vcc
	v_cmp_eq_u32_e32 vcc, 9, v26
	v_cndmask_b32_e32 v31, v31, v21, vcc
	v_cndmask_b32_e64 v33, v32, v18, s[6:7]
	v_cmp_eq_u32_e64 s[6:7], 10, v26
	v_cndmask_b32_e64 v32, v31, v23, s[6:7]
	v_cndmask_b32_e32 v31, v33, v20, vcc
	v_cndmask_b32_e64 v31, v31, v22, s[6:7]
	s_waitcnt lgkmcnt(0)
	v_fma_f64 v[24:25], v[31:32], v[29:30], v[24:25]
	v_cmp_lt_u32_e32 vcc, 2, v26
	s_or_b64 s[10:11], vcc, s[10:11]
	v_add_u32_e32 v28, 8, v28
	s_andn2_b64 exec, exec, s[10:11]
	s_cbranch_execnz .LBB74_173
; %bb.174:
	s_or_b64 exec, exec, s[10:11]
.LBB74_175:
	s_or_b64 exec, exec, s[8:9]
	v_mov_b32_e32 v10, 0
	ds_read_b64 v[10:11], v10 offset:32
	s_waitcnt lgkmcnt(0)
	v_mul_f64 v[10:11], v[24:25], v[10:11]
.LBB74_176:
	s_or_b64 exec, exec, s[24:25]
	v_cmp_gt_u32_e64 s[6:7], 5, v0
	ds_write_b64 v90, v[12:13]
	s_waitcnt lgkmcnt(0)
	; wave barrier
	s_and_saveexec_b64 s[26:27], s[6:7]
	s_cbranch_execz .LBB74_186
; %bb.177:
	s_and_b64 vcc, exec, s[2:3]
	s_cbranch_vccnz .LBB74_179
; %bb.178:
	v_cmp_eq_u32_e32 vcc, 1, v0
	v_cndmask_b32_e32 v24, v3, v5, vcc
	v_cmp_eq_u32_e64 s[8:9], 2, v0
	v_cndmask_b32_e64 v24, v24, v7, s[8:9]
	v_cmp_eq_u32_e64 s[10:11], 3, v0
	v_cndmask_b32_e64 v24, v24, v9, s[10:11]
	;; [unrolled: 2-line block ×9, first 2 shown]
	v_cndmask_b32_e32 v24, v2, v4, vcc
	v_cndmask_b32_e64 v24, v24, v6, s[8:9]
	v_cndmask_b32_e64 v24, v24, v8, s[10:11]
	;; [unrolled: 1-line block ×5, first 2 shown]
	ds_read_b64 v[26:27], v90
	v_cndmask_b32_e64 v24, v24, v16, s[18:19]
	v_cndmask_b32_e64 v24, v24, v18, s[20:21]
	;; [unrolled: 1-line block ×4, first 2 shown]
	s_waitcnt lgkmcnt(0)
	v_mul_f64 v[24:25], v[24:25], v[26:27]
	s_cbranch_execz .LBB74_180
	s_branch .LBB74_181
.LBB74_179:
                                        ; implicit-def: $vgpr24_vgpr25
.LBB74_180:
	ds_read_b64 v[24:25], v90
.LBB74_181:
	v_cmp_ne_u32_e32 vcc, 4, v0
	s_and_saveexec_b64 s[10:11], vcc
	s_cbranch_execz .LBB74_185
; %bb.182:
	v_mov_b32_e32 v26, 0x68
	v_lshl_add_u32 v28, v0, 3, v26
	v_mov_b32_e32 v27, v1
	s_mov_b64 s[12:13], 0
	v_mov_b32_e32 v26, v0
.LBB74_183:                             ; =>This Inner Loop Header: Depth=1
	v_add_co_u32_e32 v26, vcc, 1, v26
	v_addc_co_u32_e32 v27, vcc, 0, v27, vcc
	v_cmp_eq_u32_e32 vcc, 1, v26
	v_cndmask_b32_e32 v31, v3, v5, vcc
	v_cmp_eq_u32_e64 s[8:9], 2, v26
	v_cndmask_b32_e64 v31, v31, v7, s[8:9]
	v_cndmask_b32_e32 v32, v2, v4, vcc
	v_cmp_eq_u32_e32 vcc, 3, v26
	v_cndmask_b32_e32 v31, v31, v9, vcc
	v_cndmask_b32_e64 v32, v32, v6, s[8:9]
	v_cmp_eq_u32_e64 s[8:9], 4, v26
	v_cndmask_b32_e64 v31, v31, v11, s[8:9]
	v_cndmask_b32_e32 v32, v32, v8, vcc
	v_cmp_eq_u32_e32 vcc, 5, v26
	v_cndmask_b32_e32 v31, v31, v13, vcc
	v_cndmask_b32_e64 v32, v32, v10, s[8:9]
	v_cmp_eq_u32_e64 s[8:9], 6, v26
	v_cndmask_b32_e64 v31, v31, v15, s[8:9]
	v_cndmask_b32_e32 v32, v32, v12, vcc
	v_cmp_eq_u32_e32 vcc, 7, v26
	ds_read_b64 v[29:30], v28
	v_cndmask_b32_e32 v31, v31, v17, vcc
	v_cndmask_b32_e64 v32, v32, v14, s[8:9]
	v_cmp_eq_u32_e64 s[8:9], 8, v26
	v_cndmask_b32_e64 v31, v31, v19, s[8:9]
	v_cndmask_b32_e32 v32, v32, v16, vcc
	v_cmp_eq_u32_e32 vcc, 9, v26
	v_cndmask_b32_e32 v31, v31, v21, vcc
	v_cndmask_b32_e64 v33, v32, v18, s[8:9]
	v_cmp_eq_u32_e64 s[8:9], 10, v26
	v_cndmask_b32_e64 v32, v31, v23, s[8:9]
	v_cndmask_b32_e32 v31, v33, v20, vcc
	v_cndmask_b32_e64 v31, v31, v22, s[8:9]
	s_waitcnt lgkmcnt(0)
	v_fma_f64 v[24:25], v[31:32], v[29:30], v[24:25]
	v_cmp_lt_u32_e32 vcc, 3, v26
	s_or_b64 s[12:13], vcc, s[12:13]
	v_add_u32_e32 v28, 8, v28
	s_andn2_b64 exec, exec, s[12:13]
	s_cbranch_execnz .LBB74_183
; %bb.184:
	s_or_b64 exec, exec, s[12:13]
.LBB74_185:
	s_or_b64 exec, exec, s[10:11]
	v_mov_b32_e32 v12, 0
	ds_read_b64 v[12:13], v12 offset:40
	s_waitcnt lgkmcnt(0)
	v_mul_f64 v[12:13], v[24:25], v[12:13]
.LBB74_186:
	s_or_b64 exec, exec, s[26:27]
	v_cmp_gt_u32_e32 vcc, 6, v0
	ds_write_b64 v90, v[14:15]
	s_waitcnt lgkmcnt(0)
	; wave barrier
	s_and_saveexec_b64 s[26:27], vcc
	s_cbranch_execz .LBB74_196
; %bb.187:
	s_and_b64 vcc, exec, s[2:3]
	s_cbranch_vccnz .LBB74_189
; %bb.188:
	v_cmp_eq_u32_e32 vcc, 1, v0
	v_cndmask_b32_e32 v24, v3, v5, vcc
	v_cmp_eq_u32_e64 s[8:9], 2, v0
	v_cndmask_b32_e64 v24, v24, v7, s[8:9]
	v_cmp_eq_u32_e64 s[10:11], 3, v0
	v_cndmask_b32_e64 v24, v24, v9, s[10:11]
	;; [unrolled: 2-line block ×9, first 2 shown]
	v_cndmask_b32_e32 v24, v2, v4, vcc
	v_cndmask_b32_e64 v24, v24, v6, s[8:9]
	v_cndmask_b32_e64 v24, v24, v8, s[10:11]
	;; [unrolled: 1-line block ×5, first 2 shown]
	ds_read_b64 v[26:27], v90
	v_cndmask_b32_e64 v24, v24, v16, s[18:19]
	v_cndmask_b32_e64 v24, v24, v18, s[20:21]
	;; [unrolled: 1-line block ×4, first 2 shown]
	s_waitcnt lgkmcnt(0)
	v_mul_f64 v[24:25], v[24:25], v[26:27]
	s_cbranch_execz .LBB74_190
	s_branch .LBB74_191
.LBB74_189:
                                        ; implicit-def: $vgpr24_vgpr25
.LBB74_190:
	ds_read_b64 v[24:25], v90
.LBB74_191:
	v_cmp_ne_u32_e32 vcc, 5, v0
	s_and_saveexec_b64 s[10:11], vcc
	s_cbranch_execz .LBB74_195
; %bb.192:
	v_mov_b32_e32 v26, 0x68
	v_lshl_add_u32 v28, v0, 3, v26
	v_mov_b32_e32 v27, v1
	s_mov_b64 s[12:13], 0
	v_mov_b32_e32 v26, v0
.LBB74_193:                             ; =>This Inner Loop Header: Depth=1
	v_add_co_u32_e32 v26, vcc, 1, v26
	v_addc_co_u32_e32 v27, vcc, 0, v27, vcc
	v_cmp_eq_u32_e32 vcc, 1, v26
	v_cndmask_b32_e32 v31, v3, v5, vcc
	v_cmp_eq_u32_e64 s[8:9], 2, v26
	v_cndmask_b32_e64 v31, v31, v7, s[8:9]
	v_cndmask_b32_e32 v32, v2, v4, vcc
	v_cmp_eq_u32_e32 vcc, 3, v26
	v_cndmask_b32_e32 v31, v31, v9, vcc
	v_cndmask_b32_e64 v32, v32, v6, s[8:9]
	v_cmp_eq_u32_e64 s[8:9], 4, v26
	v_cndmask_b32_e64 v31, v31, v11, s[8:9]
	v_cndmask_b32_e32 v32, v32, v8, vcc
	v_cmp_eq_u32_e32 vcc, 5, v26
	v_cndmask_b32_e32 v31, v31, v13, vcc
	v_cndmask_b32_e64 v32, v32, v10, s[8:9]
	v_cmp_eq_u32_e64 s[8:9], 6, v26
	v_cndmask_b32_e64 v31, v31, v15, s[8:9]
	v_cndmask_b32_e32 v32, v32, v12, vcc
	v_cmp_eq_u32_e32 vcc, 7, v26
	ds_read_b64 v[29:30], v28
	v_cndmask_b32_e32 v31, v31, v17, vcc
	v_cndmask_b32_e64 v32, v32, v14, s[8:9]
	v_cmp_eq_u32_e64 s[8:9], 8, v26
	v_cndmask_b32_e64 v31, v31, v19, s[8:9]
	v_cndmask_b32_e32 v32, v32, v16, vcc
	v_cmp_eq_u32_e32 vcc, 9, v26
	v_cndmask_b32_e32 v31, v31, v21, vcc
	v_cndmask_b32_e64 v33, v32, v18, s[8:9]
	v_cmp_eq_u32_e64 s[8:9], 10, v26
	v_cndmask_b32_e64 v32, v31, v23, s[8:9]
	v_cndmask_b32_e32 v31, v33, v20, vcc
	v_cndmask_b32_e64 v31, v31, v22, s[8:9]
	s_waitcnt lgkmcnt(0)
	v_fma_f64 v[24:25], v[31:32], v[29:30], v[24:25]
	v_cmp_lt_u32_e32 vcc, 4, v26
	s_or_b64 s[12:13], vcc, s[12:13]
	v_add_u32_e32 v28, 8, v28
	s_andn2_b64 exec, exec, s[12:13]
	s_cbranch_execnz .LBB74_193
; %bb.194:
	s_or_b64 exec, exec, s[12:13]
.LBB74_195:
	s_or_b64 exec, exec, s[10:11]
	v_mov_b32_e32 v14, 0
	ds_read_b64 v[14:15], v14 offset:48
	s_waitcnt lgkmcnt(0)
	v_mul_f64 v[14:15], v[24:25], v[14:15]
.LBB74_196:
	s_or_b64 exec, exec, s[26:27]
	v_cmp_gt_u32_e64 s[8:9], 7, v0
	ds_write_b64 v90, v[16:17]
	s_waitcnt lgkmcnt(0)
	; wave barrier
	s_and_saveexec_b64 s[28:29], s[8:9]
	s_cbranch_execz .LBB74_206
; %bb.197:
	s_and_b64 vcc, exec, s[2:3]
	s_cbranch_vccnz .LBB74_199
; %bb.198:
	v_cmp_eq_u32_e32 vcc, 1, v0
	v_cndmask_b32_e32 v24, v3, v5, vcc
	v_cmp_eq_u32_e64 s[10:11], 2, v0
	v_cndmask_b32_e64 v24, v24, v7, s[10:11]
	v_cmp_eq_u32_e64 s[12:13], 3, v0
	v_cndmask_b32_e64 v24, v24, v9, s[12:13]
	v_cmp_eq_u32_e64 s[14:15], 4, v0
	v_cndmask_b32_e64 v24, v24, v11, s[14:15]
	v_cmp_eq_u32_e64 s[16:17], 5, v0
	v_cndmask_b32_e64 v24, v24, v13, s[16:17]
	v_cmp_eq_u32_e64 s[18:19], 6, v0
	v_cndmask_b32_e64 v24, v24, v15, s[18:19]
	v_cmp_eq_u32_e64 s[20:21], 7, v0
	v_cndmask_b32_e64 v24, v24, v17, s[20:21]
	v_cmp_eq_u32_e64 s[22:23], 8, v0
	v_cndmask_b32_e64 v24, v24, v19, s[22:23]
	v_cmp_eq_u32_e64 s[24:25], 9, v0
	v_cndmask_b32_e64 v24, v24, v21, s[24:25]
	v_cmp_eq_u32_e64 s[26:27], 10, v0
	v_cndmask_b32_e64 v25, v24, v23, s[26:27]
	v_cndmask_b32_e32 v24, v2, v4, vcc
	v_cndmask_b32_e64 v24, v24, v6, s[10:11]
	v_cndmask_b32_e64 v24, v24, v8, s[12:13]
	;; [unrolled: 1-line block ×5, first 2 shown]
	ds_read_b64 v[26:27], v90
	v_cndmask_b32_e64 v24, v24, v16, s[20:21]
	v_cndmask_b32_e64 v24, v24, v18, s[22:23]
	;; [unrolled: 1-line block ×4, first 2 shown]
	s_waitcnt lgkmcnt(0)
	v_mul_f64 v[24:25], v[24:25], v[26:27]
	s_cbranch_execz .LBB74_200
	s_branch .LBB74_201
.LBB74_199:
                                        ; implicit-def: $vgpr24_vgpr25
.LBB74_200:
	ds_read_b64 v[24:25], v90
.LBB74_201:
	v_cmp_ne_u32_e32 vcc, 6, v0
	s_and_saveexec_b64 s[12:13], vcc
	s_cbranch_execz .LBB74_205
; %bb.202:
	v_mov_b32_e32 v26, 0x68
	v_lshl_add_u32 v28, v0, 3, v26
	v_mov_b32_e32 v27, v1
	s_mov_b64 s[14:15], 0
	v_mov_b32_e32 v26, v0
.LBB74_203:                             ; =>This Inner Loop Header: Depth=1
	v_add_co_u32_e32 v26, vcc, 1, v26
	v_addc_co_u32_e32 v27, vcc, 0, v27, vcc
	v_cmp_eq_u32_e32 vcc, 1, v26
	v_cndmask_b32_e32 v31, v3, v5, vcc
	v_cmp_eq_u32_e64 s[10:11], 2, v26
	v_cndmask_b32_e64 v31, v31, v7, s[10:11]
	v_cndmask_b32_e32 v32, v2, v4, vcc
	v_cmp_eq_u32_e32 vcc, 3, v26
	v_cndmask_b32_e32 v31, v31, v9, vcc
	v_cndmask_b32_e64 v32, v32, v6, s[10:11]
	v_cmp_eq_u32_e64 s[10:11], 4, v26
	v_cndmask_b32_e64 v31, v31, v11, s[10:11]
	v_cndmask_b32_e32 v32, v32, v8, vcc
	v_cmp_eq_u32_e32 vcc, 5, v26
	v_cndmask_b32_e32 v31, v31, v13, vcc
	v_cndmask_b32_e64 v32, v32, v10, s[10:11]
	v_cmp_eq_u32_e64 s[10:11], 6, v26
	v_cndmask_b32_e64 v31, v31, v15, s[10:11]
	v_cndmask_b32_e32 v32, v32, v12, vcc
	v_cmp_eq_u32_e32 vcc, 7, v26
	ds_read_b64 v[29:30], v28
	v_cndmask_b32_e32 v31, v31, v17, vcc
	v_cndmask_b32_e64 v32, v32, v14, s[10:11]
	v_cmp_eq_u32_e64 s[10:11], 8, v26
	v_cndmask_b32_e64 v31, v31, v19, s[10:11]
	v_cndmask_b32_e32 v32, v32, v16, vcc
	v_cmp_eq_u32_e32 vcc, 9, v26
	v_cndmask_b32_e32 v31, v31, v21, vcc
	v_cndmask_b32_e64 v33, v32, v18, s[10:11]
	v_cmp_eq_u32_e64 s[10:11], 10, v26
	v_cndmask_b32_e64 v32, v31, v23, s[10:11]
	v_cndmask_b32_e32 v31, v33, v20, vcc
	v_cndmask_b32_e64 v31, v31, v22, s[10:11]
	s_waitcnt lgkmcnt(0)
	v_fma_f64 v[24:25], v[31:32], v[29:30], v[24:25]
	v_cmp_lt_u32_e32 vcc, 5, v26
	s_or_b64 s[14:15], vcc, s[14:15]
	v_add_u32_e32 v28, 8, v28
	s_andn2_b64 exec, exec, s[14:15]
	s_cbranch_execnz .LBB74_203
; %bb.204:
	s_or_b64 exec, exec, s[14:15]
.LBB74_205:
	s_or_b64 exec, exec, s[12:13]
	v_mov_b32_e32 v16, 0
	ds_read_b64 v[16:17], v16 offset:56
	s_waitcnt lgkmcnt(0)
	v_mul_f64 v[16:17], v[24:25], v[16:17]
.LBB74_206:
	s_or_b64 exec, exec, s[28:29]
	v_cmp_gt_u32_e32 vcc, 8, v0
	ds_write_b64 v90, v[18:19]
	s_waitcnt lgkmcnt(0)
	; wave barrier
	s_and_saveexec_b64 s[28:29], vcc
	s_cbranch_execz .LBB74_216
; %bb.207:
	s_and_b64 vcc, exec, s[2:3]
	s_cbranch_vccnz .LBB74_209
; %bb.208:
	v_cmp_eq_u32_e32 vcc, 1, v0
	v_cndmask_b32_e32 v24, v3, v5, vcc
	v_cmp_eq_u32_e64 s[10:11], 2, v0
	v_cndmask_b32_e64 v24, v24, v7, s[10:11]
	v_cmp_eq_u32_e64 s[12:13], 3, v0
	v_cndmask_b32_e64 v24, v24, v9, s[12:13]
	;; [unrolled: 2-line block ×9, first 2 shown]
	v_cndmask_b32_e32 v24, v2, v4, vcc
	v_cndmask_b32_e64 v24, v24, v6, s[10:11]
	v_cndmask_b32_e64 v24, v24, v8, s[12:13]
	v_cndmask_b32_e64 v24, v24, v10, s[14:15]
	v_cndmask_b32_e64 v24, v24, v12, s[16:17]
	v_cndmask_b32_e64 v24, v24, v14, s[18:19]
	ds_read_b64 v[26:27], v90
	v_cndmask_b32_e64 v24, v24, v16, s[20:21]
	v_cndmask_b32_e64 v24, v24, v18, s[22:23]
	;; [unrolled: 1-line block ×4, first 2 shown]
	s_waitcnt lgkmcnt(0)
	v_mul_f64 v[24:25], v[24:25], v[26:27]
	s_cbranch_execz .LBB74_210
	s_branch .LBB74_211
.LBB74_209:
                                        ; implicit-def: $vgpr24_vgpr25
.LBB74_210:
	ds_read_b64 v[24:25], v90
.LBB74_211:
	v_cmp_ne_u32_e32 vcc, 7, v0
	s_and_saveexec_b64 s[12:13], vcc
	s_cbranch_execz .LBB74_215
; %bb.212:
	v_mov_b32_e32 v26, 0x68
	v_lshl_add_u32 v28, v0, 3, v26
	v_mov_b32_e32 v27, v1
	s_mov_b64 s[14:15], 0
	v_mov_b32_e32 v26, v0
.LBB74_213:                             ; =>This Inner Loop Header: Depth=1
	v_add_co_u32_e32 v26, vcc, 1, v26
	v_addc_co_u32_e32 v27, vcc, 0, v27, vcc
	v_cmp_eq_u32_e32 vcc, 1, v26
	v_cndmask_b32_e32 v31, v3, v5, vcc
	v_cmp_eq_u32_e64 s[10:11], 2, v26
	v_cndmask_b32_e64 v31, v31, v7, s[10:11]
	v_cndmask_b32_e32 v32, v2, v4, vcc
	v_cmp_eq_u32_e32 vcc, 3, v26
	v_cndmask_b32_e32 v31, v31, v9, vcc
	v_cndmask_b32_e64 v32, v32, v6, s[10:11]
	v_cmp_eq_u32_e64 s[10:11], 4, v26
	v_cndmask_b32_e64 v31, v31, v11, s[10:11]
	v_cndmask_b32_e32 v32, v32, v8, vcc
	v_cmp_eq_u32_e32 vcc, 5, v26
	v_cndmask_b32_e32 v31, v31, v13, vcc
	v_cndmask_b32_e64 v32, v32, v10, s[10:11]
	v_cmp_eq_u32_e64 s[10:11], 6, v26
	v_cndmask_b32_e64 v31, v31, v15, s[10:11]
	v_cndmask_b32_e32 v32, v32, v12, vcc
	v_cmp_eq_u32_e32 vcc, 7, v26
	ds_read_b64 v[29:30], v28
	v_cndmask_b32_e32 v31, v31, v17, vcc
	v_cndmask_b32_e64 v32, v32, v14, s[10:11]
	v_cmp_eq_u32_e64 s[10:11], 8, v26
	v_cndmask_b32_e64 v31, v31, v19, s[10:11]
	v_cndmask_b32_e32 v32, v32, v16, vcc
	v_cmp_eq_u32_e32 vcc, 9, v26
	v_cndmask_b32_e32 v31, v31, v21, vcc
	v_cndmask_b32_e64 v33, v32, v18, s[10:11]
	v_cmp_eq_u32_e64 s[10:11], 10, v26
	v_cndmask_b32_e64 v32, v31, v23, s[10:11]
	v_cndmask_b32_e32 v31, v33, v20, vcc
	v_cndmask_b32_e64 v31, v31, v22, s[10:11]
	s_waitcnt lgkmcnt(0)
	v_fma_f64 v[24:25], v[31:32], v[29:30], v[24:25]
	v_cmp_lt_u32_e32 vcc, 6, v26
	s_or_b64 s[14:15], vcc, s[14:15]
	v_add_u32_e32 v28, 8, v28
	s_andn2_b64 exec, exec, s[14:15]
	s_cbranch_execnz .LBB74_213
; %bb.214:
	s_or_b64 exec, exec, s[14:15]
.LBB74_215:
	s_or_b64 exec, exec, s[12:13]
	v_mov_b32_e32 v18, 0
	ds_read_b64 v[18:19], v18 offset:64
	s_waitcnt lgkmcnt(0)
	v_mul_f64 v[18:19], v[24:25], v[18:19]
.LBB74_216:
	s_or_b64 exec, exec, s[28:29]
	v_cmp_gt_u32_e64 s[10:11], 9, v0
	ds_write_b64 v90, v[20:21]
	s_waitcnt lgkmcnt(0)
	; wave barrier
	s_and_saveexec_b64 s[30:31], s[10:11]
	s_cbranch_execz .LBB74_238
; %bb.217:
	s_and_b64 vcc, exec, s[2:3]
	s_cbranch_vccnz .LBB74_219
; %bb.218:
	v_cmp_eq_u32_e32 vcc, 1, v0
	v_cndmask_b32_e32 v24, v3, v5, vcc
	v_cmp_eq_u32_e64 s[12:13], 2, v0
	v_cndmask_b32_e64 v24, v24, v7, s[12:13]
	v_cmp_eq_u32_e64 s[14:15], 3, v0
	v_cndmask_b32_e64 v24, v24, v9, s[14:15]
	;; [unrolled: 2-line block ×9, first 2 shown]
	v_cndmask_b32_e32 v24, v2, v4, vcc
	v_cndmask_b32_e64 v24, v24, v6, s[12:13]
	v_cndmask_b32_e64 v24, v24, v8, s[14:15]
	;; [unrolled: 1-line block ×5, first 2 shown]
	ds_read_b64 v[26:27], v90
	v_cndmask_b32_e64 v24, v24, v16, s[22:23]
	v_cndmask_b32_e64 v24, v24, v18, s[24:25]
	;; [unrolled: 1-line block ×4, first 2 shown]
	s_waitcnt lgkmcnt(0)
	v_mul_f64 v[24:25], v[24:25], v[26:27]
	s_cbranch_execz .LBB74_220
	s_branch .LBB74_221
.LBB74_219:
                                        ; implicit-def: $vgpr24_vgpr25
.LBB74_220:
	ds_read_b64 v[24:25], v90
.LBB74_221:
	v_cmp_ne_u32_e32 vcc, 8, v0
	s_and_saveexec_b64 s[34:35], vcc
	s_cbranch_execz .LBB74_237
; %bb.222:
	v_cmp_eq_u32_e32 vcc, 1, v34
	v_cndmask_b32_e32 v26, v3, v5, vcc
	v_cmp_eq_u32_e64 s[12:13], 2, v34
	v_cndmask_b32_e64 v26, v26, v7, s[12:13]
	v_cmp_eq_u32_e64 s[14:15], 3, v34
	v_cndmask_b32_e64 v26, v26, v9, s[14:15]
	v_cmp_eq_u32_e64 s[16:17], 4, v34
	v_cndmask_b32_e64 v26, v26, v11, s[16:17]
	v_cmp_eq_u32_e64 s[18:19], 5, v34
	v_cndmask_b32_e64 v26, v26, v13, s[18:19]
	v_cmp_eq_u32_e64 s[20:21], 6, v34
	v_cndmask_b32_e64 v26, v26, v15, s[20:21]
	v_cmp_eq_u32_e64 s[22:23], 7, v34
	v_cndmask_b32_e64 v26, v26, v17, s[22:23]
	v_cmp_eq_u32_e64 s[24:25], 8, v34
	v_cndmask_b32_e64 v26, v26, v19, s[24:25]
	v_cmp_eq_u32_e64 s[26:27], 9, v34
	v_cndmask_b32_e64 v26, v26, v21, s[26:27]
	v_cmp_eq_u32_e64 s[28:29], 10, v34
	v_cndmask_b32_e64 v27, v26, v23, s[28:29]
	v_cndmask_b32_e32 v26, v2, v4, vcc
	v_cndmask_b32_e64 v26, v26, v6, s[12:13]
	v_cndmask_b32_e64 v26, v26, v8, s[14:15]
	;; [unrolled: 1-line block ×5, first 2 shown]
	ds_read_b64 v[28:29], v90 offset:8
	v_cndmask_b32_e64 v26, v26, v16, s[22:23]
	v_cndmask_b32_e64 v26, v26, v18, s[24:25]
	;; [unrolled: 1-line block ×4, first 2 shown]
	s_waitcnt lgkmcnt(0)
	v_fma_f64 v[24:25], v[26:27], v[28:29], v[24:25]
	s_and_saveexec_b64 s[28:29], s[8:9]
	s_cbranch_execz .LBB74_236
; %bb.223:
	v_add_u32_e32 v26, 2, v0
	v_cmp_eq_u32_e32 vcc, 1, v26
	v_cndmask_b32_e32 v27, v3, v5, vcc
	v_cmp_eq_u32_e64 s[8:9], 2, v26
	v_cmp_eq_u32_e64 s[12:13], 3, v26
	v_cmp_eq_u32_e64 s[14:15], 4, v26
	v_cmp_eq_u32_e64 s[16:17], 5, v26
	v_cmp_eq_u32_e64 s[18:19], 6, v26
	v_cmp_eq_u32_e64 s[20:21], 7, v26
	v_cmp_eq_u32_e64 s[22:23], 8, v26
	v_cmp_eq_u32_e64 s[24:25], 9, v26
	v_cmp_eq_u32_e64 s[26:27], 10, v26
	v_cndmask_b32_e32 v26, v2, v4, vcc
	v_cndmask_b32_e64 v27, v27, v7, s[8:9]
	v_cndmask_b32_e64 v26, v26, v6, s[8:9]
	;; [unrolled: 1-line block ×10, first 2 shown]
	ds_read_b64 v[28:29], v90 offset:16
	v_cndmask_b32_e64 v27, v27, v17, s[20:21]
	v_cndmask_b32_e64 v26, v26, v16, s[20:21]
	;; [unrolled: 1-line block ×8, first 2 shown]
	s_waitcnt lgkmcnt(0)
	v_fma_f64 v[24:25], v[26:27], v[28:29], v[24:25]
	v_cmp_ne_u32_e32 vcc, 6, v0
	s_and_saveexec_b64 s[36:37], vcc
	s_cbranch_execz .LBB74_235
; %bb.224:
	v_add_u32_e32 v26, 3, v0
	v_cmp_eq_u32_e32 vcc, 1, v26
	v_cndmask_b32_e32 v27, v3, v5, vcc
	v_cmp_eq_u32_e64 s[8:9], 2, v26
	v_cmp_eq_u32_e64 s[12:13], 3, v26
	;; [unrolled: 1-line block ×9, first 2 shown]
	v_cndmask_b32_e32 v26, v2, v4, vcc
	v_cndmask_b32_e64 v27, v27, v7, s[8:9]
	v_cndmask_b32_e64 v26, v26, v6, s[8:9]
	;; [unrolled: 1-line block ×10, first 2 shown]
	ds_read_b64 v[28:29], v90 offset:24
	v_cndmask_b32_e64 v27, v27, v17, s[20:21]
	v_cndmask_b32_e64 v26, v26, v16, s[20:21]
	;; [unrolled: 1-line block ×8, first 2 shown]
	s_waitcnt lgkmcnt(0)
	v_fma_f64 v[24:25], v[26:27], v[28:29], v[24:25]
	s_and_saveexec_b64 s[26:27], s[6:7]
	s_cbranch_execz .LBB74_234
; %bb.225:
	v_add_u32_e32 v26, 4, v0
	v_cmp_eq_u32_e32 vcc, 1, v26
	v_cndmask_b32_e32 v27, v3, v5, vcc
	v_cmp_eq_u32_e64 s[6:7], 2, v26
	v_cmp_eq_u32_e64 s[8:9], 3, v26
	;; [unrolled: 1-line block ×9, first 2 shown]
	v_cndmask_b32_e32 v26, v2, v4, vcc
	v_cndmask_b32_e64 v27, v27, v7, s[6:7]
	v_cndmask_b32_e64 v26, v26, v6, s[6:7]
	;; [unrolled: 1-line block ×10, first 2 shown]
	ds_read_b64 v[28:29], v90 offset:32
	v_cndmask_b32_e64 v27, v27, v17, s[18:19]
	v_cndmask_b32_e64 v26, v26, v16, s[18:19]
	;; [unrolled: 1-line block ×8, first 2 shown]
	s_waitcnt lgkmcnt(0)
	v_fma_f64 v[24:25], v[26:27], v[28:29], v[24:25]
	v_cmp_ne_u32_e32 vcc, 4, v0
	s_and_saveexec_b64 s[38:39], vcc
	s_cbranch_execz .LBB74_233
; %bb.226:
	v_add_u32_e32 v26, 5, v0
	v_cmp_eq_u32_e32 vcc, 1, v26
	v_cndmask_b32_e32 v27, v3, v5, vcc
	v_cmp_eq_u32_e64 s[6:7], 2, v26
	v_cmp_eq_u32_e64 s[8:9], 3, v26
	;; [unrolled: 1-line block ×9, first 2 shown]
	v_cndmask_b32_e32 v26, v2, v4, vcc
	v_cndmask_b32_e64 v27, v27, v7, s[6:7]
	v_cndmask_b32_e64 v26, v26, v6, s[6:7]
	;; [unrolled: 1-line block ×10, first 2 shown]
	ds_read_b64 v[28:29], v90 offset:40
	v_cndmask_b32_e64 v27, v27, v17, s[18:19]
	v_cndmask_b32_e64 v26, v26, v16, s[18:19]
	;; [unrolled: 1-line block ×8, first 2 shown]
	s_waitcnt lgkmcnt(0)
	v_fma_f64 v[24:25], v[26:27], v[28:29], v[24:25]
	s_and_saveexec_b64 s[24:25], s[4:5]
	s_cbranch_execz .LBB74_232
; %bb.227:
	v_add_u32_e32 v26, 6, v0
	v_cmp_eq_u32_e32 vcc, 1, v26
	v_cndmask_b32_e32 v27, v3, v5, vcc
	v_cmp_eq_u32_e64 s[4:5], 2, v26
	v_cmp_eq_u32_e64 s[6:7], 3, v26
	;; [unrolled: 1-line block ×9, first 2 shown]
	v_cndmask_b32_e32 v26, v2, v4, vcc
	v_cndmask_b32_e64 v27, v27, v7, s[4:5]
	v_cndmask_b32_e64 v26, v26, v6, s[4:5]
	;; [unrolled: 1-line block ×10, first 2 shown]
	ds_read_b64 v[28:29], v90 offset:48
	v_cndmask_b32_e64 v27, v27, v17, s[16:17]
	v_cndmask_b32_e64 v26, v26, v16, s[16:17]
	;; [unrolled: 1-line block ×8, first 2 shown]
	s_waitcnt lgkmcnt(0)
	v_fma_f64 v[24:25], v[26:27], v[28:29], v[24:25]
	v_cmp_ne_u32_e32 vcc, 2, v0
	s_and_saveexec_b64 s[40:41], vcc
	s_cbranch_execz .LBB74_231
; %bb.228:
	v_add_u32_e32 v26, 7, v0
	v_cmp_eq_u32_e32 vcc, 1, v26
	v_cndmask_b32_e32 v27, v3, v5, vcc
	v_cmp_eq_u32_e64 s[4:5], 2, v26
	v_cndmask_b32_e64 v27, v27, v7, s[4:5]
	v_cmp_eq_u32_e64 s[6:7], 3, v26
	v_cndmask_b32_e64 v27, v27, v9, s[6:7]
	;; [unrolled: 2-line block ×3, first 2 shown]
	v_cmp_eq_u32_e64 s[12:13], 5, v26
	v_cmp_eq_u32_e64 s[14:15], 6, v26
	;; [unrolled: 1-line block ×6, first 2 shown]
	v_cndmask_b32_e32 v26, v2, v4, vcc
	v_cndmask_b32_e64 v27, v27, v13, s[12:13]
	v_cndmask_b32_e64 v26, v26, v6, s[4:5]
	;; [unrolled: 1-line block ×10, first 2 shown]
	ds_read_b64 v[26:27], v90 offset:56
	v_cndmask_b32_e64 v28, v28, v16, s[16:17]
	v_cndmask_b32_e64 v28, v28, v18, s[18:19]
	;; [unrolled: 1-line block ×5, first 2 shown]
	s_waitcnt lgkmcnt(0)
	v_fma_f64 v[24:25], v[20:21], v[26:27], v[24:25]
	s_and_saveexec_b64 s[4:5], s[0:1]
	s_cbranch_execz .LBB74_230
; %bb.229:
	ds_read_b64 v[20:21], v90 offset:64
	s_waitcnt lgkmcnt(0)
	v_fma_f64 v[24:25], v[18:19], v[20:21], v[24:25]
.LBB74_230:
	s_or_b64 exec, exec, s[4:5]
.LBB74_231:
	s_or_b64 exec, exec, s[40:41]
.LBB74_232:
	s_or_b64 exec, exec, s[24:25]
.LBB74_233:
	s_or_b64 exec, exec, s[38:39]
.LBB74_234:
	s_or_b64 exec, exec, s[26:27]
.LBB74_235:
	s_or_b64 exec, exec, s[36:37]
.LBB74_236:
	s_or_b64 exec, exec, s[28:29]
.LBB74_237:
	s_or_b64 exec, exec, s[34:35]
	v_mov_b32_e32 v20, 0
	ds_read_b64 v[20:21], v20 offset:72
	s_waitcnt lgkmcnt(0)
	v_mul_f64 v[20:21], v[24:25], v[20:21]
.LBB74_238:
	s_or_b64 exec, exec, s[30:31]
	v_cmp_ne_u32_e32 vcc, 10, v0
	ds_write_b64 v90, v[22:23]
	s_waitcnt lgkmcnt(0)
	; wave barrier
	s_and_saveexec_b64 s[20:21], vcc
	s_cbranch_execz .LBB74_248
; %bb.239:
	s_and_b64 vcc, exec, s[2:3]
	s_cbranch_vccnz .LBB74_241
; %bb.240:
	v_cmp_eq_u32_e32 vcc, 1, v0
	v_cndmask_b32_e32 v24, v3, v5, vcc
	v_cmp_eq_u32_e64 s[0:1], 2, v0
	v_cndmask_b32_e64 v24, v24, v7, s[0:1]
	v_cmp_eq_u32_e64 s[2:3], 3, v0
	v_cndmask_b32_e64 v24, v24, v9, s[2:3]
	;; [unrolled: 2-line block ×9, first 2 shown]
	v_cndmask_b32_e32 v24, v2, v4, vcc
	v_cndmask_b32_e64 v24, v24, v6, s[0:1]
	v_cndmask_b32_e64 v24, v24, v8, s[2:3]
	;; [unrolled: 1-line block ×5, first 2 shown]
	ds_read_b64 v[26:27], v90
	v_cndmask_b32_e64 v24, v24, v16, s[12:13]
	v_cndmask_b32_e64 v24, v24, v18, s[14:15]
	v_cndmask_b32_e64 v24, v24, v20, s[16:17]
	v_cndmask_b32_e64 v24, v24, v22, s[18:19]
	s_waitcnt lgkmcnt(0)
	v_mul_f64 v[24:25], v[24:25], v[26:27]
	s_cbranch_execz .LBB74_242
	s_branch .LBB74_243
.LBB74_241:
                                        ; implicit-def: $vgpr24_vgpr25
.LBB74_242:
	ds_read_b64 v[24:25], v90
.LBB74_243:
	s_and_saveexec_b64 s[2:3], s[10:11]
	s_cbranch_execz .LBB74_247
; %bb.244:
	v_mov_b32_e32 v26, 0x68
	v_lshl_add_u32 v26, v0, 3, v26
	s_mov_b64 s[4:5], 0
.LBB74_245:                             ; =>This Inner Loop Header: Depth=1
	v_add_co_u32_e32 v0, vcc, 1, v0
	v_addc_co_u32_e32 v1, vcc, 0, v1, vcc
	v_cmp_eq_u32_e32 vcc, 1, v0
	v_cndmask_b32_e32 v29, v3, v5, vcc
	v_cmp_eq_u32_e64 s[0:1], 2, v0
	v_cndmask_b32_e64 v29, v29, v7, s[0:1]
	v_cndmask_b32_e32 v30, v2, v4, vcc
	v_cmp_eq_u32_e32 vcc, 3, v0
	v_cndmask_b32_e32 v29, v29, v9, vcc
	v_cndmask_b32_e64 v30, v30, v6, s[0:1]
	v_cmp_eq_u32_e64 s[0:1], 4, v0
	v_cndmask_b32_e64 v29, v29, v11, s[0:1]
	v_cndmask_b32_e32 v30, v30, v8, vcc
	v_cmp_eq_u32_e32 vcc, 5, v0
	v_cndmask_b32_e32 v29, v29, v13, vcc
	v_cndmask_b32_e64 v30, v30, v10, s[0:1]
	v_cmp_eq_u32_e64 s[0:1], 6, v0
	v_cndmask_b32_e64 v29, v29, v15, s[0:1]
	v_cndmask_b32_e32 v30, v30, v12, vcc
	v_cmp_eq_u32_e32 vcc, 7, v0
	ds_read_b64 v[27:28], v26
	v_cndmask_b32_e32 v29, v29, v17, vcc
	v_cndmask_b32_e64 v30, v30, v14, s[0:1]
	v_cmp_eq_u32_e64 s[0:1], 8, v0
	v_cndmask_b32_e64 v29, v29, v19, s[0:1]
	v_cndmask_b32_e32 v30, v30, v16, vcc
	v_cmp_eq_u32_e32 vcc, 9, v0
	v_cndmask_b32_e32 v29, v29, v21, vcc
	v_cndmask_b32_e64 v31, v30, v18, s[0:1]
	v_cmp_eq_u32_e64 s[0:1], 10, v0
	v_cndmask_b32_e64 v30, v29, v23, s[0:1]
	v_cndmask_b32_e32 v29, v31, v20, vcc
	v_cndmask_b32_e64 v29, v29, v22, s[0:1]
	s_waitcnt lgkmcnt(0)
	v_fma_f64 v[24:25], v[29:30], v[27:28], v[24:25]
	v_cmp_lt_u32_e32 vcc, 8, v0
	s_or_b64 s[4:5], vcc, s[4:5]
	v_add_u32_e32 v26, 8, v26
	s_andn2_b64 exec, exec, s[4:5]
	s_cbranch_execnz .LBB74_245
; %bb.246:
	s_or_b64 exec, exec, s[4:5]
.LBB74_247:
	s_or_b64 exec, exec, s[2:3]
	v_mov_b32_e32 v0, 0
	ds_read_b64 v[0:1], v0 offset:80
	s_waitcnt lgkmcnt(0)
	v_mul_f64 v[22:23], v[24:25], v[0:1]
.LBB74_248:
	s_or_b64 exec, exec, s[20:21]
	v_mov_b32_e32 v65, v33
	v_mov_b32_e32 v64, v32
	;; [unrolled: 1-line block ×32, first 2 shown]
.LBB74_249:
	flat_store_dwordx2 v[84:85], v[34:35]
	flat_store_dwordx2 v[86:87], v[36:37]
	;; [unrolled: 1-line block ×11, first 2 shown]
.LBB74_250:
	s_endpgm
	.section	.rodata,"a",@progbits
	.p2align	6, 0x0
	.amdhsa_kernel _ZN9rocsolver6v33100L18trti2_kernel_smallILi11EdPKPdEEv13rocblas_fill_17rocblas_diagonal_T1_iil
		.amdhsa_group_segment_fixed_size 184
		.amdhsa_private_segment_fixed_size 0
		.amdhsa_kernarg_size 32
		.amdhsa_user_sgpr_count 6
		.amdhsa_user_sgpr_private_segment_buffer 1
		.amdhsa_user_sgpr_dispatch_ptr 0
		.amdhsa_user_sgpr_queue_ptr 0
		.amdhsa_user_sgpr_kernarg_segment_ptr 1
		.amdhsa_user_sgpr_dispatch_id 0
		.amdhsa_user_sgpr_flat_scratch_init 0
		.amdhsa_user_sgpr_private_segment_size 0
		.amdhsa_uses_dynamic_stack 0
		.amdhsa_system_sgpr_private_segment_wavefront_offset 0
		.amdhsa_system_sgpr_workgroup_id_x 1
		.amdhsa_system_sgpr_workgroup_id_y 0
		.amdhsa_system_sgpr_workgroup_id_z 0
		.amdhsa_system_sgpr_workgroup_info 0
		.amdhsa_system_vgpr_workitem_id 0
		.amdhsa_next_free_vgpr 110
		.amdhsa_next_free_sgpr 42
		.amdhsa_reserve_vcc 1
		.amdhsa_reserve_flat_scratch 0
		.amdhsa_float_round_mode_32 0
		.amdhsa_float_round_mode_16_64 0
		.amdhsa_float_denorm_mode_32 3
		.amdhsa_float_denorm_mode_16_64 3
		.amdhsa_dx10_clamp 1
		.amdhsa_ieee_mode 1
		.amdhsa_fp16_overflow 0
		.amdhsa_exception_fp_ieee_invalid_op 0
		.amdhsa_exception_fp_denorm_src 0
		.amdhsa_exception_fp_ieee_div_zero 0
		.amdhsa_exception_fp_ieee_overflow 0
		.amdhsa_exception_fp_ieee_underflow 0
		.amdhsa_exception_fp_ieee_inexact 0
		.amdhsa_exception_int_div_zero 0
	.end_amdhsa_kernel
	.section	.text._ZN9rocsolver6v33100L18trti2_kernel_smallILi11EdPKPdEEv13rocblas_fill_17rocblas_diagonal_T1_iil,"axG",@progbits,_ZN9rocsolver6v33100L18trti2_kernel_smallILi11EdPKPdEEv13rocblas_fill_17rocblas_diagonal_T1_iil,comdat
.Lfunc_end74:
	.size	_ZN9rocsolver6v33100L18trti2_kernel_smallILi11EdPKPdEEv13rocblas_fill_17rocblas_diagonal_T1_iil, .Lfunc_end74-_ZN9rocsolver6v33100L18trti2_kernel_smallILi11EdPKPdEEv13rocblas_fill_17rocblas_diagonal_T1_iil
                                        ; -- End function
	.set _ZN9rocsolver6v33100L18trti2_kernel_smallILi11EdPKPdEEv13rocblas_fill_17rocblas_diagonal_T1_iil.num_vgpr, 110
	.set _ZN9rocsolver6v33100L18trti2_kernel_smallILi11EdPKPdEEv13rocblas_fill_17rocblas_diagonal_T1_iil.num_agpr, 0
	.set _ZN9rocsolver6v33100L18trti2_kernel_smallILi11EdPKPdEEv13rocblas_fill_17rocblas_diagonal_T1_iil.numbered_sgpr, 42
	.set _ZN9rocsolver6v33100L18trti2_kernel_smallILi11EdPKPdEEv13rocblas_fill_17rocblas_diagonal_T1_iil.num_named_barrier, 0
	.set _ZN9rocsolver6v33100L18trti2_kernel_smallILi11EdPKPdEEv13rocblas_fill_17rocblas_diagonal_T1_iil.private_seg_size, 0
	.set _ZN9rocsolver6v33100L18trti2_kernel_smallILi11EdPKPdEEv13rocblas_fill_17rocblas_diagonal_T1_iil.uses_vcc, 1
	.set _ZN9rocsolver6v33100L18trti2_kernel_smallILi11EdPKPdEEv13rocblas_fill_17rocblas_diagonal_T1_iil.uses_flat_scratch, 0
	.set _ZN9rocsolver6v33100L18trti2_kernel_smallILi11EdPKPdEEv13rocblas_fill_17rocblas_diagonal_T1_iil.has_dyn_sized_stack, 0
	.set _ZN9rocsolver6v33100L18trti2_kernel_smallILi11EdPKPdEEv13rocblas_fill_17rocblas_diagonal_T1_iil.has_recursion, 0
	.set _ZN9rocsolver6v33100L18trti2_kernel_smallILi11EdPKPdEEv13rocblas_fill_17rocblas_diagonal_T1_iil.has_indirect_call, 0
	.section	.AMDGPU.csdata,"",@progbits
; Kernel info:
; codeLenInByte = 17840
; TotalNumSgprs: 46
; NumVgprs: 110
; ScratchSize: 0
; MemoryBound: 0
; FloatMode: 240
; IeeeMode: 1
; LDSByteSize: 184 bytes/workgroup (compile time only)
; SGPRBlocks: 5
; VGPRBlocks: 27
; NumSGPRsForWavesPerEU: 46
; NumVGPRsForWavesPerEU: 110
; Occupancy: 2
; WaveLimiterHint : 1
; COMPUTE_PGM_RSRC2:SCRATCH_EN: 0
; COMPUTE_PGM_RSRC2:USER_SGPR: 6
; COMPUTE_PGM_RSRC2:TRAP_HANDLER: 0
; COMPUTE_PGM_RSRC2:TGID_X_EN: 1
; COMPUTE_PGM_RSRC2:TGID_Y_EN: 0
; COMPUTE_PGM_RSRC2:TGID_Z_EN: 0
; COMPUTE_PGM_RSRC2:TIDIG_COMP_CNT: 0
	.section	.text._ZN9rocsolver6v33100L18trti2_kernel_smallILi12EdPKPdEEv13rocblas_fill_17rocblas_diagonal_T1_iil,"axG",@progbits,_ZN9rocsolver6v33100L18trti2_kernel_smallILi12EdPKPdEEv13rocblas_fill_17rocblas_diagonal_T1_iil,comdat
	.globl	_ZN9rocsolver6v33100L18trti2_kernel_smallILi12EdPKPdEEv13rocblas_fill_17rocblas_diagonal_T1_iil ; -- Begin function _ZN9rocsolver6v33100L18trti2_kernel_smallILi12EdPKPdEEv13rocblas_fill_17rocblas_diagonal_T1_iil
	.p2align	8
	.type	_ZN9rocsolver6v33100L18trti2_kernel_smallILi12EdPKPdEEv13rocblas_fill_17rocblas_diagonal_T1_iil,@function
_ZN9rocsolver6v33100L18trti2_kernel_smallILi12EdPKPdEEv13rocblas_fill_17rocblas_diagonal_T1_iil: ; @_ZN9rocsolver6v33100L18trti2_kernel_smallILi12EdPKPdEEv13rocblas_fill_17rocblas_diagonal_T1_iil
; %bb.0:
	v_cmp_gt_u32_e32 vcc, 12, v0
	s_and_saveexec_b64 s[0:1], vcc
	s_cbranch_execz .LBB75_276
; %bb.1:
	s_load_dwordx2 s[0:1], s[4:5], 0x10
	s_load_dwordx4 s[24:27], s[4:5], 0x0
	s_ashr_i32 s7, s6, 31
	s_lshl_b64 s[2:3], s[6:7], 3
	v_lshlrev_b32_e32 v36, 3, v0
	s_waitcnt lgkmcnt(0)
	s_ashr_i32 s5, s0, 31
	s_add_u32 s2, s26, s2
	s_addc_u32 s3, s27, s3
	s_load_dwordx2 s[2:3], s[2:3], 0x0
	s_mov_b32 s4, s0
	s_lshl_b64 s[4:5], s[4:5], 3
	v_mov_b32_e32 v34, 0
	v_mov_b32_e32 v35, 0xbff00000
	s_waitcnt lgkmcnt(0)
	s_add_u32 s0, s2, s4
	s_addc_u32 s2, s3, s5
	s_add_i32 s3, s1, s1
	v_add_u32_e32 v1, s3, v0
	v_ashrrev_i32_e32 v2, 31, v1
	v_lshlrev_b64 v[2:3], 3, v[1:2]
	v_add_u32_e32 v1, s1, v1
	v_mov_b32_e32 v4, s2
	v_add_co_u32_e32 v66, vcc, s0, v2
	v_ashrrev_i32_e32 v2, 31, v1
	v_addc_co_u32_e32 v67, vcc, v4, v3, vcc
	v_lshlrev_b64 v[2:3], 3, v[1:2]
	v_add_u32_e32 v1, s1, v1
	v_add_co_u32_e32 v68, vcc, s0, v2
	v_ashrrev_i32_e32 v2, 31, v1
	v_addc_co_u32_e32 v69, vcc, v4, v3, vcc
	v_lshlrev_b64 v[2:3], 3, v[1:2]
	v_add_u32_e32 v1, s1, v1
	;; [unrolled: 5-line block ×8, first 2 shown]
	v_add_co_u32_e32 v82, vcc, s0, v2
	v_ashrrev_i32_e32 v2, 31, v1
	v_lshlrev_b64 v[1:2], 3, v[1:2]
	v_addc_co_u32_e32 v83, vcc, v4, v3, vcc
	v_mov_b32_e32 v3, s2
	v_add_co_u32_e32 v84, vcc, s0, v1
	v_addc_co_u32_e32 v85, vcc, v3, v2, vcc
	v_mov_b32_e32 v1, s2
	v_add_co_u32_e32 v86, vcc, s0, v36
	s_ashr_i32 s3, s1, 31
	s_mov_b32 s2, s1
	v_addc_co_u32_e32 v87, vcc, 0, v1, vcc
	s_lshl_b64 s[0:1], s[2:3], 3
	v_mov_b32_e32 v1, s1
	v_add_co_u32_e32 v88, vcc, s0, v86
	v_addc_co_u32_e32 v89, vcc, v87, v1, vcc
	flat_load_dwordx2 v[2:3], v[86:87]
	flat_load_dwordx2 v[4:5], v[88:89]
	;; [unrolled: 1-line block ×12, first 2 shown]
	s_cmpk_lg_i32 s25, 0x84
	s_cselect_b64 s[26:27], -1, 0
	s_cmpk_eq_i32 s25, 0x84
	v_mov_b32_e32 v1, 0
	s_cbranch_scc1 .LBB75_3
; %bb.2:
	v_cmp_eq_u32_e64 s[0:1], 1, v0
	s_waitcnt vmcnt(0) lgkmcnt(0)
	v_cndmask_b32_e64 v26, v3, v5, s[0:1]
	v_cmp_eq_u32_e64 s[2:3], 2, v0
	v_cndmask_b32_e64 v26, v26, v7, s[2:3]
	v_cmp_eq_u32_e64 s[4:5], 3, v0
	;; [unrolled: 2-line block ×10, first 2 shown]
	v_cndmask_b32_e64 v27, v26, v25, s[20:21]
	v_cndmask_b32_e64 v26, v2, v4, s[0:1]
	;; [unrolled: 1-line block ×12, first 2 shown]
	v_div_scale_f64 v[28:29], s[22:23], v[26:27], v[26:27], 1.0
	v_rcp_f64_e32 v[30:31], v[28:29]
	v_fma_f64 v[32:33], -v[28:29], v[30:31], 1.0
	v_fma_f64 v[30:31], v[30:31], v[32:33], v[30:31]
	v_div_scale_f64 v[32:33], vcc, 1.0, v[26:27], 1.0
	v_fma_f64 v[34:35], -v[28:29], v[30:31], 1.0
	v_fma_f64 v[30:31], v[30:31], v[34:35], v[30:31]
	v_mul_f64 v[34:35], v[32:33], v[30:31]
	v_fma_f64 v[28:29], -v[28:29], v[34:35], v[32:33]
	v_div_fmas_f64 v[28:29], v[28:29], v[30:31], v[34:35]
	v_cmp_eq_u32_e32 vcc, 0, v0
	v_div_fixup_f64 v[34:35], v[28:29], v[26:27], 1.0
	v_cndmask_b32_e64 v25, v25, v35, s[20:21]
	v_cndmask_b32_e64 v24, v24, v34, s[20:21]
	;; [unrolled: 1-line block ×22, first 2 shown]
	v_cndmask_b32_e32 v3, v3, v35, vcc
	v_cndmask_b32_e32 v2, v2, v34, vcc
	v_xor_b32_e32 v35, 0x80000000, v35
.LBB75_3:
	s_cmpk_eq_i32 s24, 0x79
	v_add_u32_e32 v92, 0x60, v36
	ds_write_b64 v36, v[34:35]
	s_cbranch_scc1 .LBB75_7
; %bb.4:
	s_waitcnt vmcnt(0) lgkmcnt(0)
	v_mov_b32_e32 v65, v33
	v_mov_b32_e32 v64, v32
	;; [unrolled: 1-line block ×32, first 2 shown]
	v_cmp_eq_u32_e64 s[0:1], 11, v0
	ds_write_b64 v92, v[22:23]
	s_waitcnt lgkmcnt(0)
	; wave barrier
	s_and_saveexec_b64 s[22:23], s[0:1]
	s_cbranch_execz .LBB75_11
; %bb.5:
	s_and_b64 vcc, exec, s[26:27]
	s_cbranch_vccz .LBB75_8
; %bb.6:
	v_cmp_eq_u32_e32 vcc, 1, v0
	v_cndmask_b32_e32 v34, v3, v5, vcc
	v_cmp_eq_u32_e64 s[2:3], 2, v0
	v_cndmask_b32_e64 v34, v34, v7, s[2:3]
	v_cmp_eq_u32_e64 s[4:5], 3, v0
	v_cndmask_b32_e64 v34, v34, v9, s[4:5]
	;; [unrolled: 2-line block ×10, first 2 shown]
	v_cndmask_b32_e32 v34, v2, v4, vcc
	v_cndmask_b32_e64 v34, v34, v6, s[2:3]
	v_cndmask_b32_e64 v34, v34, v8, s[4:5]
	;; [unrolled: 1-line block ×6, first 2 shown]
	ds_read_b64 v[36:37], v92
	v_cndmask_b32_e64 v34, v34, v18, s[14:15]
	v_cndmask_b32_e64 v34, v34, v20, s[16:17]
	v_cndmask_b32_e64 v34, v34, v22, s[18:19]
	v_cndmask_b32_e64 v34, v34, v24, s[20:21]
	s_waitcnt lgkmcnt(0)
	v_mul_f64 v[38:39], v[34:35], v[36:37]
	s_cbranch_execz .LBB75_9
	s_branch .LBB75_10
.LBB75_7:
                                        ; implicit-def: $vgpr34_vgpr35_vgpr36_vgpr37_vgpr38_vgpr39_vgpr40_vgpr41_vgpr42_vgpr43_vgpr44_vgpr45_vgpr46_vgpr47_vgpr48_vgpr49_vgpr50_vgpr51_vgpr52_vgpr53_vgpr54_vgpr55_vgpr56_vgpr57_vgpr58_vgpr59_vgpr60_vgpr61_vgpr62_vgpr63_vgpr64_vgpr65
	s_cbranch_execnz .LBB75_162
	s_branch .LBB75_275
.LBB75_8:
                                        ; implicit-def: $vgpr38_vgpr39
.LBB75_9:
	ds_read_b64 v[38:39], v92
.LBB75_10:
	v_mov_b32_e32 v34, 0
	ds_read_b64 v[40:41], v34 offset:80
	v_mov_b32_e32 v34, v2
	v_mov_b32_e32 v35, v3
	;; [unrolled: 1-line block ×4, first 2 shown]
	s_waitcnt lgkmcnt(0)
	v_mul_f64 v[54:55], v[38:39], v[40:41]
	v_mov_b32_e32 v38, v6
	v_mov_b32_e32 v39, v7
	;; [unrolled: 1-line block ×18, first 2 shown]
.LBB75_11:
	s_or_b64 exec, exec, s[22:23]
	v_cmp_lt_u32_e64 s[2:3], 9, v0
	ds_write_b64 v92, v[52:53]
	s_waitcnt lgkmcnt(0)
	; wave barrier
	s_and_saveexec_b64 s[24:25], s[2:3]
	s_cbranch_execz .LBB75_17
; %bb.12:
	s_andn2_b64 vcc, exec, s[26:27]
	s_cbranch_vccnz .LBB75_14
; %bb.13:
	v_cmp_eq_u32_e32 vcc, 1, v0
	v_cndmask_b32_e32 v58, v35, v37, vcc
	v_cmp_eq_u32_e64 s[4:5], 2, v0
	v_cndmask_b32_e64 v58, v58, v39, s[4:5]
	v_cmp_eq_u32_e64 s[6:7], 3, v0
	v_cndmask_b32_e64 v58, v58, v41, s[6:7]
	;; [unrolled: 2-line block ×8, first 2 shown]
	v_cndmask_b32_e32 v58, v34, v36, vcc
	v_cndmask_b32_e64 v58, v58, v38, s[4:5]
	v_cndmask_b32_e64 v58, v58, v40, s[6:7]
	;; [unrolled: 1-line block ×6, first 2 shown]
	ds_read_b64 v[58:59], v92
	v_cndmask_b32_e64 v60, v60, v50, s[16:17]
	v_cmp_eq_u32_e64 s[20:21], 10, v0
	v_cndmask_b32_e64 v52, v60, v52, s[18:19]
	v_cndmask_b32_e64 v53, v53, v55, s[20:21]
	v_cmp_eq_u32_e64 s[22:23], 11, v0
	v_cndmask_b32_e64 v52, v52, v54, s[20:21]
	v_cndmask_b32_e64 v53, v53, v57, s[22:23]
	v_cndmask_b32_e64 v52, v52, v56, s[22:23]
	s_waitcnt lgkmcnt(0)
	v_mul_f64 v[52:53], v[52:53], v[58:59]
	s_cbranch_execz .LBB75_15
	s_branch .LBB75_16
.LBB75_14:
                                        ; implicit-def: $vgpr52_vgpr53
.LBB75_15:
	ds_read_b64 v[52:53], v92
.LBB75_16:
	v_mov_b32_e32 v58, 0
	ds_read2_b64 v[58:61], v58 offset0:9 offset1:22
	s_waitcnt lgkmcnt(0)
	v_fma_f64 v[60:61], v[54:55], v[60:61], v[52:53]
	v_cndmask_b32_e64 v53, v53, v61, s[0:1]
	v_cndmask_b32_e64 v52, v52, v60, s[0:1]
	v_mul_f64 v[52:53], v[52:53], v[58:59]
.LBB75_17:
	s_or_b64 exec, exec, s[24:25]
	v_cmp_lt_u32_e64 s[0:1], 8, v0
	ds_write_b64 v92, v[50:51]
	s_waitcnt lgkmcnt(0)
	; wave barrier
	s_and_saveexec_b64 s[24:25], s[0:1]
	s_cbranch_execz .LBB75_33
; %bb.18:
	s_andn2_b64 vcc, exec, s[26:27]
	s_cbranch_vccnz .LBB75_20
; %bb.19:
	v_cmp_eq_u32_e32 vcc, 1, v0
	v_cndmask_b32_e32 v90, v35, v37, vcc
	v_cmp_eq_u32_e64 s[4:5], 2, v0
	v_cndmask_b32_e64 v90, v90, v39, s[4:5]
	v_cmp_eq_u32_e64 s[6:7], 3, v0
	v_cndmask_b32_e64 v90, v90, v41, s[6:7]
	;; [unrolled: 2-line block ×10, first 2 shown]
	v_cndmask_b32_e32 v90, v34, v36, vcc
	v_cndmask_b32_e64 v90, v90, v38, s[4:5]
	v_cndmask_b32_e64 v90, v90, v40, s[6:7]
	;; [unrolled: 1-line block ×6, first 2 shown]
	ds_read_b64 v[93:94], v92
	v_cndmask_b32_e64 v90, v90, v50, s[16:17]
	v_cndmask_b32_e64 v90, v90, v52, s[18:19]
	;; [unrolled: 1-line block ×4, first 2 shown]
	s_waitcnt lgkmcnt(0)
	v_mul_f64 v[90:91], v[90:91], v[93:94]
	s_cbranch_execz .LBB75_21
	s_branch .LBB75_22
.LBB75_20:
                                        ; implicit-def: $vgpr90_vgpr91
.LBB75_21:
	ds_read_b64 v[90:91], v92
.LBB75_22:
	s_and_saveexec_b64 s[4:5], s[2:3]
	s_cbranch_execz .LBB75_32
; %bb.23:
	v_add_u32_e32 v94, -10, v0
	v_add_u32_e32 v93, -9, v0
	v_cmp_lt_u32_e32 vcc, 6, v94
	v_mov_b32_e32 v94, 9
	s_and_saveexec_b64 s[2:3], vcc
	s_cbranch_execz .LBB75_27
; %bb.24:
	v_and_b32_e32 v94, -8, v93
	v_sub_u32_e32 v95, 0, v94
	s_mov_b64 s[6:7], 16
	s_movk_i32 s10, 0xa8
	s_mov_b64 s[8:9], 0
.LBB75_25:                              ; =>This Inner Loop Header: Depth=1
	s_lshl_b32 s11, s6, 1
	s_add_i32 s12, s11, -13
	v_mov_b32_e32 v94, s10
	s_add_i32 s13, s11, -14
	s_set_gpr_idx_on s12, gpr_idx(SRC0)
	v_mov_b32_e32 v101, v34
	s_set_gpr_idx_off
	s_set_gpr_idx_on s13, gpr_idx(SRC0)
	v_mov_b32_e32 v100, v34
	s_set_gpr_idx_off
	ds_read2_b64 v[96:99], v94 offset1:1
	s_add_i32 s12, s11, -11
	s_add_i32 s13, s11, -12
	;; [unrolled: 1-line block ×4, first 2 shown]
	s_waitcnt lgkmcnt(0)
	v_fma_f64 v[90:91], v[100:101], v[96:97], v[90:91]
	s_set_gpr_idx_on s12, gpr_idx(SRC0)
	v_mov_b32_e32 v97, v34
	s_set_gpr_idx_off
	s_set_gpr_idx_on s13, gpr_idx(SRC0)
	v_mov_b32_e32 v96, v34
	s_set_gpr_idx_off
	s_add_i32 s12, s11, -7
	s_add_i32 s13, s11, -8
	v_fma_f64 v[90:91], v[96:97], v[98:99], v[90:91]
	s_set_gpr_idx_on s14, gpr_idx(SRC0)
	v_mov_b32_e32 v101, v34
	s_set_gpr_idx_off
	s_set_gpr_idx_on s15, gpr_idx(SRC0)
	v_mov_b32_e32 v100, v34
	s_set_gpr_idx_off
	ds_read2_b64 v[96:99], v94 offset0:2 offset1:3
	s_add_i32 s14, s11, -5
	s_add_i32 s15, s11, -6
	s_waitcnt lgkmcnt(0)
	v_fma_f64 v[90:91], v[100:101], v[96:97], v[90:91]
	s_set_gpr_idx_on s12, gpr_idx(SRC0)
	v_mov_b32_e32 v97, v34
	s_set_gpr_idx_off
	s_set_gpr_idx_on s13, gpr_idx(SRC0)
	v_mov_b32_e32 v96, v34
	s_set_gpr_idx_off
	s_add_i32 s12, s11, -3
	s_add_i32 s13, s11, -4
	v_fma_f64 v[90:91], v[96:97], v[98:99], v[90:91]
	s_set_gpr_idx_on s14, gpr_idx(SRC0)
	v_mov_b32_e32 v101, v34
	s_set_gpr_idx_off
	s_set_gpr_idx_on s15, gpr_idx(SRC0)
	v_mov_b32_e32 v100, v34
	s_set_gpr_idx_off
	ds_read2_b64 v[96:99], v94 offset0:4 offset1:5
	s_add_i32 s14, s11, -1
	s_add_i32 s15, s11, -2
	s_add_u32 s6, s6, 8
	s_addc_u32 s7, s7, 0
	s_waitcnt lgkmcnt(0)
	v_fma_f64 v[90:91], v[100:101], v[96:97], v[90:91]
	s_set_gpr_idx_on s12, gpr_idx(SRC0)
	v_mov_b32_e32 v97, v34
	s_set_gpr_idx_off
	s_set_gpr_idx_on s13, gpr_idx(SRC0)
	v_mov_b32_e32 v96, v34
	s_set_gpr_idx_off
	s_add_i32 s10, s10, 64
	v_fma_f64 v[90:91], v[96:97], v[98:99], v[90:91]
	s_set_gpr_idx_on s14, gpr_idx(SRC0)
	v_mov_b32_e32 v101, v34
	s_set_gpr_idx_off
	s_set_gpr_idx_on s15, gpr_idx(SRC0)
	v_mov_b32_e32 v100, v34
	s_set_gpr_idx_off
	ds_read2_b64 v[96:99], v94 offset0:6 offset1:7
	v_add_u32_e32 v94, s6, v95
	v_cmp_eq_u32_e32 vcc, 16, v94
	s_waitcnt lgkmcnt(0)
	v_fma_f64 v[90:91], v[100:101], v[96:97], v[90:91]
	s_set_gpr_idx_on s11, gpr_idx(SRC0)
	v_mov_b32_e32 v97, v35
	v_mov_b32_e32 v96, v34
	s_set_gpr_idx_off
	s_add_i32 s11, s6, -7
	s_or_b64 s[8:9], vcc, s[8:9]
	v_mov_b32_e32 v94, s11
	v_fma_f64 v[90:91], v[96:97], v[98:99], v[90:91]
	s_andn2_b64 exec, exec, s[8:9]
	s_cbranch_execnz .LBB75_25
; %bb.26:
	s_or_b64 exec, exec, s[8:9]
.LBB75_27:
	s_or_b64 exec, exec, s[2:3]
	v_and_b32_e32 v58, 7, v93
	v_cmp_ne_u32_e32 vcc, 0, v58
	s_and_saveexec_b64 s[6:7], vcc
	s_cbranch_execz .LBB75_31
; %bb.28:
	v_mov_b32_e32 v59, 0x60
	v_lshl_add_u32 v59, v94, 3, v59
	v_mov_b32_e32 v60, 0
	s_mov_b64 s[8:9], 0
.LBB75_29:                              ; =>This Inner Loop Header: Depth=1
	v_cmp_eq_u32_e32 vcc, 1, v94
	v_cndmask_b32_e32 v63, v35, v37, vcc
	v_cmp_eq_u32_e64 s[2:3], 2, v94
	v_cndmask_b32_e64 v63, v63, v39, s[2:3]
	v_cndmask_b32_e32 v64, v34, v36, vcc
	v_cmp_eq_u32_e32 vcc, 3, v94
	v_cndmask_b32_e32 v63, v63, v41, vcc
	v_cndmask_b32_e64 v64, v64, v38, s[2:3]
	v_cmp_eq_u32_e64 s[2:3], 4, v94
	v_cndmask_b32_e64 v63, v63, v43, s[2:3]
	v_cndmask_b32_e32 v64, v64, v40, vcc
	v_cmp_eq_u32_e32 vcc, 5, v94
	v_cndmask_b32_e32 v63, v63, v45, vcc
	v_cndmask_b32_e64 v64, v64, v42, s[2:3]
	;; [unrolled: 6-line block ×3, first 2 shown]
	v_cmp_eq_u32_e64 s[2:3], 8, v94
	ds_read_b64 v[61:62], v59
	v_cndmask_b32_e64 v63, v63, v51, s[2:3]
	v_cndmask_b32_e32 v64, v64, v48, vcc
	v_cmp_eq_u32_e32 vcc, 9, v94
	v_cndmask_b32_e32 v63, v63, v53, vcc
	v_cndmask_b32_e64 v64, v64, v50, s[2:3]
	v_cmp_eq_u32_e64 s[2:3], 10, v94
	v_cndmask_b32_e64 v63, v63, v55, s[2:3]
	v_cndmask_b32_e32 v65, v64, v52, vcc
	v_cmp_eq_u32_e32 vcc, 11, v94
	v_cndmask_b32_e32 v64, v63, v57, vcc
	v_cndmask_b32_e64 v63, v65, v54, s[2:3]
	v_cndmask_b32_e32 v63, v63, v56, vcc
	s_waitcnt lgkmcnt(0)
	v_fma_f64 v[90:91], v[63:64], v[61:62], v[90:91]
	v_add_u32_e32 v58, -1, v58
	v_cmp_eq_u32_e32 vcc, 0, v58
	s_or_b64 s[8:9], vcc, s[8:9]
	v_add_co_u32_e32 v94, vcc, 1, v94
	v_add_u32_e32 v59, 8, v59
	v_addc_co_u32_e32 v60, vcc, 0, v60, vcc
	s_andn2_b64 exec, exec, s[8:9]
	s_cbranch_execnz .LBB75_29
; %bb.30:
	s_or_b64 exec, exec, s[8:9]
.LBB75_31:
	s_or_b64 exec, exec, s[6:7]
.LBB75_32:
	s_or_b64 exec, exec, s[4:5]
	v_mov_b32_e32 v50, 0
	ds_read_b64 v[50:51], v50 offset:64
	s_waitcnt lgkmcnt(0)
	v_mul_f64 v[50:51], v[90:91], v[50:51]
.LBB75_33:
	s_or_b64 exec, exec, s[24:25]
	v_cmp_lt_u32_e64 s[2:3], 7, v0
	ds_write_b64 v92, v[48:49]
	s_waitcnt lgkmcnt(0)
	; wave barrier
	s_and_saveexec_b64 s[24:25], s[2:3]
	s_cbranch_execz .LBB75_49
; %bb.34:
	s_andn2_b64 vcc, exec, s[26:27]
	s_cbranch_vccnz .LBB75_36
; %bb.35:
	v_cmp_eq_u32_e32 vcc, 1, v0
	v_cndmask_b32_e32 v90, v35, v37, vcc
	v_cmp_eq_u32_e64 s[4:5], 2, v0
	v_cndmask_b32_e64 v90, v90, v39, s[4:5]
	v_cmp_eq_u32_e64 s[6:7], 3, v0
	v_cndmask_b32_e64 v90, v90, v41, s[6:7]
	;; [unrolled: 2-line block ×10, first 2 shown]
	v_cndmask_b32_e32 v90, v34, v36, vcc
	v_cndmask_b32_e64 v90, v90, v38, s[4:5]
	v_cndmask_b32_e64 v90, v90, v40, s[6:7]
	;; [unrolled: 1-line block ×6, first 2 shown]
	ds_read_b64 v[93:94], v92
	v_cndmask_b32_e64 v90, v90, v50, s[16:17]
	v_cndmask_b32_e64 v90, v90, v52, s[18:19]
	;; [unrolled: 1-line block ×4, first 2 shown]
	s_waitcnt lgkmcnt(0)
	v_mul_f64 v[90:91], v[90:91], v[93:94]
	s_cbranch_execz .LBB75_37
	s_branch .LBB75_38
.LBB75_36:
                                        ; implicit-def: $vgpr90_vgpr91
.LBB75_37:
	ds_read_b64 v[90:91], v92
.LBB75_38:
	s_and_saveexec_b64 s[4:5], s[0:1]
	s_cbranch_execz .LBB75_48
; %bb.39:
	v_add_u32_e32 v93, -9, v0
	v_cmp_lt_u32_e32 vcc, 6, v93
	v_mov_b32_e32 v93, 8
	s_and_saveexec_b64 s[0:1], vcc
	s_cbranch_execz .LBB75_43
; %bb.40:
	v_and_b32_e32 v93, 8, v0
	v_sub_u32_e32 v94, 0, v93
	s_mov_b64 s[6:7], 15
	s_movk_i32 s10, 0xa0
	s_mov_b64 s[8:9], 0
.LBB75_41:                              ; =>This Inner Loop Header: Depth=1
	s_lshl_b32 s11, s6, 1
	s_add_i32 s12, s11, -13
	v_mov_b32_e32 v93, s10
	s_add_i32 s13, s11, -14
	s_set_gpr_idx_on s12, gpr_idx(SRC0)
	v_mov_b32_e32 v104, v34
	s_set_gpr_idx_off
	s_set_gpr_idx_on s13, gpr_idx(SRC0)
	v_mov_b32_e32 v103, v34
	s_set_gpr_idx_off
	ds_read_b128 v[95:98], v93
	ds_read_b128 v[99:102], v93 offset:16
	s_add_i32 s12, s11, -11
	s_add_i32 s13, s11, -12
	s_waitcnt lgkmcnt(1)
	v_fma_f64 v[90:91], v[103:104], v[95:96], v[90:91]
	ds_read_b128 v[103:106], v93 offset:32
	ds_read_b128 v[107:110], v93 offset:48
	s_set_gpr_idx_on s12, gpr_idx(SRC0)
	v_mov_b32_e32 v96, v34
	s_set_gpr_idx_off
	s_set_gpr_idx_on s13, gpr_idx(SRC0)
	v_mov_b32_e32 v95, v34
	s_set_gpr_idx_off
	s_add_i32 s12, s11, -9
	s_add_i32 s13, s11, -10
	v_fma_f64 v[90:91], v[95:96], v[97:98], v[90:91]
	s_set_gpr_idx_on s12, gpr_idx(SRC0)
	v_mov_b32_e32 v96, v34
	s_set_gpr_idx_off
	s_set_gpr_idx_on s13, gpr_idx(SRC0)
	v_mov_b32_e32 v95, v34
	s_set_gpr_idx_off
	s_add_i32 s12, s11, -7
	s_add_i32 s13, s11, -8
	s_waitcnt lgkmcnt(2)
	v_fma_f64 v[90:91], v[95:96], v[99:100], v[90:91]
	s_set_gpr_idx_on s12, gpr_idx(SRC0)
	v_mov_b32_e32 v96, v34
	s_set_gpr_idx_off
	s_set_gpr_idx_on s13, gpr_idx(SRC0)
	v_mov_b32_e32 v95, v34
	s_set_gpr_idx_off
	s_add_i32 s12, s11, -5
	s_add_i32 s13, s11, -6
	v_fma_f64 v[90:91], v[95:96], v[101:102], v[90:91]
	s_set_gpr_idx_on s12, gpr_idx(SRC0)
	v_mov_b32_e32 v96, v34
	s_set_gpr_idx_off
	s_set_gpr_idx_on s13, gpr_idx(SRC0)
	v_mov_b32_e32 v95, v34
	s_set_gpr_idx_off
	s_add_i32 s12, s11, -3
	s_add_i32 s13, s11, -4
	s_waitcnt lgkmcnt(1)
	v_fma_f64 v[90:91], v[95:96], v[103:104], v[90:91]
	s_set_gpr_idx_on s12, gpr_idx(SRC0)
	v_mov_b32_e32 v96, v34
	s_set_gpr_idx_off
	s_set_gpr_idx_on s13, gpr_idx(SRC0)
	v_mov_b32_e32 v95, v34
	s_set_gpr_idx_off
	s_add_i32 s12, s11, -1
	s_add_i32 s13, s11, -2
	s_add_u32 s6, s6, 8
	v_add_u32_e32 v93, s6, v94
	s_addc_u32 s7, s7, 0
	v_fma_f64 v[90:91], v[95:96], v[105:106], v[90:91]
	s_set_gpr_idx_on s12, gpr_idx(SRC0)
	v_mov_b32_e32 v96, v34
	s_set_gpr_idx_off
	s_set_gpr_idx_on s13, gpr_idx(SRC0)
	v_mov_b32_e32 v95, v34
	s_set_gpr_idx_off
	s_add_i32 s10, s10, 64
	v_cmp_eq_u32_e32 vcc, 7, v93
	s_waitcnt lgkmcnt(0)
	v_fma_f64 v[90:91], v[95:96], v[107:108], v[90:91]
	s_set_gpr_idx_on s11, gpr_idx(SRC0)
	v_mov_b32_e32 v96, v35
	v_mov_b32_e32 v95, v34
	s_set_gpr_idx_off
	s_add_i32 s11, s6, -7
	s_or_b64 s[8:9], vcc, s[8:9]
	v_mov_b32_e32 v93, s11
	v_fma_f64 v[90:91], v[95:96], v[109:110], v[90:91]
	s_andn2_b64 exec, exec, s[8:9]
	s_cbranch_execnz .LBB75_41
; %bb.42:
	s_or_b64 exec, exec, s[8:9]
.LBB75_43:
	s_or_b64 exec, exec, s[0:1]
	v_and_b32_e32 v58, 7, v0
	v_cmp_ne_u32_e32 vcc, 0, v58
	s_and_saveexec_b64 s[6:7], vcc
	s_cbranch_execz .LBB75_47
; %bb.44:
	v_mov_b32_e32 v59, 0x60
	v_lshl_add_u32 v59, v93, 3, v59
	v_mov_b32_e32 v60, 0
	s_mov_b64 s[8:9], 0
.LBB75_45:                              ; =>This Inner Loop Header: Depth=1
	v_cmp_eq_u32_e32 vcc, 1, v93
	v_cndmask_b32_e32 v63, v35, v37, vcc
	v_cmp_eq_u32_e64 s[0:1], 2, v93
	v_cndmask_b32_e64 v63, v63, v39, s[0:1]
	v_cndmask_b32_e32 v64, v34, v36, vcc
	v_cmp_eq_u32_e32 vcc, 3, v93
	v_cndmask_b32_e32 v63, v63, v41, vcc
	v_cndmask_b32_e64 v64, v64, v38, s[0:1]
	v_cmp_eq_u32_e64 s[0:1], 4, v93
	v_cndmask_b32_e64 v63, v63, v43, s[0:1]
	v_cndmask_b32_e32 v64, v64, v40, vcc
	v_cmp_eq_u32_e32 vcc, 5, v93
	v_cndmask_b32_e32 v63, v63, v45, vcc
	v_cndmask_b32_e64 v64, v64, v42, s[0:1]
	;; [unrolled: 6-line block ×3, first 2 shown]
	v_cmp_eq_u32_e64 s[0:1], 8, v93
	ds_read_b64 v[61:62], v59
	v_cndmask_b32_e64 v63, v63, v51, s[0:1]
	v_cndmask_b32_e32 v64, v64, v48, vcc
	v_cmp_eq_u32_e32 vcc, 9, v93
	v_cndmask_b32_e32 v63, v63, v53, vcc
	v_cndmask_b32_e64 v64, v64, v50, s[0:1]
	v_cmp_eq_u32_e64 s[0:1], 10, v93
	v_cndmask_b32_e64 v63, v63, v55, s[0:1]
	v_cndmask_b32_e32 v65, v64, v52, vcc
	v_cmp_eq_u32_e32 vcc, 11, v93
	v_cndmask_b32_e32 v64, v63, v57, vcc
	v_cndmask_b32_e64 v63, v65, v54, s[0:1]
	v_cndmask_b32_e32 v63, v63, v56, vcc
	s_waitcnt lgkmcnt(0)
	v_fma_f64 v[90:91], v[63:64], v[61:62], v[90:91]
	v_add_u32_e32 v58, -1, v58
	v_cmp_eq_u32_e32 vcc, 0, v58
	s_or_b64 s[8:9], vcc, s[8:9]
	v_add_co_u32_e32 v93, vcc, 1, v93
	v_add_u32_e32 v59, 8, v59
	v_addc_co_u32_e32 v60, vcc, 0, v60, vcc
	s_andn2_b64 exec, exec, s[8:9]
	s_cbranch_execnz .LBB75_45
; %bb.46:
	s_or_b64 exec, exec, s[8:9]
.LBB75_47:
	s_or_b64 exec, exec, s[6:7]
.LBB75_48:
	s_or_b64 exec, exec, s[4:5]
	v_mov_b32_e32 v48, 0
	ds_read_b64 v[48:49], v48 offset:56
	s_waitcnt lgkmcnt(0)
	v_mul_f64 v[48:49], v[90:91], v[48:49]
.LBB75_49:
	s_or_b64 exec, exec, s[24:25]
	v_cmp_lt_u32_e64 s[0:1], 6, v0
	ds_write_b64 v92, v[46:47]
	s_waitcnt lgkmcnt(0)
	; wave barrier
	s_and_saveexec_b64 s[24:25], s[0:1]
	s_cbranch_execz .LBB75_65
; %bb.50:
	s_andn2_b64 vcc, exec, s[26:27]
	s_cbranch_vccnz .LBB75_52
; %bb.51:
	v_cmp_eq_u32_e32 vcc, 1, v0
	v_cndmask_b32_e32 v90, v35, v37, vcc
	v_cmp_eq_u32_e64 s[4:5], 2, v0
	v_cndmask_b32_e64 v90, v90, v39, s[4:5]
	v_cmp_eq_u32_e64 s[6:7], 3, v0
	v_cndmask_b32_e64 v90, v90, v41, s[6:7]
	;; [unrolled: 2-line block ×10, first 2 shown]
	v_cndmask_b32_e32 v90, v34, v36, vcc
	v_cndmask_b32_e64 v90, v90, v38, s[4:5]
	v_cndmask_b32_e64 v90, v90, v40, s[6:7]
	;; [unrolled: 1-line block ×6, first 2 shown]
	ds_read_b64 v[93:94], v92
	v_cndmask_b32_e64 v90, v90, v50, s[16:17]
	v_cndmask_b32_e64 v90, v90, v52, s[18:19]
	;; [unrolled: 1-line block ×4, first 2 shown]
	s_waitcnt lgkmcnt(0)
	v_mul_f64 v[90:91], v[90:91], v[93:94]
	s_cbranch_execz .LBB75_53
	s_branch .LBB75_54
.LBB75_52:
                                        ; implicit-def: $vgpr90_vgpr91
.LBB75_53:
	ds_read_b64 v[90:91], v92
.LBB75_54:
	s_and_saveexec_b64 s[4:5], s[2:3]
	s_cbranch_execz .LBB75_64
; %bb.55:
	v_add_u32_e32 v94, -8, v0
	v_add_u32_e32 v93, -7, v0
	v_cmp_lt_u32_e32 vcc, 6, v94
	v_mov_b32_e32 v94, 7
	s_and_saveexec_b64 s[2:3], vcc
	s_cbranch_execz .LBB75_59
; %bb.56:
	v_and_b32_e32 v94, -8, v93
	v_sub_u32_e32 v95, 0, v94
	s_mov_b64 s[6:7], 14
	s_movk_i32 s10, 0x98
	s_mov_b64 s[8:9], 0
.LBB75_57:                              ; =>This Inner Loop Header: Depth=1
	s_lshl_b32 s11, s6, 1
	s_add_i32 s12, s11, -13
	v_mov_b32_e32 v94, s10
	s_add_i32 s13, s11, -14
	s_set_gpr_idx_on s12, gpr_idx(SRC0)
	v_mov_b32_e32 v101, v34
	s_set_gpr_idx_off
	s_set_gpr_idx_on s13, gpr_idx(SRC0)
	v_mov_b32_e32 v100, v34
	s_set_gpr_idx_off
	ds_read2_b64 v[96:99], v94 offset1:1
	s_add_i32 s12, s11, -11
	s_add_i32 s13, s11, -12
	;; [unrolled: 1-line block ×4, first 2 shown]
	s_waitcnt lgkmcnt(0)
	v_fma_f64 v[90:91], v[100:101], v[96:97], v[90:91]
	s_set_gpr_idx_on s12, gpr_idx(SRC0)
	v_mov_b32_e32 v97, v34
	s_set_gpr_idx_off
	s_set_gpr_idx_on s13, gpr_idx(SRC0)
	v_mov_b32_e32 v96, v34
	s_set_gpr_idx_off
	s_add_i32 s12, s11, -7
	s_add_i32 s13, s11, -8
	v_fma_f64 v[90:91], v[96:97], v[98:99], v[90:91]
	s_set_gpr_idx_on s14, gpr_idx(SRC0)
	v_mov_b32_e32 v101, v34
	s_set_gpr_idx_off
	s_set_gpr_idx_on s15, gpr_idx(SRC0)
	v_mov_b32_e32 v100, v34
	s_set_gpr_idx_off
	ds_read2_b64 v[96:99], v94 offset0:2 offset1:3
	s_add_i32 s14, s11, -5
	s_add_i32 s15, s11, -6
	s_waitcnt lgkmcnt(0)
	v_fma_f64 v[90:91], v[100:101], v[96:97], v[90:91]
	s_set_gpr_idx_on s12, gpr_idx(SRC0)
	v_mov_b32_e32 v97, v34
	s_set_gpr_idx_off
	s_set_gpr_idx_on s13, gpr_idx(SRC0)
	v_mov_b32_e32 v96, v34
	s_set_gpr_idx_off
	s_add_i32 s12, s11, -3
	s_add_i32 s13, s11, -4
	v_fma_f64 v[90:91], v[96:97], v[98:99], v[90:91]
	s_set_gpr_idx_on s14, gpr_idx(SRC0)
	v_mov_b32_e32 v101, v34
	s_set_gpr_idx_off
	s_set_gpr_idx_on s15, gpr_idx(SRC0)
	v_mov_b32_e32 v100, v34
	s_set_gpr_idx_off
	ds_read2_b64 v[96:99], v94 offset0:4 offset1:5
	s_add_i32 s14, s11, -1
	s_add_i32 s15, s11, -2
	s_add_u32 s6, s6, 8
	s_addc_u32 s7, s7, 0
	s_waitcnt lgkmcnt(0)
	v_fma_f64 v[90:91], v[100:101], v[96:97], v[90:91]
	s_set_gpr_idx_on s12, gpr_idx(SRC0)
	v_mov_b32_e32 v97, v34
	s_set_gpr_idx_off
	s_set_gpr_idx_on s13, gpr_idx(SRC0)
	v_mov_b32_e32 v96, v34
	s_set_gpr_idx_off
	s_add_i32 s10, s10, 64
	v_fma_f64 v[90:91], v[96:97], v[98:99], v[90:91]
	s_set_gpr_idx_on s14, gpr_idx(SRC0)
	v_mov_b32_e32 v101, v34
	s_set_gpr_idx_off
	s_set_gpr_idx_on s15, gpr_idx(SRC0)
	v_mov_b32_e32 v100, v34
	s_set_gpr_idx_off
	ds_read2_b64 v[96:99], v94 offset0:6 offset1:7
	v_add_u32_e32 v94, s6, v95
	v_cmp_eq_u32_e32 vcc, 14, v94
	s_waitcnt lgkmcnt(0)
	v_fma_f64 v[90:91], v[100:101], v[96:97], v[90:91]
	s_set_gpr_idx_on s11, gpr_idx(SRC0)
	v_mov_b32_e32 v97, v35
	v_mov_b32_e32 v96, v34
	s_set_gpr_idx_off
	s_add_i32 s11, s6, -7
	s_or_b64 s[8:9], vcc, s[8:9]
	v_mov_b32_e32 v94, s11
	v_fma_f64 v[90:91], v[96:97], v[98:99], v[90:91]
	s_andn2_b64 exec, exec, s[8:9]
	s_cbranch_execnz .LBB75_57
; %bb.58:
	s_or_b64 exec, exec, s[8:9]
.LBB75_59:
	s_or_b64 exec, exec, s[2:3]
	v_and_b32_e32 v58, 7, v93
	v_cmp_ne_u32_e32 vcc, 0, v58
	s_and_saveexec_b64 s[6:7], vcc
	s_cbranch_execz .LBB75_63
; %bb.60:
	v_mov_b32_e32 v59, 0x60
	v_lshl_add_u32 v59, v94, 3, v59
	v_mov_b32_e32 v60, 0
	s_mov_b64 s[8:9], 0
.LBB75_61:                              ; =>This Inner Loop Header: Depth=1
	v_cmp_eq_u32_e32 vcc, 1, v94
	v_cndmask_b32_e32 v63, v35, v37, vcc
	v_cmp_eq_u32_e64 s[2:3], 2, v94
	v_cndmask_b32_e64 v63, v63, v39, s[2:3]
	v_cndmask_b32_e32 v64, v34, v36, vcc
	v_cmp_eq_u32_e32 vcc, 3, v94
	v_cndmask_b32_e32 v63, v63, v41, vcc
	v_cndmask_b32_e64 v64, v64, v38, s[2:3]
	v_cmp_eq_u32_e64 s[2:3], 4, v94
	v_cndmask_b32_e64 v63, v63, v43, s[2:3]
	v_cndmask_b32_e32 v64, v64, v40, vcc
	v_cmp_eq_u32_e32 vcc, 5, v94
	v_cndmask_b32_e32 v63, v63, v45, vcc
	v_cndmask_b32_e64 v64, v64, v42, s[2:3]
	;; [unrolled: 6-line block ×3, first 2 shown]
	v_cmp_eq_u32_e64 s[2:3], 8, v94
	ds_read_b64 v[61:62], v59
	v_cndmask_b32_e64 v63, v63, v51, s[2:3]
	v_cndmask_b32_e32 v64, v64, v48, vcc
	v_cmp_eq_u32_e32 vcc, 9, v94
	v_cndmask_b32_e32 v63, v63, v53, vcc
	v_cndmask_b32_e64 v64, v64, v50, s[2:3]
	v_cmp_eq_u32_e64 s[2:3], 10, v94
	v_cndmask_b32_e64 v63, v63, v55, s[2:3]
	v_cndmask_b32_e32 v65, v64, v52, vcc
	v_cmp_eq_u32_e32 vcc, 11, v94
	v_cndmask_b32_e32 v64, v63, v57, vcc
	v_cndmask_b32_e64 v63, v65, v54, s[2:3]
	v_cndmask_b32_e32 v63, v63, v56, vcc
	s_waitcnt lgkmcnt(0)
	v_fma_f64 v[90:91], v[63:64], v[61:62], v[90:91]
	v_add_u32_e32 v58, -1, v58
	v_cmp_eq_u32_e32 vcc, 0, v58
	s_or_b64 s[8:9], vcc, s[8:9]
	v_add_co_u32_e32 v94, vcc, 1, v94
	v_add_u32_e32 v59, 8, v59
	v_addc_co_u32_e32 v60, vcc, 0, v60, vcc
	s_andn2_b64 exec, exec, s[8:9]
	s_cbranch_execnz .LBB75_61
; %bb.62:
	s_or_b64 exec, exec, s[8:9]
.LBB75_63:
	s_or_b64 exec, exec, s[6:7]
.LBB75_64:
	s_or_b64 exec, exec, s[4:5]
	v_mov_b32_e32 v46, 0
	ds_read_b64 v[46:47], v46 offset:48
	s_waitcnt lgkmcnt(0)
	v_mul_f64 v[46:47], v[90:91], v[46:47]
.LBB75_65:
	s_or_b64 exec, exec, s[24:25]
	v_cmp_lt_u32_e64 s[2:3], 5, v0
	ds_write_b64 v92, v[44:45]
	s_waitcnt lgkmcnt(0)
	; wave barrier
	s_and_saveexec_b64 s[24:25], s[2:3]
	s_cbranch_execz .LBB75_81
; %bb.66:
	s_andn2_b64 vcc, exec, s[26:27]
	s_cbranch_vccnz .LBB75_68
; %bb.67:
	v_cmp_eq_u32_e32 vcc, 1, v0
	v_cndmask_b32_e32 v90, v35, v37, vcc
	v_cmp_eq_u32_e64 s[4:5], 2, v0
	v_cndmask_b32_e64 v90, v90, v39, s[4:5]
	v_cmp_eq_u32_e64 s[6:7], 3, v0
	v_cndmask_b32_e64 v90, v90, v41, s[6:7]
	;; [unrolled: 2-line block ×10, first 2 shown]
	v_cndmask_b32_e32 v90, v34, v36, vcc
	v_cndmask_b32_e64 v90, v90, v38, s[4:5]
	v_cndmask_b32_e64 v90, v90, v40, s[6:7]
	;; [unrolled: 1-line block ×6, first 2 shown]
	ds_read_b64 v[93:94], v92
	v_cndmask_b32_e64 v90, v90, v50, s[16:17]
	v_cndmask_b32_e64 v90, v90, v52, s[18:19]
	;; [unrolled: 1-line block ×4, first 2 shown]
	s_waitcnt lgkmcnt(0)
	v_mul_f64 v[90:91], v[90:91], v[93:94]
	s_cbranch_execz .LBB75_69
	s_branch .LBB75_70
.LBB75_68:
                                        ; implicit-def: $vgpr90_vgpr91
.LBB75_69:
	ds_read_b64 v[90:91], v92
.LBB75_70:
	s_and_saveexec_b64 s[4:5], s[0:1]
	s_cbranch_execz .LBB75_80
; %bb.71:
	v_add_u32_e32 v95, -7, v0
	v_add_u32_e32 v93, -6, v0
	v_mov_b32_e32 v94, 6
	v_cmp_lt_u32_e32 vcc, 6, v95
	s_and_saveexec_b64 s[0:1], vcc
	s_cbranch_execz .LBB75_75
; %bb.72:
	v_and_b32_e32 v94, -8, v93
	v_sub_u32_e32 v95, 0, v94
	s_mov_b64 s[6:7], 13
	s_movk_i32 s10, 0x90
	s_mov_b64 s[8:9], 0
.LBB75_73:                              ; =>This Inner Loop Header: Depth=1
	s_lshl_b32 s11, s6, 1
	s_add_i32 s12, s11, -13
	v_mov_b32_e32 v94, s10
	s_add_i32 s13, s11, -14
	s_set_gpr_idx_on s12, gpr_idx(SRC0)
	v_mov_b32_e32 v105, v34
	s_set_gpr_idx_off
	s_set_gpr_idx_on s13, gpr_idx(SRC0)
	v_mov_b32_e32 v104, v34
	s_set_gpr_idx_off
	ds_read_b128 v[96:99], v94
	ds_read_b128 v[100:103], v94 offset:16
	s_add_i32 s12, s11, -11
	s_add_i32 s13, s11, -12
	s_waitcnt lgkmcnt(1)
	v_fma_f64 v[90:91], v[104:105], v[96:97], v[90:91]
	ds_read_b128 v[104:107], v94 offset:32
	ds_read_b128 v[108:111], v94 offset:48
	s_set_gpr_idx_on s12, gpr_idx(SRC0)
	v_mov_b32_e32 v97, v34
	s_set_gpr_idx_off
	s_set_gpr_idx_on s13, gpr_idx(SRC0)
	v_mov_b32_e32 v96, v34
	s_set_gpr_idx_off
	s_add_i32 s12, s11, -9
	s_add_i32 s13, s11, -10
	v_fma_f64 v[90:91], v[96:97], v[98:99], v[90:91]
	s_set_gpr_idx_on s12, gpr_idx(SRC0)
	v_mov_b32_e32 v97, v34
	s_set_gpr_idx_off
	s_set_gpr_idx_on s13, gpr_idx(SRC0)
	v_mov_b32_e32 v96, v34
	s_set_gpr_idx_off
	s_add_i32 s12, s11, -7
	s_add_i32 s13, s11, -8
	s_waitcnt lgkmcnt(2)
	v_fma_f64 v[90:91], v[96:97], v[100:101], v[90:91]
	s_set_gpr_idx_on s12, gpr_idx(SRC0)
	v_mov_b32_e32 v97, v34
	s_set_gpr_idx_off
	s_set_gpr_idx_on s13, gpr_idx(SRC0)
	v_mov_b32_e32 v96, v34
	s_set_gpr_idx_off
	s_add_i32 s12, s11, -5
	s_add_i32 s13, s11, -6
	v_fma_f64 v[90:91], v[96:97], v[102:103], v[90:91]
	s_set_gpr_idx_on s12, gpr_idx(SRC0)
	v_mov_b32_e32 v97, v34
	s_set_gpr_idx_off
	s_set_gpr_idx_on s13, gpr_idx(SRC0)
	v_mov_b32_e32 v96, v34
	s_set_gpr_idx_off
	s_add_i32 s12, s11, -3
	s_add_i32 s13, s11, -4
	s_waitcnt lgkmcnt(1)
	v_fma_f64 v[90:91], v[96:97], v[104:105], v[90:91]
	s_set_gpr_idx_on s12, gpr_idx(SRC0)
	v_mov_b32_e32 v97, v34
	s_set_gpr_idx_off
	s_set_gpr_idx_on s13, gpr_idx(SRC0)
	v_mov_b32_e32 v96, v34
	s_set_gpr_idx_off
	s_add_i32 s12, s11, -1
	s_add_i32 s13, s11, -2
	s_add_u32 s6, s6, 8
	v_add_u32_e32 v94, s6, v95
	s_addc_u32 s7, s7, 0
	v_fma_f64 v[90:91], v[96:97], v[106:107], v[90:91]
	s_set_gpr_idx_on s12, gpr_idx(SRC0)
	v_mov_b32_e32 v97, v34
	s_set_gpr_idx_off
	s_set_gpr_idx_on s13, gpr_idx(SRC0)
	v_mov_b32_e32 v96, v34
	s_set_gpr_idx_off
	s_add_i32 s10, s10, 64
	v_cmp_eq_u32_e32 vcc, 13, v94
	s_waitcnt lgkmcnt(0)
	v_fma_f64 v[90:91], v[96:97], v[108:109], v[90:91]
	s_set_gpr_idx_on s11, gpr_idx(SRC0)
	v_mov_b32_e32 v97, v35
	v_mov_b32_e32 v96, v34
	s_set_gpr_idx_off
	s_add_i32 s11, s6, -7
	s_or_b64 s[8:9], vcc, s[8:9]
	v_mov_b32_e32 v94, s11
	v_fma_f64 v[90:91], v[96:97], v[110:111], v[90:91]
	s_andn2_b64 exec, exec, s[8:9]
	s_cbranch_execnz .LBB75_73
; %bb.74:
	s_or_b64 exec, exec, s[8:9]
.LBB75_75:
	s_or_b64 exec, exec, s[0:1]
	v_and_b32_e32 v58, 7, v93
	v_cmp_ne_u32_e32 vcc, 0, v58
	s_and_saveexec_b64 s[6:7], vcc
	s_cbranch_execz .LBB75_79
; %bb.76:
	v_mov_b32_e32 v59, 0x60
	v_lshl_add_u32 v59, v94, 3, v59
	v_mov_b32_e32 v60, 0
	s_mov_b64 s[8:9], 0
.LBB75_77:                              ; =>This Inner Loop Header: Depth=1
	v_cmp_eq_u32_e32 vcc, 1, v94
	v_cndmask_b32_e32 v63, v35, v37, vcc
	v_cmp_eq_u32_e64 s[0:1], 2, v94
	v_cndmask_b32_e64 v63, v63, v39, s[0:1]
	v_cndmask_b32_e32 v64, v34, v36, vcc
	v_cmp_eq_u32_e32 vcc, 3, v94
	v_cndmask_b32_e32 v63, v63, v41, vcc
	v_cndmask_b32_e64 v64, v64, v38, s[0:1]
	v_cmp_eq_u32_e64 s[0:1], 4, v94
	v_cndmask_b32_e64 v63, v63, v43, s[0:1]
	v_cndmask_b32_e32 v64, v64, v40, vcc
	v_cmp_eq_u32_e32 vcc, 5, v94
	v_cndmask_b32_e32 v63, v63, v45, vcc
	v_cndmask_b32_e64 v64, v64, v42, s[0:1]
	;; [unrolled: 6-line block ×3, first 2 shown]
	v_cmp_eq_u32_e64 s[0:1], 8, v94
	ds_read_b64 v[61:62], v59
	v_cndmask_b32_e64 v63, v63, v51, s[0:1]
	v_cndmask_b32_e32 v64, v64, v48, vcc
	v_cmp_eq_u32_e32 vcc, 9, v94
	v_cndmask_b32_e32 v63, v63, v53, vcc
	v_cndmask_b32_e64 v64, v64, v50, s[0:1]
	v_cmp_eq_u32_e64 s[0:1], 10, v94
	v_cndmask_b32_e64 v63, v63, v55, s[0:1]
	v_cndmask_b32_e32 v65, v64, v52, vcc
	v_cmp_eq_u32_e32 vcc, 11, v94
	v_cndmask_b32_e32 v64, v63, v57, vcc
	v_cndmask_b32_e64 v63, v65, v54, s[0:1]
	v_cndmask_b32_e32 v63, v63, v56, vcc
	s_waitcnt lgkmcnt(0)
	v_fma_f64 v[90:91], v[63:64], v[61:62], v[90:91]
	v_add_u32_e32 v58, -1, v58
	v_cmp_eq_u32_e32 vcc, 0, v58
	s_or_b64 s[8:9], vcc, s[8:9]
	v_add_co_u32_e32 v94, vcc, 1, v94
	v_add_u32_e32 v59, 8, v59
	v_addc_co_u32_e32 v60, vcc, 0, v60, vcc
	s_andn2_b64 exec, exec, s[8:9]
	s_cbranch_execnz .LBB75_77
; %bb.78:
	s_or_b64 exec, exec, s[8:9]
.LBB75_79:
	s_or_b64 exec, exec, s[6:7]
.LBB75_80:
	s_or_b64 exec, exec, s[4:5]
	v_mov_b32_e32 v44, 0
	ds_read_b64 v[44:45], v44 offset:40
	s_waitcnt lgkmcnt(0)
	v_mul_f64 v[44:45], v[90:91], v[44:45]
.LBB75_81:
	s_or_b64 exec, exec, s[24:25]
	v_cmp_lt_u32_e64 s[0:1], 4, v0
	ds_write_b64 v92, v[42:43]
	s_waitcnt lgkmcnt(0)
	; wave barrier
	s_and_saveexec_b64 s[24:25], s[0:1]
	s_cbranch_execz .LBB75_97
; %bb.82:
	s_andn2_b64 vcc, exec, s[26:27]
	s_cbranch_vccnz .LBB75_84
; %bb.83:
	v_cmp_eq_u32_e32 vcc, 1, v0
	v_cndmask_b32_e32 v90, v35, v37, vcc
	v_cmp_eq_u32_e64 s[4:5], 2, v0
	v_cndmask_b32_e64 v90, v90, v39, s[4:5]
	v_cmp_eq_u32_e64 s[6:7], 3, v0
	v_cndmask_b32_e64 v90, v90, v41, s[6:7]
	;; [unrolled: 2-line block ×10, first 2 shown]
	v_cndmask_b32_e32 v90, v34, v36, vcc
	v_cndmask_b32_e64 v90, v90, v38, s[4:5]
	v_cndmask_b32_e64 v90, v90, v40, s[6:7]
	;; [unrolled: 1-line block ×6, first 2 shown]
	ds_read_b64 v[93:94], v92
	v_cndmask_b32_e64 v90, v90, v50, s[16:17]
	v_cndmask_b32_e64 v90, v90, v52, s[18:19]
	;; [unrolled: 1-line block ×4, first 2 shown]
	s_waitcnt lgkmcnt(0)
	v_mul_f64 v[90:91], v[90:91], v[93:94]
	s_cbranch_execz .LBB75_85
	s_branch .LBB75_86
.LBB75_84:
                                        ; implicit-def: $vgpr90_vgpr91
.LBB75_85:
	ds_read_b64 v[90:91], v92
.LBB75_86:
	s_and_saveexec_b64 s[4:5], s[2:3]
	s_cbranch_execz .LBB75_96
; %bb.87:
	v_add_u32_e32 v94, -6, v0
	v_add_u32_e32 v93, -5, v0
	v_cmp_lt_u32_e32 vcc, 6, v94
	v_mov_b32_e32 v94, 5
	s_and_saveexec_b64 s[2:3], vcc
	s_cbranch_execz .LBB75_91
; %bb.88:
	v_and_b32_e32 v94, -8, v93
	v_sub_u32_e32 v95, 0, v94
	s_mov_b64 s[6:7], 12
	s_movk_i32 s10, 0x88
	s_mov_b64 s[8:9], 0
.LBB75_89:                              ; =>This Inner Loop Header: Depth=1
	s_lshl_b32 s11, s6, 1
	s_add_i32 s12, s11, -13
	v_mov_b32_e32 v94, s10
	s_add_i32 s13, s11, -14
	s_set_gpr_idx_on s12, gpr_idx(SRC0)
	v_mov_b32_e32 v101, v34
	s_set_gpr_idx_off
	s_set_gpr_idx_on s13, gpr_idx(SRC0)
	v_mov_b32_e32 v100, v34
	s_set_gpr_idx_off
	ds_read2_b64 v[96:99], v94 offset1:1
	s_add_i32 s12, s11, -11
	s_add_i32 s13, s11, -12
	;; [unrolled: 1-line block ×4, first 2 shown]
	s_waitcnt lgkmcnt(0)
	v_fma_f64 v[90:91], v[100:101], v[96:97], v[90:91]
	s_set_gpr_idx_on s12, gpr_idx(SRC0)
	v_mov_b32_e32 v97, v34
	s_set_gpr_idx_off
	s_set_gpr_idx_on s13, gpr_idx(SRC0)
	v_mov_b32_e32 v96, v34
	s_set_gpr_idx_off
	s_add_i32 s12, s11, -7
	s_add_i32 s13, s11, -8
	v_fma_f64 v[90:91], v[96:97], v[98:99], v[90:91]
	s_set_gpr_idx_on s14, gpr_idx(SRC0)
	v_mov_b32_e32 v101, v34
	s_set_gpr_idx_off
	s_set_gpr_idx_on s15, gpr_idx(SRC0)
	v_mov_b32_e32 v100, v34
	s_set_gpr_idx_off
	ds_read2_b64 v[96:99], v94 offset0:2 offset1:3
	s_add_i32 s14, s11, -5
	s_add_i32 s15, s11, -6
	s_waitcnt lgkmcnt(0)
	v_fma_f64 v[90:91], v[100:101], v[96:97], v[90:91]
	s_set_gpr_idx_on s12, gpr_idx(SRC0)
	v_mov_b32_e32 v97, v34
	s_set_gpr_idx_off
	s_set_gpr_idx_on s13, gpr_idx(SRC0)
	v_mov_b32_e32 v96, v34
	s_set_gpr_idx_off
	s_add_i32 s12, s11, -3
	s_add_i32 s13, s11, -4
	v_fma_f64 v[90:91], v[96:97], v[98:99], v[90:91]
	s_set_gpr_idx_on s14, gpr_idx(SRC0)
	v_mov_b32_e32 v101, v34
	s_set_gpr_idx_off
	s_set_gpr_idx_on s15, gpr_idx(SRC0)
	v_mov_b32_e32 v100, v34
	s_set_gpr_idx_off
	ds_read2_b64 v[96:99], v94 offset0:4 offset1:5
	s_add_i32 s14, s11, -1
	s_add_i32 s15, s11, -2
	s_add_u32 s6, s6, 8
	s_addc_u32 s7, s7, 0
	s_waitcnt lgkmcnt(0)
	v_fma_f64 v[90:91], v[100:101], v[96:97], v[90:91]
	s_set_gpr_idx_on s12, gpr_idx(SRC0)
	v_mov_b32_e32 v97, v34
	s_set_gpr_idx_off
	s_set_gpr_idx_on s13, gpr_idx(SRC0)
	v_mov_b32_e32 v96, v34
	s_set_gpr_idx_off
	s_add_i32 s10, s10, 64
	v_fma_f64 v[90:91], v[96:97], v[98:99], v[90:91]
	s_set_gpr_idx_on s14, gpr_idx(SRC0)
	v_mov_b32_e32 v101, v34
	s_set_gpr_idx_off
	s_set_gpr_idx_on s15, gpr_idx(SRC0)
	v_mov_b32_e32 v100, v34
	s_set_gpr_idx_off
	ds_read2_b64 v[96:99], v94 offset0:6 offset1:7
	v_add_u32_e32 v94, s6, v95
	v_cmp_eq_u32_e32 vcc, 12, v94
	s_waitcnt lgkmcnt(0)
	v_fma_f64 v[90:91], v[100:101], v[96:97], v[90:91]
	s_set_gpr_idx_on s11, gpr_idx(SRC0)
	v_mov_b32_e32 v97, v35
	v_mov_b32_e32 v96, v34
	s_set_gpr_idx_off
	s_add_i32 s11, s6, -7
	s_or_b64 s[8:9], vcc, s[8:9]
	v_mov_b32_e32 v94, s11
	v_fma_f64 v[90:91], v[96:97], v[98:99], v[90:91]
	s_andn2_b64 exec, exec, s[8:9]
	s_cbranch_execnz .LBB75_89
; %bb.90:
	s_or_b64 exec, exec, s[8:9]
.LBB75_91:
	s_or_b64 exec, exec, s[2:3]
	v_and_b32_e32 v58, 7, v93
	v_cmp_ne_u32_e32 vcc, 0, v58
	s_and_saveexec_b64 s[6:7], vcc
	s_cbranch_execz .LBB75_95
; %bb.92:
	v_mov_b32_e32 v59, 0x60
	v_lshl_add_u32 v59, v94, 3, v59
	v_mov_b32_e32 v60, 0
	s_mov_b64 s[8:9], 0
.LBB75_93:                              ; =>This Inner Loop Header: Depth=1
	v_cmp_eq_u32_e32 vcc, 1, v94
	v_cndmask_b32_e32 v63, v35, v37, vcc
	v_cmp_eq_u32_e64 s[2:3], 2, v94
	v_cndmask_b32_e64 v63, v63, v39, s[2:3]
	v_cndmask_b32_e32 v64, v34, v36, vcc
	v_cmp_eq_u32_e32 vcc, 3, v94
	v_cndmask_b32_e32 v63, v63, v41, vcc
	v_cndmask_b32_e64 v64, v64, v38, s[2:3]
	v_cmp_eq_u32_e64 s[2:3], 4, v94
	v_cndmask_b32_e64 v63, v63, v43, s[2:3]
	v_cndmask_b32_e32 v64, v64, v40, vcc
	v_cmp_eq_u32_e32 vcc, 5, v94
	v_cndmask_b32_e32 v63, v63, v45, vcc
	v_cndmask_b32_e64 v64, v64, v42, s[2:3]
	;; [unrolled: 6-line block ×3, first 2 shown]
	v_cmp_eq_u32_e64 s[2:3], 8, v94
	ds_read_b64 v[61:62], v59
	v_cndmask_b32_e64 v63, v63, v51, s[2:3]
	v_cndmask_b32_e32 v64, v64, v48, vcc
	v_cmp_eq_u32_e32 vcc, 9, v94
	v_cndmask_b32_e32 v63, v63, v53, vcc
	v_cndmask_b32_e64 v64, v64, v50, s[2:3]
	v_cmp_eq_u32_e64 s[2:3], 10, v94
	v_cndmask_b32_e64 v63, v63, v55, s[2:3]
	v_cndmask_b32_e32 v65, v64, v52, vcc
	v_cmp_eq_u32_e32 vcc, 11, v94
	v_cndmask_b32_e32 v64, v63, v57, vcc
	v_cndmask_b32_e64 v63, v65, v54, s[2:3]
	v_cndmask_b32_e32 v63, v63, v56, vcc
	s_waitcnt lgkmcnt(0)
	v_fma_f64 v[90:91], v[63:64], v[61:62], v[90:91]
	v_add_u32_e32 v58, -1, v58
	v_cmp_eq_u32_e32 vcc, 0, v58
	s_or_b64 s[8:9], vcc, s[8:9]
	v_add_co_u32_e32 v94, vcc, 1, v94
	v_add_u32_e32 v59, 8, v59
	v_addc_co_u32_e32 v60, vcc, 0, v60, vcc
	s_andn2_b64 exec, exec, s[8:9]
	s_cbranch_execnz .LBB75_93
; %bb.94:
	s_or_b64 exec, exec, s[8:9]
.LBB75_95:
	s_or_b64 exec, exec, s[6:7]
.LBB75_96:
	s_or_b64 exec, exec, s[4:5]
	v_mov_b32_e32 v42, 0
	ds_read_b64 v[42:43], v42 offset:32
	s_waitcnt lgkmcnt(0)
	v_mul_f64 v[42:43], v[90:91], v[42:43]
.LBB75_97:
	s_or_b64 exec, exec, s[24:25]
	v_cmp_lt_u32_e64 s[2:3], 3, v0
	ds_write_b64 v92, v[40:41]
	s_waitcnt lgkmcnt(0)
	; wave barrier
	s_and_saveexec_b64 s[24:25], s[2:3]
	s_cbranch_execz .LBB75_113
; %bb.98:
	s_andn2_b64 vcc, exec, s[26:27]
	s_cbranch_vccnz .LBB75_100
; %bb.99:
	v_cmp_eq_u32_e32 vcc, 1, v0
	v_cndmask_b32_e32 v90, v35, v37, vcc
	v_cmp_eq_u32_e64 s[4:5], 2, v0
	v_cndmask_b32_e64 v90, v90, v39, s[4:5]
	v_cmp_eq_u32_e64 s[6:7], 3, v0
	v_cndmask_b32_e64 v90, v90, v41, s[6:7]
	;; [unrolled: 2-line block ×10, first 2 shown]
	v_cndmask_b32_e32 v90, v34, v36, vcc
	v_cndmask_b32_e64 v90, v90, v38, s[4:5]
	v_cndmask_b32_e64 v90, v90, v40, s[6:7]
	;; [unrolled: 1-line block ×6, first 2 shown]
	ds_read_b64 v[93:94], v92
	v_cndmask_b32_e64 v90, v90, v50, s[16:17]
	v_cndmask_b32_e64 v90, v90, v52, s[18:19]
	;; [unrolled: 1-line block ×4, first 2 shown]
	s_waitcnt lgkmcnt(0)
	v_mul_f64 v[90:91], v[90:91], v[93:94]
	s_cbranch_execz .LBB75_101
	s_branch .LBB75_102
.LBB75_100:
                                        ; implicit-def: $vgpr90_vgpr91
.LBB75_101:
	ds_read_b64 v[90:91], v92
.LBB75_102:
	s_and_saveexec_b64 s[4:5], s[0:1]
	s_cbranch_execz .LBB75_112
; %bb.103:
	v_add_u32_e32 v94, -5, v0
	v_add_u32_e32 v93, -4, v0
	v_cmp_lt_u32_e32 vcc, 6, v94
	v_mov_b32_e32 v94, 4
	s_and_saveexec_b64 s[0:1], vcc
	s_cbranch_execz .LBB75_107
; %bb.104:
	v_and_b32_e32 v94, -8, v93
	v_sub_u32_e32 v95, 0, v94
	s_mov_b64 s[6:7], 5
	s_movk_i32 s10, 0x80
	s_mov_b64 s[8:9], 0
.LBB75_105:                             ; =>This Inner Loop Header: Depth=1
	s_lshl_b32 s11, s6, 1
	s_add_i32 s12, s11, -1
	v_mov_b32_e32 v94, s10
	s_add_i32 s13, s11, -2
	s_set_gpr_idx_on s12, gpr_idx(SRC0)
	v_mov_b32_e32 v105, v34
	s_set_gpr_idx_off
	s_set_gpr_idx_on s13, gpr_idx(SRC0)
	v_mov_b32_e32 v104, v34
	s_set_gpr_idx_off
	ds_read_b128 v[96:99], v94
	ds_read_b128 v[100:103], v94 offset:16
	s_add_i32 s12, s11, 3
	s_add_i32 s13, s11, 2
	s_waitcnt lgkmcnt(1)
	v_fma_f64 v[90:91], v[104:105], v[96:97], v[90:91]
	ds_read_b128 v[104:107], v94 offset:32
	ds_read_b128 v[108:111], v94 offset:48
	s_set_gpr_idx_on s11, gpr_idx(SRC0)
	v_mov_b32_e32 v97, v35
	v_mov_b32_e32 v96, v34
	s_set_gpr_idx_off
	v_fma_f64 v[90:91], v[96:97], v[98:99], v[90:91]
	s_set_gpr_idx_on s12, gpr_idx(SRC0)
	v_mov_b32_e32 v97, v34
	s_set_gpr_idx_off
	s_set_gpr_idx_on s13, gpr_idx(SRC0)
	v_mov_b32_e32 v96, v34
	s_set_gpr_idx_off
	s_add_i32 s12, s11, 5
	s_add_i32 s13, s11, 4
	s_waitcnt lgkmcnt(2)
	v_fma_f64 v[90:91], v[96:97], v[100:101], v[90:91]
	s_set_gpr_idx_on s12, gpr_idx(SRC0)
	v_mov_b32_e32 v97, v34
	s_set_gpr_idx_off
	s_set_gpr_idx_on s13, gpr_idx(SRC0)
	v_mov_b32_e32 v96, v34
	s_set_gpr_idx_off
	s_add_i32 s12, s11, 7
	s_add_i32 s13, s11, 6
	v_fma_f64 v[90:91], v[96:97], v[102:103], v[90:91]
	s_set_gpr_idx_on s12, gpr_idx(SRC0)
	v_mov_b32_e32 v97, v34
	s_set_gpr_idx_off
	s_set_gpr_idx_on s13, gpr_idx(SRC0)
	v_mov_b32_e32 v96, v34
	s_set_gpr_idx_off
	s_add_i32 s12, s11, 9
	s_add_i32 s13, s11, 8
	s_waitcnt lgkmcnt(1)
	v_fma_f64 v[90:91], v[96:97], v[104:105], v[90:91]
	s_set_gpr_idx_on s12, gpr_idx(SRC0)
	v_mov_b32_e32 v97, v34
	s_set_gpr_idx_off
	s_set_gpr_idx_on s13, gpr_idx(SRC0)
	v_mov_b32_e32 v96, v34
	s_set_gpr_idx_off
	s_add_i32 s12, s11, 11
	s_add_i32 s13, s11, 10
	v_fma_f64 v[90:91], v[96:97], v[106:107], v[90:91]
	s_set_gpr_idx_on s12, gpr_idx(SRC0)
	v_mov_b32_e32 v97, v34
	s_set_gpr_idx_off
	s_set_gpr_idx_on s13, gpr_idx(SRC0)
	v_mov_b32_e32 v96, v34
	s_set_gpr_idx_off
	s_add_i32 s12, s11, 13
	s_add_i32 s11, s11, 12
	s_add_u32 s6, s6, 8
	v_add_u32_e32 v94, s6, v95
	s_addc_u32 s7, s7, 0
	s_waitcnt lgkmcnt(0)
	v_fma_f64 v[90:91], v[96:97], v[108:109], v[90:91]
	s_set_gpr_idx_on s12, gpr_idx(SRC0)
	v_mov_b32_e32 v97, v34
	s_set_gpr_idx_off
	s_set_gpr_idx_on s11, gpr_idx(SRC0)
	v_mov_b32_e32 v96, v34
	s_set_gpr_idx_off
	s_add_i32 s10, s10, 64
	s_add_i32 s11, s6, -1
	v_cmp_eq_u32_e32 vcc, 5, v94
	s_or_b64 s[8:9], vcc, s[8:9]
	v_mov_b32_e32 v94, s11
	v_fma_f64 v[90:91], v[96:97], v[110:111], v[90:91]
	s_andn2_b64 exec, exec, s[8:9]
	s_cbranch_execnz .LBB75_105
; %bb.106:
	s_or_b64 exec, exec, s[8:9]
.LBB75_107:
	s_or_b64 exec, exec, s[0:1]
	v_and_b32_e32 v58, 7, v93
	v_cmp_ne_u32_e32 vcc, 0, v58
	s_and_saveexec_b64 s[6:7], vcc
	s_cbranch_execz .LBB75_111
; %bb.108:
	v_mov_b32_e32 v59, 0x60
	v_lshl_add_u32 v59, v94, 3, v59
	v_mov_b32_e32 v60, 0
	s_mov_b64 s[8:9], 0
.LBB75_109:                             ; =>This Inner Loop Header: Depth=1
	v_cmp_eq_u32_e32 vcc, 1, v94
	v_cndmask_b32_e32 v63, v35, v37, vcc
	v_cmp_eq_u32_e64 s[0:1], 2, v94
	v_cndmask_b32_e64 v63, v63, v39, s[0:1]
	v_cndmask_b32_e32 v64, v34, v36, vcc
	v_cmp_eq_u32_e32 vcc, 3, v94
	v_cndmask_b32_e32 v63, v63, v41, vcc
	v_cndmask_b32_e64 v64, v64, v38, s[0:1]
	v_cmp_eq_u32_e64 s[0:1], 4, v94
	v_cndmask_b32_e64 v63, v63, v43, s[0:1]
	v_cndmask_b32_e32 v64, v64, v40, vcc
	v_cmp_eq_u32_e32 vcc, 5, v94
	v_cndmask_b32_e32 v63, v63, v45, vcc
	v_cndmask_b32_e64 v64, v64, v42, s[0:1]
	;; [unrolled: 6-line block ×3, first 2 shown]
	v_cmp_eq_u32_e64 s[0:1], 8, v94
	ds_read_b64 v[61:62], v59
	v_cndmask_b32_e64 v63, v63, v51, s[0:1]
	v_cndmask_b32_e32 v64, v64, v48, vcc
	v_cmp_eq_u32_e32 vcc, 9, v94
	v_cndmask_b32_e32 v63, v63, v53, vcc
	v_cndmask_b32_e64 v64, v64, v50, s[0:1]
	v_cmp_eq_u32_e64 s[0:1], 10, v94
	v_cndmask_b32_e64 v63, v63, v55, s[0:1]
	v_cndmask_b32_e32 v65, v64, v52, vcc
	v_cmp_eq_u32_e32 vcc, 11, v94
	v_cndmask_b32_e32 v64, v63, v57, vcc
	v_cndmask_b32_e64 v63, v65, v54, s[0:1]
	v_cndmask_b32_e32 v63, v63, v56, vcc
	s_waitcnt lgkmcnt(0)
	v_fma_f64 v[90:91], v[63:64], v[61:62], v[90:91]
	v_add_u32_e32 v58, -1, v58
	v_cmp_eq_u32_e32 vcc, 0, v58
	s_or_b64 s[8:9], vcc, s[8:9]
	v_add_co_u32_e32 v94, vcc, 1, v94
	v_add_u32_e32 v59, 8, v59
	v_addc_co_u32_e32 v60, vcc, 0, v60, vcc
	s_andn2_b64 exec, exec, s[8:9]
	s_cbranch_execnz .LBB75_109
; %bb.110:
	s_or_b64 exec, exec, s[8:9]
.LBB75_111:
	s_or_b64 exec, exec, s[6:7]
.LBB75_112:
	s_or_b64 exec, exec, s[4:5]
	v_mov_b32_e32 v40, 0
	ds_read_b64 v[40:41], v40 offset:24
	s_waitcnt lgkmcnt(0)
	v_mul_f64 v[40:41], v[90:91], v[40:41]
.LBB75_113:
	s_or_b64 exec, exec, s[24:25]
	v_cmp_lt_u32_e64 s[0:1], 2, v0
	ds_write_b64 v92, v[38:39]
	s_waitcnt lgkmcnt(0)
	; wave barrier
	s_and_saveexec_b64 s[24:25], s[0:1]
	s_cbranch_execz .LBB75_129
; %bb.114:
	s_andn2_b64 vcc, exec, s[26:27]
	s_cbranch_vccnz .LBB75_116
; %bb.115:
	v_cmp_eq_u32_e32 vcc, 1, v0
	v_cndmask_b32_e32 v90, v35, v37, vcc
	v_cmp_eq_u32_e64 s[4:5], 2, v0
	v_cndmask_b32_e64 v90, v90, v39, s[4:5]
	v_cmp_eq_u32_e64 s[6:7], 3, v0
	v_cndmask_b32_e64 v90, v90, v41, s[6:7]
	;; [unrolled: 2-line block ×10, first 2 shown]
	v_cndmask_b32_e32 v90, v34, v36, vcc
	v_cndmask_b32_e64 v90, v90, v38, s[4:5]
	v_cndmask_b32_e64 v90, v90, v40, s[6:7]
	;; [unrolled: 1-line block ×6, first 2 shown]
	ds_read_b64 v[93:94], v92
	v_cndmask_b32_e64 v90, v90, v50, s[16:17]
	v_cndmask_b32_e64 v90, v90, v52, s[18:19]
	;; [unrolled: 1-line block ×4, first 2 shown]
	s_waitcnt lgkmcnt(0)
	v_mul_f64 v[90:91], v[90:91], v[93:94]
	s_cbranch_execz .LBB75_117
	s_branch .LBB75_118
.LBB75_116:
                                        ; implicit-def: $vgpr90_vgpr91
.LBB75_117:
	ds_read_b64 v[90:91], v92
.LBB75_118:
	s_and_saveexec_b64 s[4:5], s[2:3]
	s_cbranch_execz .LBB75_128
; %bb.119:
	v_add_u32_e32 v94, -4, v0
	v_add_u32_e32 v93, -3, v0
	v_cmp_lt_u32_e32 vcc, 6, v94
	v_mov_b32_e32 v94, 3
	s_and_saveexec_b64 s[2:3], vcc
	s_cbranch_execz .LBB75_123
; %bb.120:
	v_and_b32_e32 v94, -8, v93
	v_sub_u32_e32 v95, 0, v94
	s_mov_b64 s[6:7], 10
	s_movk_i32 s10, 0x78
	s_mov_b64 s[8:9], 0
.LBB75_121:                             ; =>This Inner Loop Header: Depth=1
	s_lshl_b32 s11, s6, 1
	s_add_i32 s12, s11, -13
	v_mov_b32_e32 v94, s10
	s_add_i32 s13, s11, -14
	s_set_gpr_idx_on s12, gpr_idx(SRC0)
	v_mov_b32_e32 v101, v34
	s_set_gpr_idx_off
	s_set_gpr_idx_on s13, gpr_idx(SRC0)
	v_mov_b32_e32 v100, v34
	s_set_gpr_idx_off
	ds_read2_b64 v[96:99], v94 offset1:1
	s_add_i32 s12, s11, -11
	s_add_i32 s13, s11, -12
	;; [unrolled: 1-line block ×4, first 2 shown]
	s_waitcnt lgkmcnt(0)
	v_fma_f64 v[90:91], v[100:101], v[96:97], v[90:91]
	s_set_gpr_idx_on s12, gpr_idx(SRC0)
	v_mov_b32_e32 v97, v34
	s_set_gpr_idx_off
	s_set_gpr_idx_on s13, gpr_idx(SRC0)
	v_mov_b32_e32 v96, v34
	s_set_gpr_idx_off
	s_add_i32 s12, s11, -7
	s_add_i32 s13, s11, -8
	v_fma_f64 v[90:91], v[96:97], v[98:99], v[90:91]
	s_set_gpr_idx_on s14, gpr_idx(SRC0)
	v_mov_b32_e32 v101, v34
	s_set_gpr_idx_off
	s_set_gpr_idx_on s15, gpr_idx(SRC0)
	v_mov_b32_e32 v100, v34
	s_set_gpr_idx_off
	ds_read2_b64 v[96:99], v94 offset0:2 offset1:3
	s_add_i32 s14, s11, -5
	s_add_i32 s15, s11, -6
	s_waitcnt lgkmcnt(0)
	v_fma_f64 v[90:91], v[100:101], v[96:97], v[90:91]
	s_set_gpr_idx_on s12, gpr_idx(SRC0)
	v_mov_b32_e32 v97, v34
	s_set_gpr_idx_off
	s_set_gpr_idx_on s13, gpr_idx(SRC0)
	v_mov_b32_e32 v96, v34
	s_set_gpr_idx_off
	s_add_i32 s12, s11, -3
	s_add_i32 s13, s11, -4
	v_fma_f64 v[90:91], v[96:97], v[98:99], v[90:91]
	s_set_gpr_idx_on s14, gpr_idx(SRC0)
	v_mov_b32_e32 v101, v34
	s_set_gpr_idx_off
	s_set_gpr_idx_on s15, gpr_idx(SRC0)
	v_mov_b32_e32 v100, v34
	s_set_gpr_idx_off
	ds_read2_b64 v[96:99], v94 offset0:4 offset1:5
	s_add_i32 s14, s11, -1
	s_add_i32 s15, s11, -2
	s_add_u32 s6, s6, 8
	s_addc_u32 s7, s7, 0
	s_waitcnt lgkmcnt(0)
	v_fma_f64 v[90:91], v[100:101], v[96:97], v[90:91]
	s_set_gpr_idx_on s12, gpr_idx(SRC0)
	v_mov_b32_e32 v97, v34
	s_set_gpr_idx_off
	s_set_gpr_idx_on s13, gpr_idx(SRC0)
	v_mov_b32_e32 v96, v34
	s_set_gpr_idx_off
	s_add_i32 s10, s10, 64
	v_fma_f64 v[90:91], v[96:97], v[98:99], v[90:91]
	s_set_gpr_idx_on s14, gpr_idx(SRC0)
	v_mov_b32_e32 v101, v34
	s_set_gpr_idx_off
	s_set_gpr_idx_on s15, gpr_idx(SRC0)
	v_mov_b32_e32 v100, v34
	s_set_gpr_idx_off
	ds_read2_b64 v[96:99], v94 offset0:6 offset1:7
	v_add_u32_e32 v94, s6, v95
	v_cmp_eq_u32_e32 vcc, 10, v94
	s_waitcnt lgkmcnt(0)
	v_fma_f64 v[90:91], v[100:101], v[96:97], v[90:91]
	s_set_gpr_idx_on s11, gpr_idx(SRC0)
	v_mov_b32_e32 v97, v35
	v_mov_b32_e32 v96, v34
	s_set_gpr_idx_off
	s_add_i32 s11, s6, -7
	s_or_b64 s[8:9], vcc, s[8:9]
	v_mov_b32_e32 v94, s11
	v_fma_f64 v[90:91], v[96:97], v[98:99], v[90:91]
	s_andn2_b64 exec, exec, s[8:9]
	s_cbranch_execnz .LBB75_121
; %bb.122:
	s_or_b64 exec, exec, s[8:9]
.LBB75_123:
	s_or_b64 exec, exec, s[2:3]
	v_and_b32_e32 v58, 7, v93
	v_cmp_ne_u32_e32 vcc, 0, v58
	s_and_saveexec_b64 s[6:7], vcc
	s_cbranch_execz .LBB75_127
; %bb.124:
	v_mov_b32_e32 v59, 0x60
	v_lshl_add_u32 v59, v94, 3, v59
	v_mov_b32_e32 v60, 0
	s_mov_b64 s[8:9], 0
.LBB75_125:                             ; =>This Inner Loop Header: Depth=1
	v_cmp_eq_u32_e32 vcc, 1, v94
	v_cndmask_b32_e32 v63, v35, v37, vcc
	v_cmp_eq_u32_e64 s[2:3], 2, v94
	v_cndmask_b32_e64 v63, v63, v39, s[2:3]
	v_cndmask_b32_e32 v64, v34, v36, vcc
	v_cmp_eq_u32_e32 vcc, 3, v94
	v_cndmask_b32_e32 v63, v63, v41, vcc
	v_cndmask_b32_e64 v64, v64, v38, s[2:3]
	v_cmp_eq_u32_e64 s[2:3], 4, v94
	v_cndmask_b32_e64 v63, v63, v43, s[2:3]
	v_cndmask_b32_e32 v64, v64, v40, vcc
	v_cmp_eq_u32_e32 vcc, 5, v94
	v_cndmask_b32_e32 v63, v63, v45, vcc
	v_cndmask_b32_e64 v64, v64, v42, s[2:3]
	;; [unrolled: 6-line block ×3, first 2 shown]
	v_cmp_eq_u32_e64 s[2:3], 8, v94
	ds_read_b64 v[61:62], v59
	v_cndmask_b32_e64 v63, v63, v51, s[2:3]
	v_cndmask_b32_e32 v64, v64, v48, vcc
	v_cmp_eq_u32_e32 vcc, 9, v94
	v_cndmask_b32_e32 v63, v63, v53, vcc
	v_cndmask_b32_e64 v64, v64, v50, s[2:3]
	v_cmp_eq_u32_e64 s[2:3], 10, v94
	v_cndmask_b32_e64 v63, v63, v55, s[2:3]
	v_cndmask_b32_e32 v65, v64, v52, vcc
	v_cmp_eq_u32_e32 vcc, 11, v94
	v_cndmask_b32_e32 v64, v63, v57, vcc
	v_cndmask_b32_e64 v63, v65, v54, s[2:3]
	v_cndmask_b32_e32 v63, v63, v56, vcc
	s_waitcnt lgkmcnt(0)
	v_fma_f64 v[90:91], v[63:64], v[61:62], v[90:91]
	v_add_u32_e32 v58, -1, v58
	v_cmp_eq_u32_e32 vcc, 0, v58
	s_or_b64 s[8:9], vcc, s[8:9]
	v_add_co_u32_e32 v94, vcc, 1, v94
	v_add_u32_e32 v59, 8, v59
	v_addc_co_u32_e32 v60, vcc, 0, v60, vcc
	s_andn2_b64 exec, exec, s[8:9]
	s_cbranch_execnz .LBB75_125
; %bb.126:
	s_or_b64 exec, exec, s[8:9]
.LBB75_127:
	s_or_b64 exec, exec, s[6:7]
.LBB75_128:
	s_or_b64 exec, exec, s[4:5]
	v_mov_b32_e32 v38, 0
	ds_read_b64 v[38:39], v38 offset:16
	s_waitcnt lgkmcnt(0)
	v_mul_f64 v[38:39], v[90:91], v[38:39]
.LBB75_129:
	s_or_b64 exec, exec, s[24:25]
	v_cmp_lt_u32_e64 s[2:3], 1, v0
	ds_write_b64 v92, v[36:37]
	s_waitcnt lgkmcnt(0)
	; wave barrier
	s_and_saveexec_b64 s[24:25], s[2:3]
	s_cbranch_execz .LBB75_145
; %bb.130:
	s_andn2_b64 vcc, exec, s[26:27]
	s_cbranch_vccnz .LBB75_132
; %bb.131:
	v_cmp_eq_u32_e32 vcc, 1, v0
	v_cndmask_b32_e32 v90, v35, v37, vcc
	v_cmp_eq_u32_e64 s[4:5], 2, v0
	v_cndmask_b32_e64 v90, v90, v39, s[4:5]
	v_cmp_eq_u32_e64 s[6:7], 3, v0
	v_cndmask_b32_e64 v90, v90, v41, s[6:7]
	;; [unrolled: 2-line block ×10, first 2 shown]
	v_cndmask_b32_e32 v90, v34, v36, vcc
	v_cndmask_b32_e64 v90, v90, v38, s[4:5]
	v_cndmask_b32_e64 v90, v90, v40, s[6:7]
	;; [unrolled: 1-line block ×6, first 2 shown]
	ds_read_b64 v[93:94], v92
	v_cndmask_b32_e64 v90, v90, v50, s[16:17]
	v_cndmask_b32_e64 v90, v90, v52, s[18:19]
	;; [unrolled: 1-line block ×4, first 2 shown]
	s_waitcnt lgkmcnt(0)
	v_mul_f64 v[90:91], v[90:91], v[93:94]
	s_cbranch_execz .LBB75_133
	s_branch .LBB75_134
.LBB75_132:
                                        ; implicit-def: $vgpr90_vgpr91
.LBB75_133:
	ds_read_b64 v[90:91], v92
.LBB75_134:
	s_and_saveexec_b64 s[4:5], s[0:1]
	s_cbranch_execz .LBB75_144
; %bb.135:
	v_add_u32_e32 v94, -3, v0
	v_add_u32_e32 v93, -2, v0
	v_cmp_lt_u32_e32 vcc, 6, v94
	v_mov_b32_e32 v94, 2
	s_and_saveexec_b64 s[0:1], vcc
	s_cbranch_execz .LBB75_139
; %bb.136:
	v_and_b32_e32 v94, -8, v93
	v_sub_u32_e32 v95, 0, v94
	s_mov_b64 s[6:7], 9
	s_movk_i32 s10, 0x70
	s_mov_b64 s[8:9], 0
.LBB75_137:                             ; =>This Inner Loop Header: Depth=1
	s_lshl_b32 s11, s6, 1
	s_add_i32 s12, s11, -13
	v_mov_b32_e32 v94, s10
	s_add_i32 s13, s11, -14
	s_set_gpr_idx_on s12, gpr_idx(SRC0)
	v_mov_b32_e32 v105, v34
	s_set_gpr_idx_off
	s_set_gpr_idx_on s13, gpr_idx(SRC0)
	v_mov_b32_e32 v104, v34
	s_set_gpr_idx_off
	ds_read_b128 v[96:99], v94
	ds_read_b128 v[100:103], v94 offset:16
	s_add_i32 s12, s11, -11
	s_add_i32 s13, s11, -12
	s_waitcnt lgkmcnt(1)
	v_fma_f64 v[90:91], v[104:105], v[96:97], v[90:91]
	ds_read_b128 v[104:107], v94 offset:32
	ds_read_b128 v[108:111], v94 offset:48
	s_set_gpr_idx_on s12, gpr_idx(SRC0)
	v_mov_b32_e32 v97, v34
	s_set_gpr_idx_off
	s_set_gpr_idx_on s13, gpr_idx(SRC0)
	v_mov_b32_e32 v96, v34
	s_set_gpr_idx_off
	s_add_i32 s12, s11, -9
	s_add_i32 s13, s11, -10
	v_fma_f64 v[90:91], v[96:97], v[98:99], v[90:91]
	s_set_gpr_idx_on s12, gpr_idx(SRC0)
	v_mov_b32_e32 v97, v34
	s_set_gpr_idx_off
	s_set_gpr_idx_on s13, gpr_idx(SRC0)
	v_mov_b32_e32 v96, v34
	s_set_gpr_idx_off
	s_add_i32 s12, s11, -7
	s_add_i32 s13, s11, -8
	s_waitcnt lgkmcnt(2)
	v_fma_f64 v[90:91], v[96:97], v[100:101], v[90:91]
	s_set_gpr_idx_on s12, gpr_idx(SRC0)
	v_mov_b32_e32 v97, v34
	s_set_gpr_idx_off
	s_set_gpr_idx_on s13, gpr_idx(SRC0)
	v_mov_b32_e32 v96, v34
	s_set_gpr_idx_off
	s_add_i32 s12, s11, -5
	s_add_i32 s13, s11, -6
	v_fma_f64 v[90:91], v[96:97], v[102:103], v[90:91]
	s_set_gpr_idx_on s12, gpr_idx(SRC0)
	v_mov_b32_e32 v97, v34
	s_set_gpr_idx_off
	s_set_gpr_idx_on s13, gpr_idx(SRC0)
	v_mov_b32_e32 v96, v34
	s_set_gpr_idx_off
	s_add_i32 s12, s11, -3
	s_add_i32 s13, s11, -4
	s_waitcnt lgkmcnt(1)
	v_fma_f64 v[90:91], v[96:97], v[104:105], v[90:91]
	s_set_gpr_idx_on s12, gpr_idx(SRC0)
	v_mov_b32_e32 v97, v34
	s_set_gpr_idx_off
	s_set_gpr_idx_on s13, gpr_idx(SRC0)
	v_mov_b32_e32 v96, v34
	s_set_gpr_idx_off
	s_add_i32 s12, s11, -1
	s_add_i32 s13, s11, -2
	s_add_u32 s6, s6, 8
	v_add_u32_e32 v94, s6, v95
	s_addc_u32 s7, s7, 0
	v_fma_f64 v[90:91], v[96:97], v[106:107], v[90:91]
	s_set_gpr_idx_on s12, gpr_idx(SRC0)
	v_mov_b32_e32 v97, v34
	s_set_gpr_idx_off
	s_set_gpr_idx_on s13, gpr_idx(SRC0)
	v_mov_b32_e32 v96, v34
	s_set_gpr_idx_off
	s_add_i32 s10, s10, 64
	v_cmp_eq_u32_e32 vcc, 9, v94
	s_waitcnt lgkmcnt(0)
	v_fma_f64 v[90:91], v[96:97], v[108:109], v[90:91]
	s_set_gpr_idx_on s11, gpr_idx(SRC0)
	v_mov_b32_e32 v97, v35
	v_mov_b32_e32 v96, v34
	s_set_gpr_idx_off
	s_add_i32 s11, s6, -7
	s_or_b64 s[8:9], vcc, s[8:9]
	v_mov_b32_e32 v94, s11
	v_fma_f64 v[90:91], v[96:97], v[110:111], v[90:91]
	s_andn2_b64 exec, exec, s[8:9]
	s_cbranch_execnz .LBB75_137
; %bb.138:
	s_or_b64 exec, exec, s[8:9]
.LBB75_139:
	s_or_b64 exec, exec, s[0:1]
	v_and_b32_e32 v58, 7, v93
	v_cmp_ne_u32_e32 vcc, 0, v58
	s_and_saveexec_b64 s[6:7], vcc
	s_cbranch_execz .LBB75_143
; %bb.140:
	v_mov_b32_e32 v59, 0x60
	v_lshl_add_u32 v59, v94, 3, v59
	v_mov_b32_e32 v60, 0
	s_mov_b64 s[8:9], 0
.LBB75_141:                             ; =>This Inner Loop Header: Depth=1
	v_cmp_eq_u32_e32 vcc, 1, v94
	v_cndmask_b32_e32 v63, v35, v37, vcc
	v_cmp_eq_u32_e64 s[0:1], 2, v94
	v_cndmask_b32_e64 v63, v63, v39, s[0:1]
	v_cndmask_b32_e32 v64, v34, v36, vcc
	v_cmp_eq_u32_e32 vcc, 3, v94
	v_cndmask_b32_e32 v63, v63, v41, vcc
	v_cndmask_b32_e64 v64, v64, v38, s[0:1]
	v_cmp_eq_u32_e64 s[0:1], 4, v94
	v_cndmask_b32_e64 v63, v63, v43, s[0:1]
	v_cndmask_b32_e32 v64, v64, v40, vcc
	v_cmp_eq_u32_e32 vcc, 5, v94
	v_cndmask_b32_e32 v63, v63, v45, vcc
	v_cndmask_b32_e64 v64, v64, v42, s[0:1]
	;; [unrolled: 6-line block ×3, first 2 shown]
	v_cmp_eq_u32_e64 s[0:1], 8, v94
	ds_read_b64 v[61:62], v59
	v_cndmask_b32_e64 v63, v63, v51, s[0:1]
	v_cndmask_b32_e32 v64, v64, v48, vcc
	v_cmp_eq_u32_e32 vcc, 9, v94
	v_cndmask_b32_e32 v63, v63, v53, vcc
	v_cndmask_b32_e64 v64, v64, v50, s[0:1]
	v_cmp_eq_u32_e64 s[0:1], 10, v94
	v_cndmask_b32_e64 v63, v63, v55, s[0:1]
	v_cndmask_b32_e32 v65, v64, v52, vcc
	v_cmp_eq_u32_e32 vcc, 11, v94
	v_cndmask_b32_e32 v64, v63, v57, vcc
	v_cndmask_b32_e64 v63, v65, v54, s[0:1]
	v_cndmask_b32_e32 v63, v63, v56, vcc
	s_waitcnt lgkmcnt(0)
	v_fma_f64 v[90:91], v[63:64], v[61:62], v[90:91]
	v_add_u32_e32 v58, -1, v58
	v_cmp_eq_u32_e32 vcc, 0, v58
	s_or_b64 s[8:9], vcc, s[8:9]
	v_add_co_u32_e32 v94, vcc, 1, v94
	v_add_u32_e32 v59, 8, v59
	v_addc_co_u32_e32 v60, vcc, 0, v60, vcc
	s_andn2_b64 exec, exec, s[8:9]
	s_cbranch_execnz .LBB75_141
; %bb.142:
	s_or_b64 exec, exec, s[8:9]
.LBB75_143:
	s_or_b64 exec, exec, s[6:7]
.LBB75_144:
	s_or_b64 exec, exec, s[4:5]
	v_mov_b32_e32 v36, 0
	ds_read_b64 v[36:37], v36 offset:8
	s_waitcnt lgkmcnt(0)
	v_mul_f64 v[36:37], v[90:91], v[36:37]
.LBB75_145:
	s_or_b64 exec, exec, s[24:25]
	v_cmp_ne_u32_e32 vcc, 0, v0
	ds_write_b64 v92, v[34:35]
	s_waitcnt lgkmcnt(0)
	; wave barrier
	s_and_saveexec_b64 s[22:23], vcc
	s_cbranch_execz .LBB75_161
; %bb.146:
	s_andn2_b64 vcc, exec, s[26:27]
	s_cbranch_vccnz .LBB75_148
; %bb.147:
	v_cmp_eq_u32_e32 vcc, 1, v0
	v_cndmask_b32_e32 v90, v35, v37, vcc
	v_cmp_eq_u32_e64 s[0:1], 2, v0
	v_cndmask_b32_e64 v90, v90, v39, s[0:1]
	v_cmp_eq_u32_e64 s[4:5], 3, v0
	v_cndmask_b32_e64 v90, v90, v41, s[4:5]
	;; [unrolled: 2-line block ×10, first 2 shown]
	v_cndmask_b32_e32 v90, v34, v36, vcc
	v_cndmask_b32_e64 v90, v90, v38, s[0:1]
	v_cndmask_b32_e64 v90, v90, v40, s[4:5]
	;; [unrolled: 1-line block ×6, first 2 shown]
	ds_read_b64 v[93:94], v92
	v_cndmask_b32_e64 v90, v90, v50, s[14:15]
	v_cndmask_b32_e64 v90, v90, v52, s[16:17]
	;; [unrolled: 1-line block ×4, first 2 shown]
	s_waitcnt lgkmcnt(0)
	v_mul_f64 v[90:91], v[90:91], v[93:94]
	s_cbranch_execz .LBB75_149
	s_branch .LBB75_150
.LBB75_148:
                                        ; implicit-def: $vgpr90_vgpr91
.LBB75_149:
	ds_read_b64 v[90:91], v92
.LBB75_150:
	s_and_saveexec_b64 s[4:5], s[2:3]
	s_cbranch_execz .LBB75_160
; %bb.151:
	v_add_u32_e32 v94, -2, v0
	v_add_u32_e32 v93, -1, v0
	v_cmp_lt_u32_e32 vcc, 6, v94
	v_mov_b32_e32 v94, 1
	s_and_saveexec_b64 s[0:1], vcc
	s_cbranch_execz .LBB75_155
; %bb.152:
	v_and_b32_e32 v94, -8, v93
	v_sub_u32_e32 v95, 0, v94
	s_mov_b64 s[2:3], 8
	s_movk_i32 s8, 0x68
	s_mov_b64 s[6:7], 0
.LBB75_153:                             ; =>This Inner Loop Header: Depth=1
	s_lshl_b32 s9, s2, 1
	s_add_i32 s10, s9, -13
	v_mov_b32_e32 v94, s8
	s_add_i32 s11, s9, -14
	s_set_gpr_idx_on s10, gpr_idx(SRC0)
	v_mov_b32_e32 v101, v34
	s_set_gpr_idx_off
	s_set_gpr_idx_on s11, gpr_idx(SRC0)
	v_mov_b32_e32 v100, v34
	s_set_gpr_idx_off
	ds_read2_b64 v[96:99], v94 offset1:1
	s_add_i32 s10, s9, -11
	s_add_i32 s11, s9, -12
	;; [unrolled: 1-line block ×4, first 2 shown]
	s_waitcnt lgkmcnt(0)
	v_fma_f64 v[90:91], v[100:101], v[96:97], v[90:91]
	s_set_gpr_idx_on s10, gpr_idx(SRC0)
	v_mov_b32_e32 v97, v34
	s_set_gpr_idx_off
	s_set_gpr_idx_on s11, gpr_idx(SRC0)
	v_mov_b32_e32 v96, v34
	s_set_gpr_idx_off
	s_add_i32 s10, s9, -7
	s_add_i32 s11, s9, -8
	v_fma_f64 v[90:91], v[96:97], v[98:99], v[90:91]
	s_set_gpr_idx_on s12, gpr_idx(SRC0)
	v_mov_b32_e32 v101, v34
	s_set_gpr_idx_off
	s_set_gpr_idx_on s13, gpr_idx(SRC0)
	v_mov_b32_e32 v100, v34
	s_set_gpr_idx_off
	ds_read2_b64 v[96:99], v94 offset0:2 offset1:3
	s_add_i32 s12, s9, -5
	s_add_i32 s13, s9, -6
	s_waitcnt lgkmcnt(0)
	v_fma_f64 v[90:91], v[100:101], v[96:97], v[90:91]
	s_set_gpr_idx_on s10, gpr_idx(SRC0)
	v_mov_b32_e32 v97, v34
	s_set_gpr_idx_off
	s_set_gpr_idx_on s11, gpr_idx(SRC0)
	v_mov_b32_e32 v96, v34
	s_set_gpr_idx_off
	s_add_i32 s10, s9, -3
	s_add_i32 s11, s9, -4
	v_fma_f64 v[90:91], v[96:97], v[98:99], v[90:91]
	s_set_gpr_idx_on s12, gpr_idx(SRC0)
	v_mov_b32_e32 v101, v34
	s_set_gpr_idx_off
	s_set_gpr_idx_on s13, gpr_idx(SRC0)
	v_mov_b32_e32 v100, v34
	s_set_gpr_idx_off
	ds_read2_b64 v[96:99], v94 offset0:4 offset1:5
	s_add_i32 s12, s9, -1
	s_add_i32 s13, s9, -2
	s_add_u32 s2, s2, 8
	s_addc_u32 s3, s3, 0
	s_waitcnt lgkmcnt(0)
	v_fma_f64 v[90:91], v[100:101], v[96:97], v[90:91]
	s_set_gpr_idx_on s10, gpr_idx(SRC0)
	v_mov_b32_e32 v97, v34
	s_set_gpr_idx_off
	s_set_gpr_idx_on s11, gpr_idx(SRC0)
	v_mov_b32_e32 v96, v34
	s_set_gpr_idx_off
	s_add_i32 s8, s8, 64
	v_fma_f64 v[90:91], v[96:97], v[98:99], v[90:91]
	s_set_gpr_idx_on s12, gpr_idx(SRC0)
	v_mov_b32_e32 v101, v34
	s_set_gpr_idx_off
	s_set_gpr_idx_on s13, gpr_idx(SRC0)
	v_mov_b32_e32 v100, v34
	s_set_gpr_idx_off
	ds_read2_b64 v[96:99], v94 offset0:6 offset1:7
	v_add_u32_e32 v94, s2, v95
	v_cmp_eq_u32_e32 vcc, 8, v94
	s_waitcnt lgkmcnt(0)
	v_fma_f64 v[90:91], v[100:101], v[96:97], v[90:91]
	s_set_gpr_idx_on s9, gpr_idx(SRC0)
	v_mov_b32_e32 v97, v35
	v_mov_b32_e32 v96, v34
	s_set_gpr_idx_off
	s_add_i32 s9, s2, -7
	s_or_b64 s[6:7], vcc, s[6:7]
	v_mov_b32_e32 v94, s9
	v_fma_f64 v[90:91], v[96:97], v[98:99], v[90:91]
	s_andn2_b64 exec, exec, s[6:7]
	s_cbranch_execnz .LBB75_153
; %bb.154:
	s_or_b64 exec, exec, s[6:7]
.LBB75_155:
	s_or_b64 exec, exec, s[0:1]
	v_and_b32_e32 v58, 7, v93
	v_cmp_ne_u32_e32 vcc, 0, v58
	s_and_saveexec_b64 s[2:3], vcc
	s_cbranch_execz .LBB75_159
; %bb.156:
	v_mov_b32_e32 v59, 0x60
	v_lshl_add_u32 v59, v94, 3, v59
	v_mov_b32_e32 v60, 0
	s_mov_b64 s[6:7], 0
.LBB75_157:                             ; =>This Inner Loop Header: Depth=1
	v_cmp_eq_u32_e32 vcc, 1, v94
	v_cndmask_b32_e32 v63, v35, v37, vcc
	v_cmp_eq_u32_e64 s[0:1], 2, v94
	v_cndmask_b32_e64 v63, v63, v39, s[0:1]
	v_cndmask_b32_e32 v64, v34, v36, vcc
	v_cmp_eq_u32_e32 vcc, 3, v94
	v_cndmask_b32_e32 v63, v63, v41, vcc
	v_cndmask_b32_e64 v64, v64, v38, s[0:1]
	v_cmp_eq_u32_e64 s[0:1], 4, v94
	v_cndmask_b32_e64 v63, v63, v43, s[0:1]
	v_cndmask_b32_e32 v64, v64, v40, vcc
	v_cmp_eq_u32_e32 vcc, 5, v94
	v_cndmask_b32_e32 v63, v63, v45, vcc
	v_cndmask_b32_e64 v64, v64, v42, s[0:1]
	;; [unrolled: 6-line block ×3, first 2 shown]
	v_cmp_eq_u32_e64 s[0:1], 8, v94
	ds_read_b64 v[61:62], v59
	v_cndmask_b32_e64 v63, v63, v51, s[0:1]
	v_cndmask_b32_e32 v64, v64, v48, vcc
	v_cmp_eq_u32_e32 vcc, 9, v94
	v_cndmask_b32_e32 v63, v63, v53, vcc
	v_cndmask_b32_e64 v64, v64, v50, s[0:1]
	v_cmp_eq_u32_e64 s[0:1], 10, v94
	v_cndmask_b32_e64 v63, v63, v55, s[0:1]
	v_cndmask_b32_e32 v65, v64, v52, vcc
	v_cmp_eq_u32_e32 vcc, 11, v94
	v_cndmask_b32_e32 v64, v63, v57, vcc
	v_cndmask_b32_e64 v63, v65, v54, s[0:1]
	v_cndmask_b32_e32 v63, v63, v56, vcc
	s_waitcnt lgkmcnt(0)
	v_fma_f64 v[90:91], v[63:64], v[61:62], v[90:91]
	v_add_u32_e32 v58, -1, v58
	v_cmp_eq_u32_e32 vcc, 0, v58
	s_or_b64 s[6:7], vcc, s[6:7]
	v_add_co_u32_e32 v94, vcc, 1, v94
	v_add_u32_e32 v59, 8, v59
	v_addc_co_u32_e32 v60, vcc, 0, v60, vcc
	s_andn2_b64 exec, exec, s[6:7]
	s_cbranch_execnz .LBB75_157
; %bb.158:
	s_or_b64 exec, exec, s[6:7]
.LBB75_159:
	s_or_b64 exec, exec, s[2:3]
.LBB75_160:
	s_or_b64 exec, exec, s[4:5]
	v_mov_b32_e32 v34, 0
	ds_read_b64 v[34:35], v34
	s_waitcnt lgkmcnt(0)
	v_mul_f64 v[34:35], v[90:91], v[34:35]
.LBB75_161:
	s_or_b64 exec, exec, s[22:23]
	s_branch .LBB75_275
.LBB75_162:
	v_cmp_eq_u32_e64 s[2:3], 0, v0
	s_waitcnt vmcnt(0) lgkmcnt(0)
	ds_write_b64 v92, v[4:5]
	s_waitcnt lgkmcnt(0)
	; wave barrier
	s_and_saveexec_b64 s[22:23], s[2:3]
	s_cbranch_execz .LBB75_168
; %bb.163:
	s_and_b64 vcc, exec, s[26:27]
	s_cbranch_vccz .LBB75_165
; %bb.164:
	v_cmp_eq_u32_e32 vcc, 1, v0
	v_cndmask_b32_e32 v5, v3, v5, vcc
	v_cmp_eq_u32_e64 s[0:1], 2, v0
	v_cndmask_b32_e32 v4, v2, v4, vcc
	v_cndmask_b32_e64 v5, v5, v7, s[0:1]
	v_cmp_eq_u32_e64 s[4:5], 3, v0
	v_cndmask_b32_e64 v4, v4, v6, s[0:1]
	v_cndmask_b32_e64 v5, v5, v9, s[4:5]
	v_cmp_eq_u32_e64 s[6:7], 4, v0
	v_cndmask_b32_e64 v4, v4, v8, s[4:5]
	;; [unrolled: 3-line block ×6, first 2 shown]
	ds_read_b64 v[26:27], v92
	v_cndmask_b32_e64 v5, v5, v19, s[14:15]
	v_cmp_eq_u32_e64 s[16:17], 9, v0
	v_cndmask_b32_e64 v4, v4, v18, s[14:15]
	v_cndmask_b32_e64 v5, v5, v21, s[16:17]
	v_cmp_eq_u32_e64 s[18:19], 10, v0
	v_cndmask_b32_e64 v4, v4, v20, s[16:17]
	;; [unrolled: 3-line block ×3, first 2 shown]
	v_cndmask_b32_e64 v5, v5, v25, s[20:21]
	v_cndmask_b32_e64 v4, v4, v24, s[20:21]
	s_waitcnt lgkmcnt(0)
	v_mul_f64 v[4:5], v[4:5], v[26:27]
	s_cbranch_execz .LBB75_166
	s_branch .LBB75_167
.LBB75_165:
                                        ; implicit-def: $vgpr4_vgpr5
.LBB75_166:
	ds_read_b64 v[4:5], v92
.LBB75_167:
	v_mov_b32_e32 v26, 0
	ds_read_b64 v[26:27], v26 offset:8
	s_waitcnt lgkmcnt(0)
	v_mul_f64 v[4:5], v[4:5], v[26:27]
.LBB75_168:
	s_or_b64 exec, exec, s[22:23]
	v_cndmask_b32_e64 v34, 0, 1, s[26:27]
	v_cmp_gt_u32_e32 vcc, 2, v0
	v_cmp_ne_u32_e64 s[0:1], 1, v34
	ds_write_b64 v92, v[6:7]
	s_waitcnt lgkmcnt(0)
	; wave barrier
	s_and_saveexec_b64 s[24:25], vcc
	s_cbranch_execz .LBB75_174
; %bb.169:
	s_and_b64 vcc, exec, s[0:1]
	s_cbranch_vccnz .LBB75_171
; %bb.170:
	v_cmp_eq_u32_e32 vcc, 1, v0
	v_cndmask_b32_e32 v26, v3, v5, vcc
	v_cmp_eq_u32_e64 s[4:5], 2, v0
	v_cndmask_b32_e64 v7, v26, v7, s[4:5]
	v_cndmask_b32_e32 v26, v2, v4, vcc
	v_cmp_eq_u32_e64 s[6:7], 3, v0
	v_cndmask_b32_e64 v6, v26, v6, s[4:5]
	v_cndmask_b32_e64 v7, v7, v9, s[6:7]
	v_cmp_eq_u32_e64 s[8:9], 4, v0
	v_cndmask_b32_e64 v6, v6, v8, s[6:7]
	v_cndmask_b32_e64 v7, v7, v11, s[8:9]
	;; [unrolled: 3-line block ×5, first 2 shown]
	v_cmp_eq_u32_e64 s[16:17], 8, v0
	v_cndmask_b32_e64 v6, v6, v16, s[14:15]
	ds_read_b64 v[26:27], v92
	v_cndmask_b32_e64 v7, v7, v19, s[16:17]
	v_cmp_eq_u32_e64 s[18:19], 9, v0
	v_cndmask_b32_e64 v6, v6, v18, s[16:17]
	v_cndmask_b32_e64 v7, v7, v21, s[18:19]
	v_cmp_eq_u32_e64 s[20:21], 10, v0
	v_cndmask_b32_e64 v6, v6, v20, s[18:19]
	;; [unrolled: 3-line block ×3, first 2 shown]
	v_cndmask_b32_e64 v7, v7, v25, s[22:23]
	v_cndmask_b32_e64 v6, v6, v24, s[22:23]
	s_waitcnt lgkmcnt(0)
	v_mul_f64 v[6:7], v[6:7], v[26:27]
	s_cbranch_execz .LBB75_172
	s_branch .LBB75_173
.LBB75_171:
                                        ; implicit-def: $vgpr6_vgpr7
.LBB75_172:
	ds_read_b64 v[6:7], v92
.LBB75_173:
	v_mov_b32_e32 v26, 0
	ds_read2_b64 v[26:29], v26 offset0:2 offset1:13
	s_waitcnt lgkmcnt(0)
	v_fma_f64 v[28:29], v[4:5], v[28:29], v[6:7]
	v_cndmask_b32_e64 v7, v7, v29, s[2:3]
	v_cndmask_b32_e64 v6, v6, v28, s[2:3]
	v_mul_f64 v[6:7], v[6:7], v[26:27]
.LBB75_174:
	s_or_b64 exec, exec, s[24:25]
	v_add_u32_e32 v34, 1, v0
	v_cmp_gt_u32_e64 s[4:5], 3, v0
	ds_write_b64 v92, v[8:9]
	s_waitcnt lgkmcnt(0)
	; wave barrier
	s_and_saveexec_b64 s[26:27], s[4:5]
	s_cbranch_execz .LBB75_182
; %bb.175:
	s_and_b64 vcc, exec, s[0:1]
	s_cbranch_vccnz .LBB75_177
; %bb.176:
	v_cmp_eq_u32_e32 vcc, 1, v0
	v_cndmask_b32_e32 v26, v3, v5, vcc
	v_cmp_eq_u32_e64 s[6:7], 2, v0
	v_cndmask_b32_e64 v26, v26, v7, s[6:7]
	v_cmp_eq_u32_e64 s[8:9], 3, v0
	v_cndmask_b32_e64 v26, v26, v9, s[8:9]
	;; [unrolled: 2-line block ×10, first 2 shown]
	v_cndmask_b32_e32 v26, v2, v4, vcc
	v_cndmask_b32_e64 v26, v26, v6, s[6:7]
	v_cndmask_b32_e64 v26, v26, v8, s[8:9]
	;; [unrolled: 1-line block ×6, first 2 shown]
	ds_read_b64 v[28:29], v92
	v_cndmask_b32_e64 v26, v26, v18, s[18:19]
	v_cndmask_b32_e64 v26, v26, v20, s[20:21]
	;; [unrolled: 1-line block ×4, first 2 shown]
	s_waitcnt lgkmcnt(0)
	v_mul_f64 v[26:27], v[26:27], v[28:29]
	s_cbranch_execz .LBB75_178
	s_branch .LBB75_179
.LBB75_177:
                                        ; implicit-def: $vgpr26_vgpr27
.LBB75_178:
	ds_read_b64 v[26:27], v92
.LBB75_179:
	v_cmp_ne_u32_e32 vcc, 2, v0
	s_and_saveexec_b64 s[28:29], vcc
	s_cbranch_execz .LBB75_181
; %bb.180:
	v_cmp_eq_u32_e32 vcc, 1, v34
	v_cndmask_b32_e32 v28, v3, v5, vcc
	v_cmp_eq_u32_e64 s[6:7], 2, v34
	v_cndmask_b32_e64 v28, v28, v7, s[6:7]
	v_cmp_eq_u32_e64 s[8:9], 3, v34
	v_cndmask_b32_e64 v9, v28, v9, s[8:9]
	v_cndmask_b32_e32 v28, v2, v4, vcc
	v_cndmask_b32_e64 v28, v28, v6, s[6:7]
	v_cmp_eq_u32_e64 s[10:11], 4, v34
	v_cndmask_b32_e64 v8, v28, v8, s[8:9]
	v_cndmask_b32_e64 v9, v9, v11, s[10:11]
	v_cmp_eq_u32_e64 s[12:13], 5, v34
	v_cndmask_b32_e64 v8, v8, v10, s[10:11]
	;; [unrolled: 3-line block ×5, first 2 shown]
	ds_read_b64 v[28:29], v92 offset:8
	v_cndmask_b32_e64 v9, v9, v19, s[18:19]
	v_cmp_eq_u32_e64 s[20:21], 9, v34
	v_cndmask_b32_e64 v8, v8, v18, s[18:19]
	v_cndmask_b32_e64 v9, v9, v21, s[20:21]
	v_cmp_eq_u32_e64 s[22:23], 10, v34
	v_cndmask_b32_e64 v8, v8, v20, s[20:21]
	;; [unrolled: 3-line block ×3, first 2 shown]
	v_cndmask_b32_e64 v9, v9, v25, s[24:25]
	v_cndmask_b32_e64 v8, v8, v24, s[24:25]
	v_mov_b32_e32 v30, 0
	ds_read_b64 v[30:31], v30 offset:112
	s_waitcnt lgkmcnt(1)
	v_fma_f64 v[8:9], v[8:9], v[28:29], v[26:27]
	s_waitcnt lgkmcnt(0)
	v_fma_f64 v[26:27], v[6:7], v[30:31], v[8:9]
	v_cndmask_b32_e64 v27, v9, v27, s[2:3]
	v_cndmask_b32_e64 v26, v8, v26, s[2:3]
.LBB75_181:
	s_or_b64 exec, exec, s[28:29]
	v_mov_b32_e32 v8, 0
	ds_read_b64 v[8:9], v8 offset:24
	s_waitcnt lgkmcnt(0)
	v_mul_f64 v[8:9], v[26:27], v[8:9]
.LBB75_182:
	s_or_b64 exec, exec, s[26:27]
	v_cmp_gt_u32_e32 vcc, 4, v0
	ds_write_b64 v92, v[10:11]
	s_waitcnt lgkmcnt(0)
	; wave barrier
	s_and_saveexec_b64 s[26:27], vcc
	s_cbranch_execz .LBB75_192
; %bb.183:
	s_and_b64 vcc, exec, s[0:1]
	s_cbranch_vccnz .LBB75_185
; %bb.184:
	v_cmp_eq_u32_e32 vcc, 1, v0
	v_cndmask_b32_e32 v26, v3, v5, vcc
	v_cmp_eq_u32_e64 s[6:7], 2, v0
	v_cndmask_b32_e64 v26, v26, v7, s[6:7]
	v_cmp_eq_u32_e64 s[8:9], 3, v0
	v_cndmask_b32_e64 v26, v26, v9, s[8:9]
	;; [unrolled: 2-line block ×10, first 2 shown]
	v_cndmask_b32_e32 v26, v2, v4, vcc
	v_cndmask_b32_e64 v26, v26, v6, s[6:7]
	v_cndmask_b32_e64 v26, v26, v8, s[8:9]
	;; [unrolled: 1-line block ×6, first 2 shown]
	ds_read_b64 v[28:29], v92
	v_cndmask_b32_e64 v26, v26, v18, s[18:19]
	v_cndmask_b32_e64 v26, v26, v20, s[20:21]
	;; [unrolled: 1-line block ×4, first 2 shown]
	s_waitcnt lgkmcnt(0)
	v_mul_f64 v[26:27], v[26:27], v[28:29]
	s_cbranch_execz .LBB75_186
	s_branch .LBB75_187
.LBB75_185:
                                        ; implicit-def: $vgpr26_vgpr27
.LBB75_186:
	ds_read_b64 v[26:27], v92
.LBB75_187:
	v_cmp_ne_u32_e32 vcc, 3, v0
	s_and_saveexec_b64 s[8:9], vcc
	s_cbranch_execz .LBB75_191
; %bb.188:
	v_mov_b32_e32 v28, 0x68
	v_lshl_add_u32 v30, v0, 3, v28
	v_mov_b32_e32 v29, v1
	s_mov_b64 s[10:11], 0
	v_mov_b32_e32 v28, v0
.LBB75_189:                             ; =>This Inner Loop Header: Depth=1
	v_add_co_u32_e32 v28, vcc, 1, v28
	v_addc_co_u32_e32 v29, vcc, 0, v29, vcc
	v_cmp_eq_u32_e32 vcc, 1, v28
	v_cndmask_b32_e32 v33, v3, v5, vcc
	v_cmp_eq_u32_e64 s[6:7], 2, v28
	v_cndmask_b32_e64 v33, v33, v7, s[6:7]
	v_cndmask_b32_e32 v35, v2, v4, vcc
	v_cmp_eq_u32_e32 vcc, 3, v28
	v_cndmask_b32_e32 v33, v33, v9, vcc
	v_cndmask_b32_e64 v35, v35, v6, s[6:7]
	v_cmp_eq_u32_e64 s[6:7], 4, v28
	v_cndmask_b32_e64 v33, v33, v11, s[6:7]
	v_cndmask_b32_e32 v35, v35, v8, vcc
	v_cmp_eq_u32_e32 vcc, 5, v28
	v_cndmask_b32_e32 v33, v33, v13, vcc
	v_cndmask_b32_e64 v35, v35, v10, s[6:7]
	v_cmp_eq_u32_e64 s[6:7], 6, v28
	v_cndmask_b32_e64 v33, v33, v15, s[6:7]
	v_cndmask_b32_e32 v35, v35, v12, vcc
	v_cmp_eq_u32_e32 vcc, 7, v28
	v_cndmask_b32_e32 v33, v33, v17, vcc
	v_cndmask_b32_e64 v35, v35, v14, s[6:7]
	v_cmp_eq_u32_e64 s[6:7], 8, v28
	ds_read_b64 v[31:32], v30
	v_cndmask_b32_e64 v33, v33, v19, s[6:7]
	v_cndmask_b32_e32 v35, v35, v16, vcc
	v_cmp_eq_u32_e32 vcc, 9, v28
	v_cndmask_b32_e32 v33, v33, v21, vcc
	v_cndmask_b32_e64 v35, v35, v18, s[6:7]
	v_cmp_eq_u32_e64 s[6:7], 10, v28
	v_cndmask_b32_e64 v33, v33, v23, s[6:7]
	v_cndmask_b32_e32 v35, v35, v20, vcc
	v_cmp_eq_u32_e32 vcc, 11, v28
	v_cndmask_b32_e32 v36, v33, v25, vcc
	v_cndmask_b32_e64 v33, v35, v22, s[6:7]
	v_cndmask_b32_e32 v35, v33, v24, vcc
	s_waitcnt lgkmcnt(0)
	v_fma_f64 v[26:27], v[35:36], v[31:32], v[26:27]
	v_cmp_lt_u32_e32 vcc, 2, v28
	s_or_b64 s[10:11], vcc, s[10:11]
	v_add_u32_e32 v30, 8, v30
	s_andn2_b64 exec, exec, s[10:11]
	s_cbranch_execnz .LBB75_189
; %bb.190:
	s_or_b64 exec, exec, s[10:11]
.LBB75_191:
	s_or_b64 exec, exec, s[8:9]
	v_mov_b32_e32 v10, 0
	ds_read_b64 v[10:11], v10 offset:32
	s_waitcnt lgkmcnt(0)
	v_mul_f64 v[10:11], v[26:27], v[10:11]
.LBB75_192:
	s_or_b64 exec, exec, s[26:27]
	v_cmp_gt_u32_e64 s[6:7], 5, v0
	ds_write_b64 v92, v[12:13]
	s_waitcnt lgkmcnt(0)
	; wave barrier
	s_and_saveexec_b64 s[28:29], s[6:7]
	s_cbranch_execz .LBB75_202
; %bb.193:
	s_and_b64 vcc, exec, s[0:1]
	s_cbranch_vccnz .LBB75_195
; %bb.194:
	v_cmp_eq_u32_e32 vcc, 1, v0
	v_cndmask_b32_e32 v26, v3, v5, vcc
	v_cmp_eq_u32_e64 s[8:9], 2, v0
	v_cndmask_b32_e64 v26, v26, v7, s[8:9]
	v_cmp_eq_u32_e64 s[10:11], 3, v0
	v_cndmask_b32_e64 v26, v26, v9, s[10:11]
	;; [unrolled: 2-line block ×10, first 2 shown]
	v_cndmask_b32_e32 v26, v2, v4, vcc
	v_cndmask_b32_e64 v26, v26, v6, s[8:9]
	v_cndmask_b32_e64 v26, v26, v8, s[10:11]
	;; [unrolled: 1-line block ×6, first 2 shown]
	ds_read_b64 v[28:29], v92
	v_cndmask_b32_e64 v26, v26, v18, s[20:21]
	v_cndmask_b32_e64 v26, v26, v20, s[22:23]
	;; [unrolled: 1-line block ×4, first 2 shown]
	s_waitcnt lgkmcnt(0)
	v_mul_f64 v[26:27], v[26:27], v[28:29]
	s_cbranch_execz .LBB75_196
	s_branch .LBB75_197
.LBB75_195:
                                        ; implicit-def: $vgpr26_vgpr27
.LBB75_196:
	ds_read_b64 v[26:27], v92
.LBB75_197:
	v_cmp_ne_u32_e32 vcc, 4, v0
	s_and_saveexec_b64 s[10:11], vcc
	s_cbranch_execz .LBB75_201
; %bb.198:
	v_mov_b32_e32 v28, 0x68
	v_lshl_add_u32 v30, v0, 3, v28
	v_mov_b32_e32 v29, v1
	s_mov_b64 s[12:13], 0
	v_mov_b32_e32 v28, v0
.LBB75_199:                             ; =>This Inner Loop Header: Depth=1
	v_add_co_u32_e32 v28, vcc, 1, v28
	v_addc_co_u32_e32 v29, vcc, 0, v29, vcc
	v_cmp_eq_u32_e32 vcc, 1, v28
	v_cndmask_b32_e32 v33, v3, v5, vcc
	v_cmp_eq_u32_e64 s[8:9], 2, v28
	v_cndmask_b32_e64 v33, v33, v7, s[8:9]
	v_cndmask_b32_e32 v35, v2, v4, vcc
	v_cmp_eq_u32_e32 vcc, 3, v28
	v_cndmask_b32_e32 v33, v33, v9, vcc
	v_cndmask_b32_e64 v35, v35, v6, s[8:9]
	v_cmp_eq_u32_e64 s[8:9], 4, v28
	v_cndmask_b32_e64 v33, v33, v11, s[8:9]
	v_cndmask_b32_e32 v35, v35, v8, vcc
	v_cmp_eq_u32_e32 vcc, 5, v28
	v_cndmask_b32_e32 v33, v33, v13, vcc
	v_cndmask_b32_e64 v35, v35, v10, s[8:9]
	;; [unrolled: 6-line block ×3, first 2 shown]
	v_cmp_eq_u32_e64 s[8:9], 8, v28
	ds_read_b64 v[31:32], v30
	v_cndmask_b32_e64 v33, v33, v19, s[8:9]
	v_cndmask_b32_e32 v35, v35, v16, vcc
	v_cmp_eq_u32_e32 vcc, 9, v28
	v_cndmask_b32_e32 v33, v33, v21, vcc
	v_cndmask_b32_e64 v35, v35, v18, s[8:9]
	v_cmp_eq_u32_e64 s[8:9], 10, v28
	v_cndmask_b32_e64 v33, v33, v23, s[8:9]
	v_cndmask_b32_e32 v35, v35, v20, vcc
	v_cmp_eq_u32_e32 vcc, 11, v28
	v_cndmask_b32_e32 v36, v33, v25, vcc
	v_cndmask_b32_e64 v33, v35, v22, s[8:9]
	v_cndmask_b32_e32 v35, v33, v24, vcc
	s_waitcnt lgkmcnt(0)
	v_fma_f64 v[26:27], v[35:36], v[31:32], v[26:27]
	v_cmp_lt_u32_e32 vcc, 3, v28
	s_or_b64 s[12:13], vcc, s[12:13]
	v_add_u32_e32 v30, 8, v30
	s_andn2_b64 exec, exec, s[12:13]
	s_cbranch_execnz .LBB75_199
; %bb.200:
	s_or_b64 exec, exec, s[12:13]
.LBB75_201:
	s_or_b64 exec, exec, s[10:11]
	v_mov_b32_e32 v12, 0
	ds_read_b64 v[12:13], v12 offset:40
	s_waitcnt lgkmcnt(0)
	v_mul_f64 v[12:13], v[26:27], v[12:13]
.LBB75_202:
	s_or_b64 exec, exec, s[28:29]
	v_cmp_gt_u32_e32 vcc, 6, v0
	ds_write_b64 v92, v[14:15]
	s_waitcnt lgkmcnt(0)
	; wave barrier
	s_and_saveexec_b64 s[28:29], vcc
	s_cbranch_execz .LBB75_212
; %bb.203:
	s_and_b64 vcc, exec, s[0:1]
	s_cbranch_vccnz .LBB75_205
; %bb.204:
	v_cmp_eq_u32_e32 vcc, 1, v0
	v_cndmask_b32_e32 v26, v3, v5, vcc
	v_cmp_eq_u32_e64 s[8:9], 2, v0
	v_cndmask_b32_e64 v26, v26, v7, s[8:9]
	v_cmp_eq_u32_e64 s[10:11], 3, v0
	v_cndmask_b32_e64 v26, v26, v9, s[10:11]
	;; [unrolled: 2-line block ×10, first 2 shown]
	v_cndmask_b32_e32 v26, v2, v4, vcc
	v_cndmask_b32_e64 v26, v26, v6, s[8:9]
	v_cndmask_b32_e64 v26, v26, v8, s[10:11]
	v_cndmask_b32_e64 v26, v26, v10, s[12:13]
	v_cndmask_b32_e64 v26, v26, v12, s[14:15]
	v_cndmask_b32_e64 v26, v26, v14, s[16:17]
	v_cndmask_b32_e64 v26, v26, v16, s[18:19]
	ds_read_b64 v[28:29], v92
	v_cndmask_b32_e64 v26, v26, v18, s[20:21]
	v_cndmask_b32_e64 v26, v26, v20, s[22:23]
	;; [unrolled: 1-line block ×4, first 2 shown]
	s_waitcnt lgkmcnt(0)
	v_mul_f64 v[26:27], v[26:27], v[28:29]
	s_cbranch_execz .LBB75_206
	s_branch .LBB75_207
.LBB75_205:
                                        ; implicit-def: $vgpr26_vgpr27
.LBB75_206:
	ds_read_b64 v[26:27], v92
.LBB75_207:
	v_cmp_ne_u32_e32 vcc, 5, v0
	s_and_saveexec_b64 s[10:11], vcc
	s_cbranch_execz .LBB75_211
; %bb.208:
	v_mov_b32_e32 v28, 0x68
	v_lshl_add_u32 v30, v0, 3, v28
	v_mov_b32_e32 v29, v1
	s_mov_b64 s[12:13], 0
	v_mov_b32_e32 v28, v0
.LBB75_209:                             ; =>This Inner Loop Header: Depth=1
	v_add_co_u32_e32 v28, vcc, 1, v28
	v_addc_co_u32_e32 v29, vcc, 0, v29, vcc
	v_cmp_eq_u32_e32 vcc, 1, v28
	v_cndmask_b32_e32 v33, v3, v5, vcc
	v_cmp_eq_u32_e64 s[8:9], 2, v28
	v_cndmask_b32_e64 v33, v33, v7, s[8:9]
	v_cndmask_b32_e32 v35, v2, v4, vcc
	v_cmp_eq_u32_e32 vcc, 3, v28
	v_cndmask_b32_e32 v33, v33, v9, vcc
	v_cndmask_b32_e64 v35, v35, v6, s[8:9]
	v_cmp_eq_u32_e64 s[8:9], 4, v28
	v_cndmask_b32_e64 v33, v33, v11, s[8:9]
	v_cndmask_b32_e32 v35, v35, v8, vcc
	v_cmp_eq_u32_e32 vcc, 5, v28
	v_cndmask_b32_e32 v33, v33, v13, vcc
	v_cndmask_b32_e64 v35, v35, v10, s[8:9]
	;; [unrolled: 6-line block ×3, first 2 shown]
	v_cmp_eq_u32_e64 s[8:9], 8, v28
	ds_read_b64 v[31:32], v30
	v_cndmask_b32_e64 v33, v33, v19, s[8:9]
	v_cndmask_b32_e32 v35, v35, v16, vcc
	v_cmp_eq_u32_e32 vcc, 9, v28
	v_cndmask_b32_e32 v33, v33, v21, vcc
	v_cndmask_b32_e64 v35, v35, v18, s[8:9]
	v_cmp_eq_u32_e64 s[8:9], 10, v28
	v_cndmask_b32_e64 v33, v33, v23, s[8:9]
	v_cndmask_b32_e32 v35, v35, v20, vcc
	v_cmp_eq_u32_e32 vcc, 11, v28
	v_cndmask_b32_e32 v36, v33, v25, vcc
	v_cndmask_b32_e64 v33, v35, v22, s[8:9]
	v_cndmask_b32_e32 v35, v33, v24, vcc
	s_waitcnt lgkmcnt(0)
	v_fma_f64 v[26:27], v[35:36], v[31:32], v[26:27]
	v_cmp_lt_u32_e32 vcc, 4, v28
	s_or_b64 s[12:13], vcc, s[12:13]
	v_add_u32_e32 v30, 8, v30
	s_andn2_b64 exec, exec, s[12:13]
	s_cbranch_execnz .LBB75_209
; %bb.210:
	s_or_b64 exec, exec, s[12:13]
.LBB75_211:
	s_or_b64 exec, exec, s[10:11]
	v_mov_b32_e32 v14, 0
	ds_read_b64 v[14:15], v14 offset:48
	s_waitcnt lgkmcnt(0)
	v_mul_f64 v[14:15], v[26:27], v[14:15]
.LBB75_212:
	s_or_b64 exec, exec, s[28:29]
	v_cmp_gt_u32_e64 s[8:9], 7, v0
	ds_write_b64 v92, v[16:17]
	s_waitcnt lgkmcnt(0)
	; wave barrier
	s_and_saveexec_b64 s[30:31], s[8:9]
	s_cbranch_execz .LBB75_222
; %bb.213:
	s_and_b64 vcc, exec, s[0:1]
	s_cbranch_vccnz .LBB75_215
; %bb.214:
	v_cmp_eq_u32_e32 vcc, 1, v0
	v_cndmask_b32_e32 v26, v3, v5, vcc
	v_cmp_eq_u32_e64 s[10:11], 2, v0
	v_cndmask_b32_e64 v26, v26, v7, s[10:11]
	v_cmp_eq_u32_e64 s[12:13], 3, v0
	v_cndmask_b32_e64 v26, v26, v9, s[12:13]
	;; [unrolled: 2-line block ×10, first 2 shown]
	v_cndmask_b32_e32 v26, v2, v4, vcc
	v_cndmask_b32_e64 v26, v26, v6, s[10:11]
	v_cndmask_b32_e64 v26, v26, v8, s[12:13]
	;; [unrolled: 1-line block ×6, first 2 shown]
	ds_read_b64 v[28:29], v92
	v_cndmask_b32_e64 v26, v26, v18, s[22:23]
	v_cndmask_b32_e64 v26, v26, v20, s[24:25]
	;; [unrolled: 1-line block ×4, first 2 shown]
	s_waitcnt lgkmcnt(0)
	v_mul_f64 v[26:27], v[26:27], v[28:29]
	s_cbranch_execz .LBB75_216
	s_branch .LBB75_217
.LBB75_215:
                                        ; implicit-def: $vgpr26_vgpr27
.LBB75_216:
	ds_read_b64 v[26:27], v92
.LBB75_217:
	v_cmp_ne_u32_e32 vcc, 6, v0
	s_and_saveexec_b64 s[12:13], vcc
	s_cbranch_execz .LBB75_221
; %bb.218:
	v_mov_b32_e32 v28, 0x68
	v_lshl_add_u32 v30, v0, 3, v28
	v_mov_b32_e32 v29, v1
	s_mov_b64 s[14:15], 0
	v_mov_b32_e32 v28, v0
.LBB75_219:                             ; =>This Inner Loop Header: Depth=1
	v_add_co_u32_e32 v28, vcc, 1, v28
	v_addc_co_u32_e32 v29, vcc, 0, v29, vcc
	v_cmp_eq_u32_e32 vcc, 1, v28
	v_cndmask_b32_e32 v33, v3, v5, vcc
	v_cmp_eq_u32_e64 s[10:11], 2, v28
	v_cndmask_b32_e64 v33, v33, v7, s[10:11]
	v_cndmask_b32_e32 v35, v2, v4, vcc
	v_cmp_eq_u32_e32 vcc, 3, v28
	v_cndmask_b32_e32 v33, v33, v9, vcc
	v_cndmask_b32_e64 v35, v35, v6, s[10:11]
	v_cmp_eq_u32_e64 s[10:11], 4, v28
	v_cndmask_b32_e64 v33, v33, v11, s[10:11]
	v_cndmask_b32_e32 v35, v35, v8, vcc
	v_cmp_eq_u32_e32 vcc, 5, v28
	v_cndmask_b32_e32 v33, v33, v13, vcc
	v_cndmask_b32_e64 v35, v35, v10, s[10:11]
	;; [unrolled: 6-line block ×3, first 2 shown]
	v_cmp_eq_u32_e64 s[10:11], 8, v28
	ds_read_b64 v[31:32], v30
	v_cndmask_b32_e64 v33, v33, v19, s[10:11]
	v_cndmask_b32_e32 v35, v35, v16, vcc
	v_cmp_eq_u32_e32 vcc, 9, v28
	v_cndmask_b32_e32 v33, v33, v21, vcc
	v_cndmask_b32_e64 v35, v35, v18, s[10:11]
	v_cmp_eq_u32_e64 s[10:11], 10, v28
	v_cndmask_b32_e64 v33, v33, v23, s[10:11]
	v_cndmask_b32_e32 v35, v35, v20, vcc
	v_cmp_eq_u32_e32 vcc, 11, v28
	v_cndmask_b32_e32 v36, v33, v25, vcc
	v_cndmask_b32_e64 v33, v35, v22, s[10:11]
	v_cndmask_b32_e32 v35, v33, v24, vcc
	s_waitcnt lgkmcnt(0)
	v_fma_f64 v[26:27], v[35:36], v[31:32], v[26:27]
	v_cmp_lt_u32_e32 vcc, 5, v28
	s_or_b64 s[14:15], vcc, s[14:15]
	v_add_u32_e32 v30, 8, v30
	s_andn2_b64 exec, exec, s[14:15]
	s_cbranch_execnz .LBB75_219
; %bb.220:
	s_or_b64 exec, exec, s[14:15]
.LBB75_221:
	s_or_b64 exec, exec, s[12:13]
	v_mov_b32_e32 v16, 0
	ds_read_b64 v[16:17], v16 offset:56
	s_waitcnt lgkmcnt(0)
	v_mul_f64 v[16:17], v[26:27], v[16:17]
.LBB75_222:
	s_or_b64 exec, exec, s[30:31]
	v_cmp_gt_u32_e32 vcc, 8, v0
	ds_write_b64 v92, v[18:19]
	s_waitcnt lgkmcnt(0)
	; wave barrier
	s_and_saveexec_b64 s[30:31], vcc
	s_cbranch_execz .LBB75_232
; %bb.223:
	s_and_b64 vcc, exec, s[0:1]
	s_cbranch_vccnz .LBB75_225
; %bb.224:
	v_cmp_eq_u32_e32 vcc, 1, v0
	v_cndmask_b32_e32 v26, v3, v5, vcc
	v_cmp_eq_u32_e64 s[10:11], 2, v0
	v_cndmask_b32_e64 v26, v26, v7, s[10:11]
	v_cmp_eq_u32_e64 s[12:13], 3, v0
	v_cndmask_b32_e64 v26, v26, v9, s[12:13]
	;; [unrolled: 2-line block ×10, first 2 shown]
	v_cndmask_b32_e32 v26, v2, v4, vcc
	v_cndmask_b32_e64 v26, v26, v6, s[10:11]
	v_cndmask_b32_e64 v26, v26, v8, s[12:13]
	;; [unrolled: 1-line block ×6, first 2 shown]
	ds_read_b64 v[28:29], v92
	v_cndmask_b32_e64 v26, v26, v18, s[22:23]
	v_cndmask_b32_e64 v26, v26, v20, s[24:25]
	;; [unrolled: 1-line block ×4, first 2 shown]
	s_waitcnt lgkmcnt(0)
	v_mul_f64 v[26:27], v[26:27], v[28:29]
	s_cbranch_execz .LBB75_226
	s_branch .LBB75_227
.LBB75_225:
                                        ; implicit-def: $vgpr26_vgpr27
.LBB75_226:
	ds_read_b64 v[26:27], v92
.LBB75_227:
	v_cmp_ne_u32_e32 vcc, 7, v0
	s_and_saveexec_b64 s[12:13], vcc
	s_cbranch_execz .LBB75_231
; %bb.228:
	v_mov_b32_e32 v28, 0x68
	v_lshl_add_u32 v30, v0, 3, v28
	v_mov_b32_e32 v29, v1
	s_mov_b64 s[14:15], 0
	v_mov_b32_e32 v28, v0
.LBB75_229:                             ; =>This Inner Loop Header: Depth=1
	v_add_co_u32_e32 v28, vcc, 1, v28
	v_addc_co_u32_e32 v29, vcc, 0, v29, vcc
	v_cmp_eq_u32_e32 vcc, 1, v28
	v_cndmask_b32_e32 v33, v3, v5, vcc
	v_cmp_eq_u32_e64 s[10:11], 2, v28
	v_cndmask_b32_e64 v33, v33, v7, s[10:11]
	v_cndmask_b32_e32 v35, v2, v4, vcc
	v_cmp_eq_u32_e32 vcc, 3, v28
	v_cndmask_b32_e32 v33, v33, v9, vcc
	v_cndmask_b32_e64 v35, v35, v6, s[10:11]
	v_cmp_eq_u32_e64 s[10:11], 4, v28
	v_cndmask_b32_e64 v33, v33, v11, s[10:11]
	v_cndmask_b32_e32 v35, v35, v8, vcc
	v_cmp_eq_u32_e32 vcc, 5, v28
	v_cndmask_b32_e32 v33, v33, v13, vcc
	v_cndmask_b32_e64 v35, v35, v10, s[10:11]
	;; [unrolled: 6-line block ×3, first 2 shown]
	v_cmp_eq_u32_e64 s[10:11], 8, v28
	ds_read_b64 v[31:32], v30
	v_cndmask_b32_e64 v33, v33, v19, s[10:11]
	v_cndmask_b32_e32 v35, v35, v16, vcc
	v_cmp_eq_u32_e32 vcc, 9, v28
	v_cndmask_b32_e32 v33, v33, v21, vcc
	v_cndmask_b32_e64 v35, v35, v18, s[10:11]
	v_cmp_eq_u32_e64 s[10:11], 10, v28
	v_cndmask_b32_e64 v33, v33, v23, s[10:11]
	v_cndmask_b32_e32 v35, v35, v20, vcc
	v_cmp_eq_u32_e32 vcc, 11, v28
	v_cndmask_b32_e32 v36, v33, v25, vcc
	v_cndmask_b32_e64 v33, v35, v22, s[10:11]
	v_cndmask_b32_e32 v35, v33, v24, vcc
	s_waitcnt lgkmcnt(0)
	v_fma_f64 v[26:27], v[35:36], v[31:32], v[26:27]
	v_cmp_lt_u32_e32 vcc, 6, v28
	s_or_b64 s[14:15], vcc, s[14:15]
	v_add_u32_e32 v30, 8, v30
	s_andn2_b64 exec, exec, s[14:15]
	s_cbranch_execnz .LBB75_229
; %bb.230:
	s_or_b64 exec, exec, s[14:15]
.LBB75_231:
	s_or_b64 exec, exec, s[12:13]
	v_mov_b32_e32 v18, 0
	ds_read_b64 v[18:19], v18 offset:64
	s_waitcnt lgkmcnt(0)
	v_mul_f64 v[18:19], v[26:27], v[18:19]
.LBB75_232:
	s_or_b64 exec, exec, s[30:31]
	v_cmp_gt_u32_e32 vcc, 9, v0
	ds_write_b64 v92, v[20:21]
	s_waitcnt lgkmcnt(0)
	; wave barrier
	s_and_saveexec_b64 s[30:31], vcc
	s_cbranch_execz .LBB75_254
; %bb.233:
	s_and_b64 vcc, exec, s[0:1]
	s_cbranch_vccnz .LBB75_235
; %bb.234:
	v_cmp_eq_u32_e32 vcc, 1, v0
	v_cndmask_b32_e32 v26, v3, v5, vcc
	v_cmp_eq_u32_e64 s[10:11], 2, v0
	v_cndmask_b32_e64 v26, v26, v7, s[10:11]
	v_cmp_eq_u32_e64 s[12:13], 3, v0
	v_cndmask_b32_e64 v26, v26, v9, s[12:13]
	v_cmp_eq_u32_e64 s[14:15], 4, v0
	v_cndmask_b32_e64 v26, v26, v11, s[14:15]
	v_cmp_eq_u32_e64 s[16:17], 5, v0
	v_cndmask_b32_e64 v26, v26, v13, s[16:17]
	v_cmp_eq_u32_e64 s[18:19], 6, v0
	v_cndmask_b32_e64 v26, v26, v15, s[18:19]
	v_cmp_eq_u32_e64 s[20:21], 7, v0
	v_cndmask_b32_e64 v26, v26, v17, s[20:21]
	v_cmp_eq_u32_e64 s[22:23], 8, v0
	v_cndmask_b32_e64 v26, v26, v19, s[22:23]
	v_cmp_eq_u32_e64 s[24:25], 9, v0
	v_cndmask_b32_e64 v26, v26, v21, s[24:25]
	v_cmp_eq_u32_e64 s[26:27], 10, v0
	v_cndmask_b32_e64 v26, v26, v23, s[26:27]
	v_cmp_eq_u32_e64 s[28:29], 11, v0
	v_cndmask_b32_e64 v27, v26, v25, s[28:29]
	v_cndmask_b32_e32 v26, v2, v4, vcc
	v_cndmask_b32_e64 v26, v26, v6, s[10:11]
	v_cndmask_b32_e64 v26, v26, v8, s[12:13]
	;; [unrolled: 1-line block ×6, first 2 shown]
	ds_read_b64 v[28:29], v92
	v_cndmask_b32_e64 v26, v26, v18, s[22:23]
	v_cndmask_b32_e64 v26, v26, v20, s[24:25]
	;; [unrolled: 1-line block ×4, first 2 shown]
	s_waitcnt lgkmcnt(0)
	v_mul_f64 v[26:27], v[26:27], v[28:29]
	s_cbranch_execz .LBB75_236
	s_branch .LBB75_237
.LBB75_235:
                                        ; implicit-def: $vgpr26_vgpr27
.LBB75_236:
	ds_read_b64 v[26:27], v92
.LBB75_237:
	v_cmp_ne_u32_e32 vcc, 8, v0
	s_and_saveexec_b64 s[34:35], vcc
	s_cbranch_execz .LBB75_253
; %bb.238:
	v_cmp_eq_u32_e32 vcc, 1, v34
	v_cndmask_b32_e32 v28, v3, v5, vcc
	v_cmp_eq_u32_e64 s[10:11], 2, v34
	v_cndmask_b32_e64 v28, v28, v7, s[10:11]
	v_cmp_eq_u32_e64 s[12:13], 3, v34
	v_cndmask_b32_e64 v28, v28, v9, s[12:13]
	;; [unrolled: 2-line block ×10, first 2 shown]
	v_cndmask_b32_e32 v28, v2, v4, vcc
	v_cndmask_b32_e64 v28, v28, v6, s[10:11]
	v_cndmask_b32_e64 v28, v28, v8, s[12:13]
	;; [unrolled: 1-line block ×6, first 2 shown]
	ds_read_b64 v[30:31], v92 offset:8
	v_cndmask_b32_e64 v28, v28, v18, s[22:23]
	v_cndmask_b32_e64 v28, v28, v20, s[24:25]
	v_cndmask_b32_e64 v28, v28, v22, s[26:27]
	v_cndmask_b32_e64 v28, v28, v24, s[28:29]
	s_waitcnt lgkmcnt(0)
	v_fma_f64 v[26:27], v[28:29], v[30:31], v[26:27]
	s_and_saveexec_b64 s[28:29], s[8:9]
	s_cbranch_execz .LBB75_252
; %bb.239:
	v_add_u32_e32 v28, 2, v0
	v_cmp_eq_u32_e32 vcc, 1, v28
	v_cndmask_b32_e32 v29, v3, v5, vcc
	v_cmp_eq_u32_e64 s[8:9], 2, v28
	v_cmp_eq_u32_e64 s[10:11], 3, v28
	;; [unrolled: 1-line block ×10, first 2 shown]
	v_cndmask_b32_e32 v28, v2, v4, vcc
	v_cndmask_b32_e64 v29, v29, v7, s[8:9]
	v_cndmask_b32_e64 v28, v28, v6, s[8:9]
	;; [unrolled: 1-line block ×12, first 2 shown]
	ds_read_b64 v[30:31], v92 offset:16
	v_cndmask_b32_e64 v29, v29, v19, s[20:21]
	v_cndmask_b32_e64 v28, v28, v18, s[20:21]
	;; [unrolled: 1-line block ×8, first 2 shown]
	s_waitcnt lgkmcnt(0)
	v_fma_f64 v[26:27], v[28:29], v[30:31], v[26:27]
	v_cmp_ne_u32_e32 vcc, 6, v0
	s_and_saveexec_b64 s[36:37], vcc
	s_cbranch_execz .LBB75_251
; %bb.240:
	v_add_u32_e32 v28, 3, v0
	v_cmp_eq_u32_e32 vcc, 1, v28
	v_cndmask_b32_e32 v29, v3, v5, vcc
	v_cmp_eq_u32_e64 s[8:9], 2, v28
	v_cmp_eq_u32_e64 s[10:11], 3, v28
	;; [unrolled: 1-line block ×10, first 2 shown]
	v_cndmask_b32_e32 v28, v2, v4, vcc
	v_cndmask_b32_e64 v29, v29, v7, s[8:9]
	v_cndmask_b32_e64 v28, v28, v6, s[8:9]
	;; [unrolled: 1-line block ×12, first 2 shown]
	ds_read_b64 v[30:31], v92 offset:24
	v_cndmask_b32_e64 v29, v29, v19, s[20:21]
	v_cndmask_b32_e64 v28, v28, v18, s[20:21]
	;; [unrolled: 1-line block ×8, first 2 shown]
	s_waitcnt lgkmcnt(0)
	v_fma_f64 v[26:27], v[28:29], v[30:31], v[26:27]
	s_and_saveexec_b64 s[26:27], s[6:7]
	s_cbranch_execz .LBB75_250
; %bb.241:
	v_add_u32_e32 v28, 4, v0
	v_cmp_eq_u32_e32 vcc, 1, v28
	v_cndmask_b32_e32 v29, v3, v5, vcc
	v_cmp_eq_u32_e64 s[6:7], 2, v28
	v_cmp_eq_u32_e64 s[8:9], 3, v28
	;; [unrolled: 1-line block ×10, first 2 shown]
	v_cndmask_b32_e32 v28, v2, v4, vcc
	v_cndmask_b32_e64 v29, v29, v7, s[6:7]
	v_cndmask_b32_e64 v28, v28, v6, s[6:7]
	;; [unrolled: 1-line block ×12, first 2 shown]
	ds_read_b64 v[30:31], v92 offset:32
	v_cndmask_b32_e64 v29, v29, v19, s[18:19]
	v_cndmask_b32_e64 v28, v28, v18, s[18:19]
	;; [unrolled: 1-line block ×8, first 2 shown]
	s_waitcnt lgkmcnt(0)
	v_fma_f64 v[26:27], v[28:29], v[30:31], v[26:27]
	v_cmp_ne_u32_e32 vcc, 4, v0
	s_and_saveexec_b64 s[38:39], vcc
	s_cbranch_execz .LBB75_249
; %bb.242:
	v_add_u32_e32 v28, 5, v0
	v_cmp_eq_u32_e32 vcc, 1, v28
	v_cndmask_b32_e32 v29, v3, v5, vcc
	v_cmp_eq_u32_e64 s[6:7], 2, v28
	v_cmp_eq_u32_e64 s[8:9], 3, v28
	;; [unrolled: 1-line block ×10, first 2 shown]
	v_cndmask_b32_e32 v28, v2, v4, vcc
	v_cndmask_b32_e64 v29, v29, v7, s[6:7]
	v_cndmask_b32_e64 v28, v28, v6, s[6:7]
	;; [unrolled: 1-line block ×12, first 2 shown]
	ds_read_b64 v[30:31], v92 offset:40
	v_cndmask_b32_e64 v29, v29, v19, s[18:19]
	v_cndmask_b32_e64 v28, v28, v18, s[18:19]
	;; [unrolled: 1-line block ×8, first 2 shown]
	s_waitcnt lgkmcnt(0)
	v_fma_f64 v[26:27], v[28:29], v[30:31], v[26:27]
	s_and_saveexec_b64 s[24:25], s[4:5]
	s_cbranch_execz .LBB75_248
; %bb.243:
	v_add_u32_e32 v28, 6, v0
	v_cmp_eq_u32_e32 vcc, 1, v28
	v_cndmask_b32_e32 v29, v3, v5, vcc
	v_cmp_eq_u32_e64 s[4:5], 2, v28
	v_cmp_eq_u32_e64 s[6:7], 3, v28
	;; [unrolled: 1-line block ×10, first 2 shown]
	v_cndmask_b32_e32 v28, v2, v4, vcc
	v_cndmask_b32_e64 v29, v29, v7, s[4:5]
	v_cndmask_b32_e64 v28, v28, v6, s[4:5]
	;; [unrolled: 1-line block ×12, first 2 shown]
	ds_read_b64 v[30:31], v92 offset:48
	v_cndmask_b32_e64 v29, v29, v19, s[16:17]
	v_cndmask_b32_e64 v28, v28, v18, s[16:17]
	;; [unrolled: 1-line block ×8, first 2 shown]
	s_waitcnt lgkmcnt(0)
	v_fma_f64 v[26:27], v[28:29], v[30:31], v[26:27]
	v_cmp_ne_u32_e32 vcc, 2, v0
	s_and_saveexec_b64 s[40:41], vcc
	s_cbranch_execz .LBB75_247
; %bb.244:
	v_add_u32_e32 v28, 7, v0
	v_cmp_eq_u32_e32 vcc, 1, v28
	v_cndmask_b32_e32 v29, v3, v5, vcc
	v_cmp_eq_u32_e64 s[4:5], 2, v28
	v_cndmask_b32_e64 v29, v29, v7, s[4:5]
	v_cmp_eq_u32_e64 s[6:7], 3, v28
	v_cndmask_b32_e64 v29, v29, v9, s[6:7]
	v_cmp_eq_u32_e64 s[8:9], 4, v28
	v_cmp_eq_u32_e64 s[10:11], 5, v28
	;; [unrolled: 1-line block ×8, first 2 shown]
	v_cndmask_b32_e32 v28, v2, v4, vcc
	v_cndmask_b32_e64 v29, v29, v11, s[8:9]
	v_cndmask_b32_e64 v28, v28, v6, s[4:5]
	;; [unrolled: 1-line block ×12, first 2 shown]
	ds_read_b64 v[28:29], v92 offset:56
	v_cndmask_b32_e64 v30, v30, v18, s[16:17]
	v_cndmask_b32_e64 v20, v30, v20, s[18:19]
	;; [unrolled: 1-line block ×6, first 2 shown]
	s_waitcnt lgkmcnt(0)
	v_fma_f64 v[26:27], v[20:21], v[28:29], v[26:27]
	s_and_saveexec_b64 s[4:5], s[2:3]
	s_cbranch_execz .LBB75_246
; %bb.245:
	ds_read_b64 v[20:21], v92 offset:64
	s_waitcnt lgkmcnt(0)
	v_fma_f64 v[26:27], v[18:19], v[20:21], v[26:27]
.LBB75_246:
	s_or_b64 exec, exec, s[4:5]
.LBB75_247:
	s_or_b64 exec, exec, s[40:41]
.LBB75_248:
	s_or_b64 exec, exec, s[24:25]
.LBB75_249:
	s_or_b64 exec, exec, s[38:39]
.LBB75_250:
	s_or_b64 exec, exec, s[26:27]
.LBB75_251:
	s_or_b64 exec, exec, s[36:37]
.LBB75_252:
	s_or_b64 exec, exec, s[28:29]
.LBB75_253:
	s_or_b64 exec, exec, s[34:35]
	v_mov_b32_e32 v20, 0
	ds_read_b64 v[20:21], v20 offset:72
	s_waitcnt lgkmcnt(0)
	v_mul_f64 v[20:21], v[26:27], v[20:21]
.LBB75_254:
	s_or_b64 exec, exec, s[30:31]
	v_cmp_gt_u32_e64 s[2:3], 10, v0
	ds_write_b64 v92, v[22:23]
	s_waitcnt lgkmcnt(0)
	; wave barrier
	s_and_saveexec_b64 s[24:25], s[2:3]
	s_cbranch_execz .LBB75_264
; %bb.255:
	s_and_b64 vcc, exec, s[0:1]
	s_cbranch_vccnz .LBB75_257
; %bb.256:
	v_cmp_eq_u32_e32 vcc, 1, v0
	v_cndmask_b32_e32 v26, v3, v5, vcc
	v_cmp_eq_u32_e64 s[4:5], 2, v0
	v_cndmask_b32_e64 v26, v26, v7, s[4:5]
	v_cmp_eq_u32_e64 s[6:7], 3, v0
	v_cndmask_b32_e64 v26, v26, v9, s[6:7]
	v_cmp_eq_u32_e64 s[8:9], 4, v0
	v_cndmask_b32_e64 v26, v26, v11, s[8:9]
	v_cmp_eq_u32_e64 s[10:11], 5, v0
	v_cndmask_b32_e64 v26, v26, v13, s[10:11]
	v_cmp_eq_u32_e64 s[12:13], 6, v0
	v_cndmask_b32_e64 v26, v26, v15, s[12:13]
	v_cmp_eq_u32_e64 s[14:15], 7, v0
	v_cndmask_b32_e64 v26, v26, v17, s[14:15]
	v_cmp_eq_u32_e64 s[16:17], 8, v0
	v_cndmask_b32_e64 v26, v26, v19, s[16:17]
	v_cmp_eq_u32_e64 s[18:19], 9, v0
	v_cndmask_b32_e64 v26, v26, v21, s[18:19]
	v_cmp_eq_u32_e64 s[20:21], 10, v0
	v_cndmask_b32_e64 v26, v26, v23, s[20:21]
	v_cmp_eq_u32_e64 s[22:23], 11, v0
	v_cndmask_b32_e64 v27, v26, v25, s[22:23]
	v_cndmask_b32_e32 v26, v2, v4, vcc
	v_cndmask_b32_e64 v26, v26, v6, s[4:5]
	v_cndmask_b32_e64 v26, v26, v8, s[6:7]
	;; [unrolled: 1-line block ×6, first 2 shown]
	ds_read_b64 v[28:29], v92
	v_cndmask_b32_e64 v26, v26, v18, s[16:17]
	v_cndmask_b32_e64 v26, v26, v20, s[18:19]
	v_cndmask_b32_e64 v26, v26, v22, s[20:21]
	v_cndmask_b32_e64 v26, v26, v24, s[22:23]
	s_waitcnt lgkmcnt(0)
	v_mul_f64 v[26:27], v[26:27], v[28:29]
	s_cbranch_execz .LBB75_258
	s_branch .LBB75_259
.LBB75_257:
                                        ; implicit-def: $vgpr26_vgpr27
.LBB75_258:
	ds_read_b64 v[26:27], v92
.LBB75_259:
	v_cmp_ne_u32_e32 vcc, 9, v0
	s_and_saveexec_b64 s[6:7], vcc
	s_cbranch_execz .LBB75_263
; %bb.260:
	v_mov_b32_e32 v28, 0x68
	v_lshl_add_u32 v30, v0, 3, v28
	v_mov_b32_e32 v29, v1
	s_mov_b64 s[8:9], 0
	v_mov_b32_e32 v28, v0
.LBB75_261:                             ; =>This Inner Loop Header: Depth=1
	v_add_co_u32_e32 v28, vcc, 1, v28
	v_addc_co_u32_e32 v29, vcc, 0, v29, vcc
	v_cmp_eq_u32_e32 vcc, 1, v28
	v_cndmask_b32_e32 v33, v3, v5, vcc
	v_cmp_eq_u32_e64 s[4:5], 2, v28
	v_cndmask_b32_e64 v33, v33, v7, s[4:5]
	v_cndmask_b32_e32 v34, v2, v4, vcc
	v_cmp_eq_u32_e32 vcc, 3, v28
	v_cndmask_b32_e32 v33, v33, v9, vcc
	v_cndmask_b32_e64 v34, v34, v6, s[4:5]
	v_cmp_eq_u32_e64 s[4:5], 4, v28
	v_cndmask_b32_e64 v33, v33, v11, s[4:5]
	v_cndmask_b32_e32 v34, v34, v8, vcc
	v_cmp_eq_u32_e32 vcc, 5, v28
	v_cndmask_b32_e32 v33, v33, v13, vcc
	v_cndmask_b32_e64 v34, v34, v10, s[4:5]
	;; [unrolled: 6-line block ×3, first 2 shown]
	v_cmp_eq_u32_e64 s[4:5], 8, v28
	ds_read_b64 v[31:32], v30
	v_cndmask_b32_e64 v33, v33, v19, s[4:5]
	v_cndmask_b32_e32 v34, v34, v16, vcc
	v_cmp_eq_u32_e32 vcc, 9, v28
	v_cndmask_b32_e32 v33, v33, v21, vcc
	v_cndmask_b32_e64 v34, v34, v18, s[4:5]
	v_cmp_eq_u32_e64 s[4:5], 10, v28
	v_cndmask_b32_e64 v33, v33, v23, s[4:5]
	v_cndmask_b32_e32 v35, v34, v20, vcc
	v_cmp_eq_u32_e32 vcc, 11, v28
	v_cndmask_b32_e32 v34, v33, v25, vcc
	v_cndmask_b32_e64 v33, v35, v22, s[4:5]
	v_cndmask_b32_e32 v33, v33, v24, vcc
	s_waitcnt lgkmcnt(0)
	v_fma_f64 v[26:27], v[33:34], v[31:32], v[26:27]
	v_cmp_lt_u32_e32 vcc, 8, v28
	s_or_b64 s[8:9], vcc, s[8:9]
	v_add_u32_e32 v30, 8, v30
	s_andn2_b64 exec, exec, s[8:9]
	s_cbranch_execnz .LBB75_261
; %bb.262:
	s_or_b64 exec, exec, s[8:9]
.LBB75_263:
	s_or_b64 exec, exec, s[6:7]
	v_mov_b32_e32 v22, 0
	ds_read_b64 v[22:23], v22 offset:80
	s_waitcnt lgkmcnt(0)
	v_mul_f64 v[22:23], v[26:27], v[22:23]
.LBB75_264:
	s_or_b64 exec, exec, s[24:25]
	v_cmp_ne_u32_e32 vcc, 11, v0
	ds_write_b64 v92, v[24:25]
	s_waitcnt lgkmcnt(0)
	; wave barrier
	s_and_saveexec_b64 s[22:23], vcc
	s_cbranch_execz .LBB75_274
; %bb.265:
	s_and_b64 vcc, exec, s[0:1]
	s_cbranch_vccnz .LBB75_267
; %bb.266:
	v_cmp_eq_u32_e32 vcc, 1, v0
	v_cndmask_b32_e32 v26, v3, v5, vcc
	v_cmp_eq_u32_e64 s[0:1], 2, v0
	v_cndmask_b32_e64 v26, v26, v7, s[0:1]
	v_cmp_eq_u32_e64 s[4:5], 3, v0
	v_cndmask_b32_e64 v26, v26, v9, s[4:5]
	;; [unrolled: 2-line block ×10, first 2 shown]
	v_cndmask_b32_e32 v26, v2, v4, vcc
	v_cndmask_b32_e64 v26, v26, v6, s[0:1]
	v_cndmask_b32_e64 v26, v26, v8, s[4:5]
	;; [unrolled: 1-line block ×6, first 2 shown]
	ds_read_b64 v[28:29], v92
	v_cndmask_b32_e64 v26, v26, v18, s[14:15]
	v_cndmask_b32_e64 v26, v26, v20, s[16:17]
	;; [unrolled: 1-line block ×4, first 2 shown]
	s_waitcnt lgkmcnt(0)
	v_mul_f64 v[26:27], v[26:27], v[28:29]
	s_cbranch_execz .LBB75_268
	s_branch .LBB75_269
.LBB75_267:
                                        ; implicit-def: $vgpr26_vgpr27
.LBB75_268:
	ds_read_b64 v[26:27], v92
.LBB75_269:
	s_and_saveexec_b64 s[4:5], s[2:3]
	s_cbranch_execz .LBB75_273
; %bb.270:
	v_mov_b32_e32 v28, 0x68
	v_lshl_add_u32 v28, v0, 3, v28
	s_mov_b64 s[2:3], 0
.LBB75_271:                             ; =>This Inner Loop Header: Depth=1
	v_add_co_u32_e32 v0, vcc, 1, v0
	v_addc_co_u32_e32 v1, vcc, 0, v1, vcc
	v_cmp_eq_u32_e32 vcc, 1, v0
	v_cndmask_b32_e32 v31, v3, v5, vcc
	v_cmp_eq_u32_e64 s[0:1], 2, v0
	v_cndmask_b32_e64 v31, v31, v7, s[0:1]
	v_cndmask_b32_e32 v32, v2, v4, vcc
	v_cmp_eq_u32_e32 vcc, 3, v0
	v_cndmask_b32_e32 v31, v31, v9, vcc
	v_cndmask_b32_e64 v32, v32, v6, s[0:1]
	v_cmp_eq_u32_e64 s[0:1], 4, v0
	v_cndmask_b32_e64 v31, v31, v11, s[0:1]
	v_cndmask_b32_e32 v32, v32, v8, vcc
	v_cmp_eq_u32_e32 vcc, 5, v0
	v_cndmask_b32_e32 v31, v31, v13, vcc
	v_cndmask_b32_e64 v32, v32, v10, s[0:1]
	;; [unrolled: 6-line block ×3, first 2 shown]
	v_cmp_eq_u32_e64 s[0:1], 8, v0
	ds_read_b64 v[29:30], v28
	v_cndmask_b32_e64 v31, v31, v19, s[0:1]
	v_cndmask_b32_e32 v32, v32, v16, vcc
	v_cmp_eq_u32_e32 vcc, 9, v0
	v_cndmask_b32_e32 v31, v31, v21, vcc
	v_cndmask_b32_e64 v32, v32, v18, s[0:1]
	v_cmp_eq_u32_e64 s[0:1], 10, v0
	v_cndmask_b32_e64 v31, v31, v23, s[0:1]
	v_cndmask_b32_e32 v33, v32, v20, vcc
	v_cmp_eq_u32_e32 vcc, 11, v0
	v_cndmask_b32_e32 v32, v31, v25, vcc
	v_cndmask_b32_e64 v31, v33, v22, s[0:1]
	v_cndmask_b32_e32 v31, v31, v24, vcc
	s_waitcnt lgkmcnt(0)
	v_fma_f64 v[26:27], v[31:32], v[29:30], v[26:27]
	v_cmp_lt_u32_e32 vcc, 9, v0
	s_or_b64 s[2:3], vcc, s[2:3]
	v_add_u32_e32 v28, 8, v28
	s_andn2_b64 exec, exec, s[2:3]
	s_cbranch_execnz .LBB75_271
; %bb.272:
	s_or_b64 exec, exec, s[2:3]
.LBB75_273:
	s_or_b64 exec, exec, s[4:5]
	v_mov_b32_e32 v0, 0
	ds_read_b64 v[0:1], v0 offset:88
	s_waitcnt lgkmcnt(0)
	v_mul_f64 v[24:25], v[26:27], v[0:1]
.LBB75_274:
	s_or_b64 exec, exec, s[22:23]
	v_mov_b32_e32 v65, v33
	v_mov_b32_e32 v64, v32
	v_mov_b32_e32 v63, v31
	v_mov_b32_e32 v62, v30
	v_mov_b32_e32 v61, v29
	v_mov_b32_e32 v60, v28
	v_mov_b32_e32 v59, v27
	v_mov_b32_e32 v58, v26
	v_mov_b32_e32 v57, v25
	v_mov_b32_e32 v56, v24
	v_mov_b32_e32 v55, v23
	v_mov_b32_e32 v54, v22
	v_mov_b32_e32 v53, v21
	v_mov_b32_e32 v52, v20
	v_mov_b32_e32 v51, v19
	v_mov_b32_e32 v50, v18
	v_mov_b32_e32 v49, v17
	v_mov_b32_e32 v48, v16
	v_mov_b32_e32 v47, v15
	v_mov_b32_e32 v46, v14
	v_mov_b32_e32 v45, v13
	v_mov_b32_e32 v44, v12
	v_mov_b32_e32 v43, v11
	v_mov_b32_e32 v42, v10
	v_mov_b32_e32 v41, v9
	v_mov_b32_e32 v40, v8
	v_mov_b32_e32 v39, v7
	v_mov_b32_e32 v38, v6
	v_mov_b32_e32 v37, v5
	v_mov_b32_e32 v36, v4
	v_mov_b32_e32 v35, v3
	v_mov_b32_e32 v34, v2
.LBB75_275:
	flat_store_dwordx2 v[86:87], v[34:35]
	flat_store_dwordx2 v[88:89], v[36:37]
	;; [unrolled: 1-line block ×12, first 2 shown]
.LBB75_276:
	s_endpgm
	.section	.rodata,"a",@progbits
	.p2align	6, 0x0
	.amdhsa_kernel _ZN9rocsolver6v33100L18trti2_kernel_smallILi12EdPKPdEEv13rocblas_fill_17rocblas_diagonal_T1_iil
		.amdhsa_group_segment_fixed_size 192
		.amdhsa_private_segment_fixed_size 0
		.amdhsa_kernarg_size 32
		.amdhsa_user_sgpr_count 6
		.amdhsa_user_sgpr_private_segment_buffer 1
		.amdhsa_user_sgpr_dispatch_ptr 0
		.amdhsa_user_sgpr_queue_ptr 0
		.amdhsa_user_sgpr_kernarg_segment_ptr 1
		.amdhsa_user_sgpr_dispatch_id 0
		.amdhsa_user_sgpr_flat_scratch_init 0
		.amdhsa_user_sgpr_private_segment_size 0
		.amdhsa_uses_dynamic_stack 0
		.amdhsa_system_sgpr_private_segment_wavefront_offset 0
		.amdhsa_system_sgpr_workgroup_id_x 1
		.amdhsa_system_sgpr_workgroup_id_y 0
		.amdhsa_system_sgpr_workgroup_id_z 0
		.amdhsa_system_sgpr_workgroup_info 0
		.amdhsa_system_vgpr_workitem_id 0
		.amdhsa_next_free_vgpr 112
		.amdhsa_next_free_sgpr 42
		.amdhsa_reserve_vcc 1
		.amdhsa_reserve_flat_scratch 0
		.amdhsa_float_round_mode_32 0
		.amdhsa_float_round_mode_16_64 0
		.amdhsa_float_denorm_mode_32 3
		.amdhsa_float_denorm_mode_16_64 3
		.amdhsa_dx10_clamp 1
		.amdhsa_ieee_mode 1
		.amdhsa_fp16_overflow 0
		.amdhsa_exception_fp_ieee_invalid_op 0
		.amdhsa_exception_fp_denorm_src 0
		.amdhsa_exception_fp_ieee_div_zero 0
		.amdhsa_exception_fp_ieee_overflow 0
		.amdhsa_exception_fp_ieee_underflow 0
		.amdhsa_exception_fp_ieee_inexact 0
		.amdhsa_exception_int_div_zero 0
	.end_amdhsa_kernel
	.section	.text._ZN9rocsolver6v33100L18trti2_kernel_smallILi12EdPKPdEEv13rocblas_fill_17rocblas_diagonal_T1_iil,"axG",@progbits,_ZN9rocsolver6v33100L18trti2_kernel_smallILi12EdPKPdEEv13rocblas_fill_17rocblas_diagonal_T1_iil,comdat
.Lfunc_end75:
	.size	_ZN9rocsolver6v33100L18trti2_kernel_smallILi12EdPKPdEEv13rocblas_fill_17rocblas_diagonal_T1_iil, .Lfunc_end75-_ZN9rocsolver6v33100L18trti2_kernel_smallILi12EdPKPdEEv13rocblas_fill_17rocblas_diagonal_T1_iil
                                        ; -- End function
	.set _ZN9rocsolver6v33100L18trti2_kernel_smallILi12EdPKPdEEv13rocblas_fill_17rocblas_diagonal_T1_iil.num_vgpr, 112
	.set _ZN9rocsolver6v33100L18trti2_kernel_smallILi12EdPKPdEEv13rocblas_fill_17rocblas_diagonal_T1_iil.num_agpr, 0
	.set _ZN9rocsolver6v33100L18trti2_kernel_smallILi12EdPKPdEEv13rocblas_fill_17rocblas_diagonal_T1_iil.numbered_sgpr, 42
	.set _ZN9rocsolver6v33100L18trti2_kernel_smallILi12EdPKPdEEv13rocblas_fill_17rocblas_diagonal_T1_iil.num_named_barrier, 0
	.set _ZN9rocsolver6v33100L18trti2_kernel_smallILi12EdPKPdEEv13rocblas_fill_17rocblas_diagonal_T1_iil.private_seg_size, 0
	.set _ZN9rocsolver6v33100L18trti2_kernel_smallILi12EdPKPdEEv13rocblas_fill_17rocblas_diagonal_T1_iil.uses_vcc, 1
	.set _ZN9rocsolver6v33100L18trti2_kernel_smallILi12EdPKPdEEv13rocblas_fill_17rocblas_diagonal_T1_iil.uses_flat_scratch, 0
	.set _ZN9rocsolver6v33100L18trti2_kernel_smallILi12EdPKPdEEv13rocblas_fill_17rocblas_diagonal_T1_iil.has_dyn_sized_stack, 0
	.set _ZN9rocsolver6v33100L18trti2_kernel_smallILi12EdPKPdEEv13rocblas_fill_17rocblas_diagonal_T1_iil.has_recursion, 0
	.set _ZN9rocsolver6v33100L18trti2_kernel_smallILi12EdPKPdEEv13rocblas_fill_17rocblas_diagonal_T1_iil.has_indirect_call, 0
	.section	.AMDGPU.csdata,"",@progbits
; Kernel info:
; codeLenInByte = 20512
; TotalNumSgprs: 46
; NumVgprs: 112
; ScratchSize: 0
; MemoryBound: 0
; FloatMode: 240
; IeeeMode: 1
; LDSByteSize: 192 bytes/workgroup (compile time only)
; SGPRBlocks: 5
; VGPRBlocks: 27
; NumSGPRsForWavesPerEU: 46
; NumVGPRsForWavesPerEU: 112
; Occupancy: 2
; WaveLimiterHint : 1
; COMPUTE_PGM_RSRC2:SCRATCH_EN: 0
; COMPUTE_PGM_RSRC2:USER_SGPR: 6
; COMPUTE_PGM_RSRC2:TRAP_HANDLER: 0
; COMPUTE_PGM_RSRC2:TGID_X_EN: 1
; COMPUTE_PGM_RSRC2:TGID_Y_EN: 0
; COMPUTE_PGM_RSRC2:TGID_Z_EN: 0
; COMPUTE_PGM_RSRC2:TIDIG_COMP_CNT: 0
	.section	.text._ZN9rocsolver6v33100L18trti2_kernel_smallILi13EdPKPdEEv13rocblas_fill_17rocblas_diagonal_T1_iil,"axG",@progbits,_ZN9rocsolver6v33100L18trti2_kernel_smallILi13EdPKPdEEv13rocblas_fill_17rocblas_diagonal_T1_iil,comdat
	.globl	_ZN9rocsolver6v33100L18trti2_kernel_smallILi13EdPKPdEEv13rocblas_fill_17rocblas_diagonal_T1_iil ; -- Begin function _ZN9rocsolver6v33100L18trti2_kernel_smallILi13EdPKPdEEv13rocblas_fill_17rocblas_diagonal_T1_iil
	.p2align	8
	.type	_ZN9rocsolver6v33100L18trti2_kernel_smallILi13EdPKPdEEv13rocblas_fill_17rocblas_diagonal_T1_iil,@function
_ZN9rocsolver6v33100L18trti2_kernel_smallILi13EdPKPdEEv13rocblas_fill_17rocblas_diagonal_T1_iil: ; @_ZN9rocsolver6v33100L18trti2_kernel_smallILi13EdPKPdEEv13rocblas_fill_17rocblas_diagonal_T1_iil
; %bb.0:
	v_cmp_gt_u32_e32 vcc, 13, v0
	s_and_saveexec_b64 s[0:1], vcc
	s_cbranch_execz .LBB76_302
; %bb.1:
	s_load_dwordx2 s[0:1], s[4:5], 0x10
	s_load_dwordx4 s[24:27], s[4:5], 0x0
	s_ashr_i32 s7, s6, 31
	s_lshl_b64 s[2:3], s[6:7], 3
	v_lshlrev_b32_e32 v36, 3, v0
	s_waitcnt lgkmcnt(0)
	s_ashr_i32 s5, s0, 31
	s_add_u32 s2, s26, s2
	s_addc_u32 s3, s27, s3
	s_load_dwordx2 s[2:3], s[2:3], 0x0
	s_mov_b32 s4, s0
	s_lshl_b64 s[4:5], s[4:5], 3
	v_mov_b32_e32 v34, 0
	v_mov_b32_e32 v35, 0xbff00000
	s_waitcnt lgkmcnt(0)
	s_add_u32 s0, s2, s4
	s_addc_u32 s2, s3, s5
	s_add_i32 s3, s1, s1
	v_add_u32_e32 v1, s3, v0
	v_ashrrev_i32_e32 v2, 31, v1
	v_lshlrev_b64 v[2:3], 3, v[1:2]
	v_add_u32_e32 v1, s1, v1
	v_mov_b32_e32 v4, s2
	v_add_co_u32_e32 v66, vcc, s0, v2
	v_ashrrev_i32_e32 v2, 31, v1
	v_addc_co_u32_e32 v67, vcc, v4, v3, vcc
	v_lshlrev_b64 v[2:3], 3, v[1:2]
	v_add_u32_e32 v1, s1, v1
	v_add_co_u32_e32 v68, vcc, s0, v2
	v_ashrrev_i32_e32 v2, 31, v1
	v_addc_co_u32_e32 v69, vcc, v4, v3, vcc
	v_lshlrev_b64 v[2:3], 3, v[1:2]
	v_add_u32_e32 v1, s1, v1
	v_add_co_u32_e32 v70, vcc, s0, v2
	v_ashrrev_i32_e32 v2, 31, v1
	v_addc_co_u32_e32 v71, vcc, v4, v3, vcc
	v_lshlrev_b64 v[2:3], 3, v[1:2]
	v_add_u32_e32 v1, s1, v1
	v_add_co_u32_e32 v72, vcc, s0, v2
	v_ashrrev_i32_e32 v2, 31, v1
	v_addc_co_u32_e32 v73, vcc, v4, v3, vcc
	v_lshlrev_b64 v[2:3], 3, v[1:2]
	v_add_u32_e32 v1, s1, v1
	v_add_co_u32_e32 v74, vcc, s0, v2
	v_ashrrev_i32_e32 v2, 31, v1
	v_addc_co_u32_e32 v75, vcc, v4, v3, vcc
	v_lshlrev_b64 v[2:3], 3, v[1:2]
	v_add_u32_e32 v1, s1, v1
	v_add_co_u32_e32 v76, vcc, s0, v2
	v_ashrrev_i32_e32 v2, 31, v1
	v_addc_co_u32_e32 v77, vcc, v4, v3, vcc
	v_lshlrev_b64 v[2:3], 3, v[1:2]
	v_add_u32_e32 v1, s1, v1
	v_add_co_u32_e32 v78, vcc, s0, v2
	v_ashrrev_i32_e32 v2, 31, v1
	v_addc_co_u32_e32 v79, vcc, v4, v3, vcc
	v_lshlrev_b64 v[2:3], 3, v[1:2]
	v_add_u32_e32 v1, s1, v1
	v_add_co_u32_e32 v80, vcc, s0, v2
	v_ashrrev_i32_e32 v2, 31, v1
	v_addc_co_u32_e32 v81, vcc, v4, v3, vcc
	v_lshlrev_b64 v[2:3], 3, v[1:2]
	v_add_u32_e32 v1, s1, v1
	v_add_co_u32_e32 v82, vcc, s0, v2
	v_ashrrev_i32_e32 v2, 31, v1
	v_addc_co_u32_e32 v83, vcc, v4, v3, vcc
	v_lshlrev_b64 v[2:3], 3, v[1:2]
	v_add_u32_e32 v1, s1, v1
	v_add_co_u32_e32 v84, vcc, s0, v2
	v_ashrrev_i32_e32 v2, 31, v1
	v_lshlrev_b64 v[1:2], 3, v[1:2]
	v_addc_co_u32_e32 v85, vcc, v4, v3, vcc
	v_mov_b32_e32 v3, s2
	v_add_co_u32_e32 v86, vcc, s0, v1
	v_addc_co_u32_e32 v87, vcc, v3, v2, vcc
	v_mov_b32_e32 v1, s2
	v_add_co_u32_e32 v88, vcc, s0, v36
	s_ashr_i32 s3, s1, 31
	s_mov_b32 s2, s1
	v_addc_co_u32_e32 v89, vcc, 0, v1, vcc
	s_lshl_b64 s[0:1], s[2:3], 3
	v_mov_b32_e32 v1, s1
	v_add_co_u32_e32 v90, vcc, s0, v88
	v_addc_co_u32_e32 v91, vcc, v89, v1, vcc
	flat_load_dwordx2 v[2:3], v[88:89]
	flat_load_dwordx2 v[4:5], v[90:91]
	;; [unrolled: 1-line block ×13, first 2 shown]
	s_cmpk_lg_i32 s25, 0x84
	s_cselect_b64 s[26:27], -1, 0
	s_cmpk_eq_i32 s25, 0x84
	v_mov_b32_e32 v1, 0
	s_cbranch_scc1 .LBB76_3
; %bb.2:
	v_cmp_eq_u32_e64 s[0:1], 1, v0
	s_waitcnt vmcnt(0) lgkmcnt(0)
	v_cndmask_b32_e64 v28, v3, v5, s[0:1]
	v_cmp_eq_u32_e64 s[2:3], 2, v0
	v_cndmask_b32_e64 v28, v28, v7, s[2:3]
	v_cmp_eq_u32_e64 s[4:5], 3, v0
	;; [unrolled: 2-line block ×11, first 2 shown]
	v_cndmask_b32_e64 v29, v28, v27, s[22:23]
	v_cndmask_b32_e64 v28, v2, v4, s[0:1]
	;; [unrolled: 1-line block ×13, first 2 shown]
	v_div_scale_f64 v[30:31], s[28:29], v[28:29], v[28:29], 1.0
	v_rcp_f64_e32 v[32:33], v[30:31]
	v_fma_f64 v[34:35], -v[30:31], v[32:33], 1.0
	v_fma_f64 v[32:33], v[32:33], v[34:35], v[32:33]
	v_div_scale_f64 v[34:35], vcc, 1.0, v[28:29], 1.0
	v_fma_f64 v[37:38], -v[30:31], v[32:33], 1.0
	v_fma_f64 v[32:33], v[32:33], v[37:38], v[32:33]
	v_mul_f64 v[37:38], v[34:35], v[32:33]
	v_fma_f64 v[30:31], -v[30:31], v[37:38], v[34:35]
	v_div_fmas_f64 v[30:31], v[30:31], v[32:33], v[37:38]
	v_cmp_eq_u32_e32 vcc, 0, v0
	v_div_fixup_f64 v[34:35], v[30:31], v[28:29], 1.0
	v_cndmask_b32_e64 v27, v27, v35, s[22:23]
	v_cndmask_b32_e64 v26, v26, v34, s[22:23]
	;; [unrolled: 1-line block ×24, first 2 shown]
	v_cndmask_b32_e32 v3, v3, v35, vcc
	v_cndmask_b32_e32 v2, v2, v34, vcc
	v_xor_b32_e32 v35, 0x80000000, v35
.LBB76_3:
	s_cmpk_eq_i32 s24, 0x79
	v_add_u32_e32 v94, 0x70, v36
	ds_write_b64 v36, v[34:35]
	s_cbranch_scc1 .LBB76_7
; %bb.4:
	s_waitcnt vmcnt(0) lgkmcnt(0)
	v_mov_b32_e32 v65, v33
	v_mov_b32_e32 v64, v32
	;; [unrolled: 1-line block ×32, first 2 shown]
	v_cmp_eq_u32_e64 s[2:3], 12, v0
	ds_write_b64 v94, v[24:25]
	s_waitcnt lgkmcnt(0)
	; wave barrier
	s_and_saveexec_b64 s[24:25], s[2:3]
	s_cbranch_execz .LBB76_11
; %bb.5:
	s_and_b64 vcc, exec, s[26:27]
	s_cbranch_vccz .LBB76_8
; %bb.6:
	v_cmp_eq_u32_e32 vcc, 1, v0
	v_cndmask_b32_e32 v34, v3, v5, vcc
	v_cmp_eq_u32_e64 s[0:1], 2, v0
	v_cndmask_b32_e64 v34, v34, v7, s[0:1]
	v_cmp_eq_u32_e64 s[4:5], 3, v0
	v_cndmask_b32_e64 v34, v34, v9, s[4:5]
	;; [unrolled: 2-line block ×11, first 2 shown]
	v_cndmask_b32_e32 v34, v2, v4, vcc
	v_cndmask_b32_e64 v34, v34, v6, s[0:1]
	v_cndmask_b32_e64 v34, v34, v8, s[4:5]
	;; [unrolled: 1-line block ×7, first 2 shown]
	ds_read_b64 v[36:37], v94
	v_cndmask_b32_e64 v34, v34, v20, s[16:17]
	v_cndmask_b32_e64 v34, v34, v22, s[18:19]
	;; [unrolled: 1-line block ×4, first 2 shown]
	s_waitcnt lgkmcnt(0)
	v_mul_f64 v[38:39], v[34:35], v[36:37]
	s_cbranch_execz .LBB76_9
	s_branch .LBB76_10
.LBB76_7:
                                        ; implicit-def: $vgpr34_vgpr35_vgpr36_vgpr37_vgpr38_vgpr39_vgpr40_vgpr41_vgpr42_vgpr43_vgpr44_vgpr45_vgpr46_vgpr47_vgpr48_vgpr49_vgpr50_vgpr51_vgpr52_vgpr53_vgpr54_vgpr55_vgpr56_vgpr57_vgpr58_vgpr59_vgpr60_vgpr61_vgpr62_vgpr63_vgpr64_vgpr65
	s_cbranch_execnz .LBB76_178
	s_branch .LBB76_301
.LBB76_8:
                                        ; implicit-def: $vgpr38_vgpr39
.LBB76_9:
	ds_read_b64 v[38:39], v94
.LBB76_10:
	v_mov_b32_e32 v34, 0
	ds_read_b64 v[40:41], v34 offset:88
	v_mov_b32_e32 v34, v2
	v_mov_b32_e32 v35, v3
	;; [unrolled: 1-line block ×4, first 2 shown]
	s_waitcnt lgkmcnt(0)
	v_mul_f64 v[56:57], v[38:39], v[40:41]
	v_mov_b32_e32 v38, v6
	v_mov_b32_e32 v39, v7
	v_mov_b32_e32 v40, v8
	v_mov_b32_e32 v41, v9
	v_mov_b32_e32 v42, v10
	v_mov_b32_e32 v43, v11
	v_mov_b32_e32 v44, v12
	v_mov_b32_e32 v45, v13
	v_mov_b32_e32 v46, v14
	v_mov_b32_e32 v47, v15
	v_mov_b32_e32 v48, v16
	v_mov_b32_e32 v49, v17
	v_mov_b32_e32 v50, v18
	v_mov_b32_e32 v51, v19
	v_mov_b32_e32 v52, v20
	v_mov_b32_e32 v53, v21
	v_mov_b32_e32 v54, v22
	v_mov_b32_e32 v55, v23
	v_mov_b32_e32 v58, v26
	v_mov_b32_e32 v59, v27
.LBB76_11:
	s_or_b64 exec, exec, s[24:25]
	v_cmp_lt_u32_e64 s[0:1], 10, v0
	ds_write_b64 v94, v[54:55]
	s_waitcnt lgkmcnt(0)
	; wave barrier
	s_and_saveexec_b64 s[28:29], s[0:1]
	s_cbranch_execz .LBB76_17
; %bb.12:
	s_andn2_b64 vcc, exec, s[26:27]
	s_cbranch_vccnz .LBB76_14
; %bb.13:
	v_cmp_eq_u32_e32 vcc, 1, v0
	v_cndmask_b32_e32 v60, v35, v37, vcc
	v_cmp_eq_u32_e64 s[4:5], 2, v0
	v_cndmask_b32_e64 v60, v60, v39, s[4:5]
	v_cmp_eq_u32_e64 s[6:7], 3, v0
	v_cndmask_b32_e64 v60, v60, v41, s[6:7]
	;; [unrolled: 2-line block ×9, first 2 shown]
	v_cndmask_b32_e32 v60, v34, v36, vcc
	v_cndmask_b32_e64 v60, v60, v38, s[4:5]
	v_cndmask_b32_e64 v60, v60, v40, s[6:7]
	;; [unrolled: 1-line block ×7, first 2 shown]
	ds_read_b64 v[60:61], v94
	v_cndmask_b32_e64 v62, v62, v52, s[18:19]
	v_cmp_eq_u32_e64 s[22:23], 11, v0
	v_cndmask_b32_e64 v54, v62, v54, s[20:21]
	v_cndmask_b32_e64 v55, v55, v57, s[22:23]
	v_cmp_eq_u32_e64 s[24:25], 12, v0
	v_cndmask_b32_e64 v54, v54, v56, s[22:23]
	v_cndmask_b32_e64 v55, v55, v59, s[24:25]
	v_cndmask_b32_e64 v54, v54, v58, s[24:25]
	s_waitcnt lgkmcnt(0)
	v_mul_f64 v[54:55], v[54:55], v[60:61]
	s_cbranch_execz .LBB76_15
	s_branch .LBB76_16
.LBB76_14:
                                        ; implicit-def: $vgpr54_vgpr55
.LBB76_15:
	ds_read_b64 v[54:55], v94
.LBB76_16:
	v_mov_b32_e32 v60, 0
	ds_read2_b64 v[60:63], v60 offset0:10 offset1:25
	s_waitcnt lgkmcnt(0)
	v_fma_f64 v[62:63], v[56:57], v[62:63], v[54:55]
	v_cndmask_b32_e64 v55, v55, v63, s[2:3]
	v_cndmask_b32_e64 v54, v54, v62, s[2:3]
	v_mul_f64 v[54:55], v[54:55], v[60:61]
.LBB76_17:
	s_or_b64 exec, exec, s[28:29]
	v_cmp_lt_u32_e64 s[2:3], 9, v0
	ds_write_b64 v94, v[52:53]
	s_waitcnt lgkmcnt(0)
	; wave barrier
	s_and_saveexec_b64 s[28:29], s[2:3]
	s_cbranch_execz .LBB76_33
; %bb.18:
	s_andn2_b64 vcc, exec, s[26:27]
	s_cbranch_vccnz .LBB76_20
; %bb.19:
	v_cmp_eq_u32_e32 vcc, 1, v0
	v_cndmask_b32_e32 v92, v35, v37, vcc
	v_cmp_eq_u32_e64 s[4:5], 2, v0
	v_cndmask_b32_e64 v92, v92, v39, s[4:5]
	v_cmp_eq_u32_e64 s[6:7], 3, v0
	v_cndmask_b32_e64 v92, v92, v41, s[6:7]
	;; [unrolled: 2-line block ×11, first 2 shown]
	v_cndmask_b32_e32 v92, v34, v36, vcc
	v_cndmask_b32_e64 v92, v92, v38, s[4:5]
	v_cndmask_b32_e64 v92, v92, v40, s[6:7]
	v_cndmask_b32_e64 v92, v92, v42, s[8:9]
	v_cndmask_b32_e64 v92, v92, v44, s[10:11]
	v_cndmask_b32_e64 v92, v92, v46, s[12:13]
	v_cndmask_b32_e64 v92, v92, v48, s[14:15]
	v_cndmask_b32_e64 v92, v92, v50, s[16:17]
	ds_read_b64 v[95:96], v94
	v_cndmask_b32_e64 v92, v92, v52, s[18:19]
	v_cndmask_b32_e64 v92, v92, v54, s[20:21]
	;; [unrolled: 1-line block ×4, first 2 shown]
	s_waitcnt lgkmcnt(0)
	v_mul_f64 v[92:93], v[92:93], v[95:96]
	s_cbranch_execz .LBB76_21
	s_branch .LBB76_22
.LBB76_20:
                                        ; implicit-def: $vgpr92_vgpr93
.LBB76_21:
	ds_read_b64 v[92:93], v94
.LBB76_22:
	s_and_saveexec_b64 s[4:5], s[0:1]
	s_cbranch_execz .LBB76_32
; %bb.23:
	v_add_u32_e32 v96, -11, v0
	v_add_u32_e32 v95, -10, v0
	v_cmp_lt_u32_e32 vcc, 6, v96
	v_mov_b32_e32 v96, 10
	s_and_saveexec_b64 s[0:1], vcc
	s_cbranch_execz .LBB76_27
; %bb.24:
	v_and_b32_e32 v96, -8, v95
	v_sub_u32_e32 v97, 0, v96
	s_mov_b64 s[6:7], 17
	s_movk_i32 s10, 0xc0
	s_mov_b64 s[8:9], 0
.LBB76_25:                              ; =>This Inner Loop Header: Depth=1
	s_lshl_b32 s11, s6, 1
	s_add_i32 s12, s11, -13
	v_mov_b32_e32 v96, s10
	s_add_i32 s13, s11, -14
	s_set_gpr_idx_on s12, gpr_idx(SRC0)
	v_mov_b32_e32 v107, v34
	s_set_gpr_idx_off
	s_set_gpr_idx_on s13, gpr_idx(SRC0)
	v_mov_b32_e32 v106, v34
	s_set_gpr_idx_off
	ds_read_b128 v[98:101], v96
	ds_read_b128 v[102:105], v96 offset:16
	s_add_i32 s12, s11, -11
	s_add_i32 s13, s11, -12
	s_waitcnt lgkmcnt(1)
	v_fma_f64 v[92:93], v[106:107], v[98:99], v[92:93]
	ds_read_b128 v[106:109], v96 offset:32
	ds_read_b128 v[110:113], v96 offset:48
	s_set_gpr_idx_on s12, gpr_idx(SRC0)
	v_mov_b32_e32 v99, v34
	s_set_gpr_idx_off
	s_set_gpr_idx_on s13, gpr_idx(SRC0)
	v_mov_b32_e32 v98, v34
	s_set_gpr_idx_off
	s_add_i32 s12, s11, -9
	s_add_i32 s13, s11, -10
	v_fma_f64 v[92:93], v[98:99], v[100:101], v[92:93]
	s_set_gpr_idx_on s12, gpr_idx(SRC0)
	v_mov_b32_e32 v99, v34
	s_set_gpr_idx_off
	s_set_gpr_idx_on s13, gpr_idx(SRC0)
	v_mov_b32_e32 v98, v34
	s_set_gpr_idx_off
	s_add_i32 s12, s11, -7
	s_add_i32 s13, s11, -8
	s_waitcnt lgkmcnt(2)
	v_fma_f64 v[92:93], v[98:99], v[102:103], v[92:93]
	s_set_gpr_idx_on s12, gpr_idx(SRC0)
	v_mov_b32_e32 v99, v34
	s_set_gpr_idx_off
	s_set_gpr_idx_on s13, gpr_idx(SRC0)
	v_mov_b32_e32 v98, v34
	s_set_gpr_idx_off
	s_add_i32 s12, s11, -5
	s_add_i32 s13, s11, -6
	v_fma_f64 v[92:93], v[98:99], v[104:105], v[92:93]
	s_set_gpr_idx_on s12, gpr_idx(SRC0)
	v_mov_b32_e32 v99, v34
	s_set_gpr_idx_off
	s_set_gpr_idx_on s13, gpr_idx(SRC0)
	v_mov_b32_e32 v98, v34
	s_set_gpr_idx_off
	s_add_i32 s12, s11, -3
	s_add_i32 s13, s11, -4
	s_waitcnt lgkmcnt(1)
	v_fma_f64 v[92:93], v[98:99], v[106:107], v[92:93]
	s_set_gpr_idx_on s12, gpr_idx(SRC0)
	v_mov_b32_e32 v99, v34
	s_set_gpr_idx_off
	s_set_gpr_idx_on s13, gpr_idx(SRC0)
	v_mov_b32_e32 v98, v34
	s_set_gpr_idx_off
	s_add_i32 s12, s11, -1
	s_add_i32 s13, s11, -2
	s_add_u32 s6, s6, 8
	v_add_u32_e32 v96, s6, v97
	s_addc_u32 s7, s7, 0
	v_fma_f64 v[92:93], v[98:99], v[108:109], v[92:93]
	s_set_gpr_idx_on s12, gpr_idx(SRC0)
	v_mov_b32_e32 v99, v34
	s_set_gpr_idx_off
	s_set_gpr_idx_on s13, gpr_idx(SRC0)
	v_mov_b32_e32 v98, v34
	s_set_gpr_idx_off
	s_add_i32 s10, s10, 64
	v_cmp_eq_u32_e32 vcc, 17, v96
	s_waitcnt lgkmcnt(0)
	v_fma_f64 v[92:93], v[98:99], v[110:111], v[92:93]
	s_set_gpr_idx_on s11, gpr_idx(SRC0)
	v_mov_b32_e32 v99, v35
	v_mov_b32_e32 v98, v34
	s_set_gpr_idx_off
	s_add_i32 s11, s6, -7
	s_or_b64 s[8:9], vcc, s[8:9]
	v_mov_b32_e32 v96, s11
	v_fma_f64 v[92:93], v[98:99], v[112:113], v[92:93]
	s_andn2_b64 exec, exec, s[8:9]
	s_cbranch_execnz .LBB76_25
; %bb.26:
	s_or_b64 exec, exec, s[8:9]
.LBB76_27:
	s_or_b64 exec, exec, s[0:1]
	v_and_b32_e32 v60, 7, v95
	v_cmp_ne_u32_e32 vcc, 0, v60
	s_and_saveexec_b64 s[6:7], vcc
	s_cbranch_execz .LBB76_31
; %bb.28:
	v_mov_b32_e32 v61, 0x70
	v_lshl_add_u32 v61, v96, 3, v61
	v_mov_b32_e32 v62, 0
	s_mov_b64 s[8:9], 0
.LBB76_29:                              ; =>This Inner Loop Header: Depth=1
	v_cmp_eq_u32_e32 vcc, 1, v96
	v_cndmask_b32_e32 v65, v35, v37, vcc
	v_cmp_eq_u32_e64 s[0:1], 2, v96
	v_cndmask_b32_e64 v65, v65, v39, s[0:1]
	v_cndmask_b32_e32 v95, v34, v36, vcc
	v_cmp_eq_u32_e32 vcc, 3, v96
	v_cndmask_b32_e32 v65, v65, v41, vcc
	v_cndmask_b32_e64 v95, v95, v38, s[0:1]
	v_cmp_eq_u32_e64 s[0:1], 4, v96
	v_cndmask_b32_e64 v65, v65, v43, s[0:1]
	v_cndmask_b32_e32 v95, v95, v40, vcc
	v_cmp_eq_u32_e32 vcc, 5, v96
	v_cndmask_b32_e32 v65, v65, v45, vcc
	v_cndmask_b32_e64 v95, v95, v42, s[0:1]
	;; [unrolled: 6-line block ×3, first 2 shown]
	v_cmp_eq_u32_e64 s[0:1], 8, v96
	v_cndmask_b32_e64 v65, v65, v51, s[0:1]
	v_cndmask_b32_e32 v95, v95, v48, vcc
	v_cmp_eq_u32_e32 vcc, 9, v96
	ds_read_b64 v[63:64], v61
	v_cndmask_b32_e32 v65, v65, v53, vcc
	v_cndmask_b32_e64 v95, v95, v50, s[0:1]
	v_cmp_eq_u32_e64 s[0:1], 10, v96
	v_cndmask_b32_e64 v65, v65, v55, s[0:1]
	v_cndmask_b32_e32 v95, v95, v52, vcc
	v_cmp_eq_u32_e32 vcc, 11, v96
	v_cndmask_b32_e32 v65, v65, v57, vcc
	v_cndmask_b32_e64 v95, v95, v54, s[0:1]
	v_cmp_eq_u32_e64 s[0:1], 12, v96
	v_cndmask_b32_e64 v98, v65, v59, s[0:1]
	v_cndmask_b32_e32 v65, v95, v56, vcc
	v_cndmask_b32_e64 v97, v65, v58, s[0:1]
	s_waitcnt lgkmcnt(0)
	v_fma_f64 v[92:93], v[97:98], v[63:64], v[92:93]
	v_add_u32_e32 v60, -1, v60
	v_cmp_eq_u32_e32 vcc, 0, v60
	s_or_b64 s[8:9], vcc, s[8:9]
	v_add_co_u32_e32 v96, vcc, 1, v96
	v_add_u32_e32 v61, 8, v61
	v_addc_co_u32_e32 v62, vcc, 0, v62, vcc
	s_andn2_b64 exec, exec, s[8:9]
	s_cbranch_execnz .LBB76_29
; %bb.30:
	s_or_b64 exec, exec, s[8:9]
.LBB76_31:
	s_or_b64 exec, exec, s[6:7]
.LBB76_32:
	s_or_b64 exec, exec, s[4:5]
	v_mov_b32_e32 v52, 0
	ds_read_b64 v[52:53], v52 offset:72
	s_waitcnt lgkmcnt(0)
	v_mul_f64 v[52:53], v[92:93], v[52:53]
.LBB76_33:
	s_or_b64 exec, exec, s[28:29]
	v_cmp_lt_u32_e64 s[0:1], 8, v0
	ds_write_b64 v94, v[50:51]
	s_waitcnt lgkmcnt(0)
	; wave barrier
	s_and_saveexec_b64 s[28:29], s[0:1]
	s_cbranch_execz .LBB76_49
; %bb.34:
	s_andn2_b64 vcc, exec, s[26:27]
	s_cbranch_vccnz .LBB76_36
; %bb.35:
	v_cmp_eq_u32_e32 vcc, 1, v0
	v_cndmask_b32_e32 v92, v35, v37, vcc
	v_cmp_eq_u32_e64 s[4:5], 2, v0
	v_cndmask_b32_e64 v92, v92, v39, s[4:5]
	v_cmp_eq_u32_e64 s[6:7], 3, v0
	v_cndmask_b32_e64 v92, v92, v41, s[6:7]
	;; [unrolled: 2-line block ×11, first 2 shown]
	v_cndmask_b32_e32 v92, v34, v36, vcc
	v_cndmask_b32_e64 v92, v92, v38, s[4:5]
	v_cndmask_b32_e64 v92, v92, v40, s[6:7]
	;; [unrolled: 1-line block ×7, first 2 shown]
	ds_read_b64 v[95:96], v94
	v_cndmask_b32_e64 v92, v92, v52, s[18:19]
	v_cndmask_b32_e64 v92, v92, v54, s[20:21]
	;; [unrolled: 1-line block ×4, first 2 shown]
	s_waitcnt lgkmcnt(0)
	v_mul_f64 v[92:93], v[92:93], v[95:96]
	s_cbranch_execz .LBB76_37
	s_branch .LBB76_38
.LBB76_36:
                                        ; implicit-def: $vgpr92_vgpr93
.LBB76_37:
	ds_read_b64 v[92:93], v94
.LBB76_38:
	s_and_saveexec_b64 s[4:5], s[2:3]
	s_cbranch_execz .LBB76_48
; %bb.39:
	v_add_u32_e32 v96, -10, v0
	v_add_u32_e32 v95, -9, v0
	v_cmp_lt_u32_e32 vcc, 6, v96
	v_mov_b32_e32 v96, 9
	s_and_saveexec_b64 s[2:3], vcc
	s_cbranch_execz .LBB76_43
; %bb.40:
	v_and_b32_e32 v96, -8, v95
	v_sub_u32_e32 v97, 0, v96
	s_mov_b64 s[6:7], 16
	s_movk_i32 s10, 0xb8
	s_mov_b64 s[8:9], 0
.LBB76_41:                              ; =>This Inner Loop Header: Depth=1
	s_lshl_b32 s11, s6, 1
	s_add_i32 s12, s11, -13
	v_mov_b32_e32 v96, s10
	s_add_i32 s13, s11, -14
	s_set_gpr_idx_on s12, gpr_idx(SRC0)
	v_mov_b32_e32 v103, v34
	s_set_gpr_idx_off
	s_set_gpr_idx_on s13, gpr_idx(SRC0)
	v_mov_b32_e32 v102, v34
	s_set_gpr_idx_off
	ds_read2_b64 v[98:101], v96 offset1:1
	s_add_i32 s12, s11, -11
	s_add_i32 s13, s11, -12
	;; [unrolled: 1-line block ×4, first 2 shown]
	s_waitcnt lgkmcnt(0)
	v_fma_f64 v[92:93], v[102:103], v[98:99], v[92:93]
	s_set_gpr_idx_on s12, gpr_idx(SRC0)
	v_mov_b32_e32 v99, v34
	s_set_gpr_idx_off
	s_set_gpr_idx_on s13, gpr_idx(SRC0)
	v_mov_b32_e32 v98, v34
	s_set_gpr_idx_off
	s_add_i32 s12, s11, -7
	s_add_i32 s13, s11, -8
	v_fma_f64 v[92:93], v[98:99], v[100:101], v[92:93]
	s_set_gpr_idx_on s14, gpr_idx(SRC0)
	v_mov_b32_e32 v103, v34
	s_set_gpr_idx_off
	s_set_gpr_idx_on s15, gpr_idx(SRC0)
	v_mov_b32_e32 v102, v34
	s_set_gpr_idx_off
	ds_read2_b64 v[98:101], v96 offset0:2 offset1:3
	s_add_i32 s14, s11, -5
	s_add_i32 s15, s11, -6
	s_waitcnt lgkmcnt(0)
	v_fma_f64 v[92:93], v[102:103], v[98:99], v[92:93]
	s_set_gpr_idx_on s12, gpr_idx(SRC0)
	v_mov_b32_e32 v99, v34
	s_set_gpr_idx_off
	s_set_gpr_idx_on s13, gpr_idx(SRC0)
	v_mov_b32_e32 v98, v34
	s_set_gpr_idx_off
	s_add_i32 s12, s11, -3
	s_add_i32 s13, s11, -4
	v_fma_f64 v[92:93], v[98:99], v[100:101], v[92:93]
	s_set_gpr_idx_on s14, gpr_idx(SRC0)
	v_mov_b32_e32 v103, v34
	s_set_gpr_idx_off
	s_set_gpr_idx_on s15, gpr_idx(SRC0)
	v_mov_b32_e32 v102, v34
	s_set_gpr_idx_off
	ds_read2_b64 v[98:101], v96 offset0:4 offset1:5
	s_add_i32 s14, s11, -1
	s_add_i32 s15, s11, -2
	s_add_u32 s6, s6, 8
	s_addc_u32 s7, s7, 0
	s_waitcnt lgkmcnt(0)
	v_fma_f64 v[92:93], v[102:103], v[98:99], v[92:93]
	s_set_gpr_idx_on s12, gpr_idx(SRC0)
	v_mov_b32_e32 v99, v34
	s_set_gpr_idx_off
	s_set_gpr_idx_on s13, gpr_idx(SRC0)
	v_mov_b32_e32 v98, v34
	s_set_gpr_idx_off
	s_add_i32 s10, s10, 64
	v_fma_f64 v[92:93], v[98:99], v[100:101], v[92:93]
	s_set_gpr_idx_on s14, gpr_idx(SRC0)
	v_mov_b32_e32 v103, v34
	s_set_gpr_idx_off
	s_set_gpr_idx_on s15, gpr_idx(SRC0)
	v_mov_b32_e32 v102, v34
	s_set_gpr_idx_off
	ds_read2_b64 v[98:101], v96 offset0:6 offset1:7
	v_add_u32_e32 v96, s6, v97
	v_cmp_eq_u32_e32 vcc, 16, v96
	s_waitcnt lgkmcnt(0)
	v_fma_f64 v[92:93], v[102:103], v[98:99], v[92:93]
	s_set_gpr_idx_on s11, gpr_idx(SRC0)
	v_mov_b32_e32 v99, v35
	v_mov_b32_e32 v98, v34
	s_set_gpr_idx_off
	s_add_i32 s11, s6, -7
	s_or_b64 s[8:9], vcc, s[8:9]
	v_mov_b32_e32 v96, s11
	v_fma_f64 v[92:93], v[98:99], v[100:101], v[92:93]
	s_andn2_b64 exec, exec, s[8:9]
	s_cbranch_execnz .LBB76_41
; %bb.42:
	s_or_b64 exec, exec, s[8:9]
.LBB76_43:
	s_or_b64 exec, exec, s[2:3]
	v_and_b32_e32 v60, 7, v95
	v_cmp_ne_u32_e32 vcc, 0, v60
	s_and_saveexec_b64 s[6:7], vcc
	s_cbranch_execz .LBB76_47
; %bb.44:
	v_mov_b32_e32 v61, 0x70
	v_lshl_add_u32 v61, v96, 3, v61
	v_mov_b32_e32 v62, 0
	s_mov_b64 s[8:9], 0
.LBB76_45:                              ; =>This Inner Loop Header: Depth=1
	v_cmp_eq_u32_e32 vcc, 1, v96
	v_cndmask_b32_e32 v65, v35, v37, vcc
	v_cmp_eq_u32_e64 s[2:3], 2, v96
	v_cndmask_b32_e64 v65, v65, v39, s[2:3]
	v_cndmask_b32_e32 v95, v34, v36, vcc
	v_cmp_eq_u32_e32 vcc, 3, v96
	v_cndmask_b32_e32 v65, v65, v41, vcc
	v_cndmask_b32_e64 v95, v95, v38, s[2:3]
	v_cmp_eq_u32_e64 s[2:3], 4, v96
	v_cndmask_b32_e64 v65, v65, v43, s[2:3]
	v_cndmask_b32_e32 v95, v95, v40, vcc
	v_cmp_eq_u32_e32 vcc, 5, v96
	v_cndmask_b32_e32 v65, v65, v45, vcc
	v_cndmask_b32_e64 v95, v95, v42, s[2:3]
	;; [unrolled: 6-line block ×3, first 2 shown]
	v_cmp_eq_u32_e64 s[2:3], 8, v96
	v_cndmask_b32_e64 v65, v65, v51, s[2:3]
	v_cndmask_b32_e32 v95, v95, v48, vcc
	v_cmp_eq_u32_e32 vcc, 9, v96
	ds_read_b64 v[63:64], v61
	v_cndmask_b32_e32 v65, v65, v53, vcc
	v_cndmask_b32_e64 v95, v95, v50, s[2:3]
	v_cmp_eq_u32_e64 s[2:3], 10, v96
	v_cndmask_b32_e64 v65, v65, v55, s[2:3]
	v_cndmask_b32_e32 v95, v95, v52, vcc
	v_cmp_eq_u32_e32 vcc, 11, v96
	v_cndmask_b32_e32 v65, v65, v57, vcc
	v_cndmask_b32_e64 v95, v95, v54, s[2:3]
	v_cmp_eq_u32_e64 s[2:3], 12, v96
	v_cndmask_b32_e64 v98, v65, v59, s[2:3]
	v_cndmask_b32_e32 v65, v95, v56, vcc
	v_cndmask_b32_e64 v97, v65, v58, s[2:3]
	s_waitcnt lgkmcnt(0)
	v_fma_f64 v[92:93], v[97:98], v[63:64], v[92:93]
	v_add_u32_e32 v60, -1, v60
	v_cmp_eq_u32_e32 vcc, 0, v60
	s_or_b64 s[8:9], vcc, s[8:9]
	v_add_co_u32_e32 v96, vcc, 1, v96
	v_add_u32_e32 v61, 8, v61
	v_addc_co_u32_e32 v62, vcc, 0, v62, vcc
	s_andn2_b64 exec, exec, s[8:9]
	s_cbranch_execnz .LBB76_45
; %bb.46:
	s_or_b64 exec, exec, s[8:9]
.LBB76_47:
	s_or_b64 exec, exec, s[6:7]
.LBB76_48:
	s_or_b64 exec, exec, s[4:5]
	v_mov_b32_e32 v50, 0
	ds_read_b64 v[50:51], v50 offset:64
	s_waitcnt lgkmcnt(0)
	v_mul_f64 v[50:51], v[92:93], v[50:51]
.LBB76_49:
	s_or_b64 exec, exec, s[28:29]
	v_cmp_lt_u32_e64 s[2:3], 7, v0
	ds_write_b64 v94, v[48:49]
	s_waitcnt lgkmcnt(0)
	; wave barrier
	s_and_saveexec_b64 s[28:29], s[2:3]
	s_cbranch_execz .LBB76_65
; %bb.50:
	s_andn2_b64 vcc, exec, s[26:27]
	s_cbranch_vccnz .LBB76_52
; %bb.51:
	v_cmp_eq_u32_e32 vcc, 1, v0
	v_cndmask_b32_e32 v92, v35, v37, vcc
	v_cmp_eq_u32_e64 s[4:5], 2, v0
	v_cndmask_b32_e64 v92, v92, v39, s[4:5]
	v_cmp_eq_u32_e64 s[6:7], 3, v0
	v_cndmask_b32_e64 v92, v92, v41, s[6:7]
	;; [unrolled: 2-line block ×11, first 2 shown]
	v_cndmask_b32_e32 v92, v34, v36, vcc
	v_cndmask_b32_e64 v92, v92, v38, s[4:5]
	v_cndmask_b32_e64 v92, v92, v40, s[6:7]
	v_cndmask_b32_e64 v92, v92, v42, s[8:9]
	v_cndmask_b32_e64 v92, v92, v44, s[10:11]
	v_cndmask_b32_e64 v92, v92, v46, s[12:13]
	v_cndmask_b32_e64 v92, v92, v48, s[14:15]
	v_cndmask_b32_e64 v92, v92, v50, s[16:17]
	ds_read_b64 v[95:96], v94
	v_cndmask_b32_e64 v92, v92, v52, s[18:19]
	v_cndmask_b32_e64 v92, v92, v54, s[20:21]
	;; [unrolled: 1-line block ×4, first 2 shown]
	s_waitcnt lgkmcnt(0)
	v_mul_f64 v[92:93], v[92:93], v[95:96]
	s_cbranch_execz .LBB76_53
	s_branch .LBB76_54
.LBB76_52:
                                        ; implicit-def: $vgpr92_vgpr93
.LBB76_53:
	ds_read_b64 v[92:93], v94
.LBB76_54:
	s_and_saveexec_b64 s[4:5], s[0:1]
	s_cbranch_execz .LBB76_64
; %bb.55:
	v_add_u32_e32 v95, -9, v0
	v_cmp_lt_u32_e32 vcc, 6, v95
	v_mov_b32_e32 v95, 8
	s_and_saveexec_b64 s[0:1], vcc
	s_cbranch_execz .LBB76_59
; %bb.56:
	v_and_b32_e32 v95, 8, v0
	v_sub_u32_e32 v96, 0, v95
	s_mov_b64 s[6:7], 15
	s_movk_i32 s10, 0xb0
	s_mov_b64 s[8:9], 0
.LBB76_57:                              ; =>This Inner Loop Header: Depth=1
	s_lshl_b32 s11, s6, 1
	s_add_i32 s12, s11, -13
	v_mov_b32_e32 v95, s10
	s_add_i32 s13, s11, -14
	s_set_gpr_idx_on s12, gpr_idx(SRC0)
	v_mov_b32_e32 v106, v34
	s_set_gpr_idx_off
	s_set_gpr_idx_on s13, gpr_idx(SRC0)
	v_mov_b32_e32 v105, v34
	s_set_gpr_idx_off
	ds_read_b128 v[97:100], v95
	ds_read_b128 v[101:104], v95 offset:16
	s_add_i32 s12, s11, -11
	s_add_i32 s13, s11, -12
	s_waitcnt lgkmcnt(1)
	v_fma_f64 v[92:93], v[105:106], v[97:98], v[92:93]
	ds_read_b128 v[105:108], v95 offset:32
	ds_read_b128 v[109:112], v95 offset:48
	s_set_gpr_idx_on s12, gpr_idx(SRC0)
	v_mov_b32_e32 v98, v34
	s_set_gpr_idx_off
	s_set_gpr_idx_on s13, gpr_idx(SRC0)
	v_mov_b32_e32 v97, v34
	s_set_gpr_idx_off
	s_add_i32 s12, s11, -9
	s_add_i32 s13, s11, -10
	v_fma_f64 v[92:93], v[97:98], v[99:100], v[92:93]
	s_set_gpr_idx_on s12, gpr_idx(SRC0)
	v_mov_b32_e32 v98, v34
	s_set_gpr_idx_off
	s_set_gpr_idx_on s13, gpr_idx(SRC0)
	v_mov_b32_e32 v97, v34
	s_set_gpr_idx_off
	s_add_i32 s12, s11, -7
	s_add_i32 s13, s11, -8
	s_waitcnt lgkmcnt(2)
	v_fma_f64 v[92:93], v[97:98], v[101:102], v[92:93]
	s_set_gpr_idx_on s12, gpr_idx(SRC0)
	v_mov_b32_e32 v98, v34
	s_set_gpr_idx_off
	s_set_gpr_idx_on s13, gpr_idx(SRC0)
	v_mov_b32_e32 v97, v34
	s_set_gpr_idx_off
	s_add_i32 s12, s11, -5
	s_add_i32 s13, s11, -6
	v_fma_f64 v[92:93], v[97:98], v[103:104], v[92:93]
	s_set_gpr_idx_on s12, gpr_idx(SRC0)
	v_mov_b32_e32 v98, v34
	s_set_gpr_idx_off
	s_set_gpr_idx_on s13, gpr_idx(SRC0)
	v_mov_b32_e32 v97, v34
	s_set_gpr_idx_off
	s_add_i32 s12, s11, -3
	s_add_i32 s13, s11, -4
	s_waitcnt lgkmcnt(1)
	v_fma_f64 v[92:93], v[97:98], v[105:106], v[92:93]
	s_set_gpr_idx_on s12, gpr_idx(SRC0)
	v_mov_b32_e32 v98, v34
	s_set_gpr_idx_off
	s_set_gpr_idx_on s13, gpr_idx(SRC0)
	v_mov_b32_e32 v97, v34
	s_set_gpr_idx_off
	s_add_i32 s12, s11, -1
	s_add_i32 s13, s11, -2
	s_add_u32 s6, s6, 8
	v_add_u32_e32 v95, s6, v96
	s_addc_u32 s7, s7, 0
	v_fma_f64 v[92:93], v[97:98], v[107:108], v[92:93]
	s_set_gpr_idx_on s12, gpr_idx(SRC0)
	v_mov_b32_e32 v98, v34
	s_set_gpr_idx_off
	s_set_gpr_idx_on s13, gpr_idx(SRC0)
	v_mov_b32_e32 v97, v34
	s_set_gpr_idx_off
	s_add_i32 s10, s10, 64
	v_cmp_eq_u32_e32 vcc, 7, v95
	s_waitcnt lgkmcnt(0)
	v_fma_f64 v[92:93], v[97:98], v[109:110], v[92:93]
	s_set_gpr_idx_on s11, gpr_idx(SRC0)
	v_mov_b32_e32 v98, v35
	v_mov_b32_e32 v97, v34
	s_set_gpr_idx_off
	s_add_i32 s11, s6, -7
	s_or_b64 s[8:9], vcc, s[8:9]
	v_mov_b32_e32 v95, s11
	v_fma_f64 v[92:93], v[97:98], v[111:112], v[92:93]
	s_andn2_b64 exec, exec, s[8:9]
	s_cbranch_execnz .LBB76_57
; %bb.58:
	s_or_b64 exec, exec, s[8:9]
.LBB76_59:
	s_or_b64 exec, exec, s[0:1]
	v_and_b32_e32 v60, 7, v0
	v_cmp_ne_u32_e32 vcc, 0, v60
	s_and_saveexec_b64 s[6:7], vcc
	s_cbranch_execz .LBB76_63
; %bb.60:
	v_mov_b32_e32 v61, 0x70
	v_lshl_add_u32 v61, v95, 3, v61
	v_mov_b32_e32 v62, 0
	s_mov_b64 s[8:9], 0
.LBB76_61:                              ; =>This Inner Loop Header: Depth=1
	v_cmp_eq_u32_e32 vcc, 1, v95
	v_cndmask_b32_e32 v65, v35, v37, vcc
	v_cmp_eq_u32_e64 s[0:1], 2, v95
	v_cndmask_b32_e64 v65, v65, v39, s[0:1]
	v_cndmask_b32_e32 v96, v34, v36, vcc
	v_cmp_eq_u32_e32 vcc, 3, v95
	v_cndmask_b32_e32 v65, v65, v41, vcc
	v_cndmask_b32_e64 v96, v96, v38, s[0:1]
	v_cmp_eq_u32_e64 s[0:1], 4, v95
	v_cndmask_b32_e64 v65, v65, v43, s[0:1]
	v_cndmask_b32_e32 v96, v96, v40, vcc
	v_cmp_eq_u32_e32 vcc, 5, v95
	v_cndmask_b32_e32 v65, v65, v45, vcc
	v_cndmask_b32_e64 v96, v96, v42, s[0:1]
	;; [unrolled: 6-line block ×3, first 2 shown]
	v_cmp_eq_u32_e64 s[0:1], 8, v95
	v_cndmask_b32_e64 v65, v65, v51, s[0:1]
	v_cndmask_b32_e32 v96, v96, v48, vcc
	v_cmp_eq_u32_e32 vcc, 9, v95
	ds_read_b64 v[63:64], v61
	v_cndmask_b32_e32 v65, v65, v53, vcc
	v_cndmask_b32_e64 v96, v96, v50, s[0:1]
	v_cmp_eq_u32_e64 s[0:1], 10, v95
	v_cndmask_b32_e64 v65, v65, v55, s[0:1]
	v_cndmask_b32_e32 v96, v96, v52, vcc
	v_cmp_eq_u32_e32 vcc, 11, v95
	v_cndmask_b32_e32 v65, v65, v57, vcc
	v_cndmask_b32_e64 v96, v96, v54, s[0:1]
	v_cmp_eq_u32_e64 s[0:1], 12, v95
	v_cndmask_b32_e64 v97, v65, v59, s[0:1]
	v_cndmask_b32_e32 v65, v96, v56, vcc
	v_cndmask_b32_e64 v96, v65, v58, s[0:1]
	s_waitcnt lgkmcnt(0)
	v_fma_f64 v[92:93], v[96:97], v[63:64], v[92:93]
	v_add_u32_e32 v60, -1, v60
	v_cmp_eq_u32_e32 vcc, 0, v60
	s_or_b64 s[8:9], vcc, s[8:9]
	v_add_co_u32_e32 v95, vcc, 1, v95
	v_add_u32_e32 v61, 8, v61
	v_addc_co_u32_e32 v62, vcc, 0, v62, vcc
	s_andn2_b64 exec, exec, s[8:9]
	s_cbranch_execnz .LBB76_61
; %bb.62:
	s_or_b64 exec, exec, s[8:9]
.LBB76_63:
	s_or_b64 exec, exec, s[6:7]
.LBB76_64:
	s_or_b64 exec, exec, s[4:5]
	v_mov_b32_e32 v48, 0
	ds_read_b64 v[48:49], v48 offset:56
	s_waitcnt lgkmcnt(0)
	v_mul_f64 v[48:49], v[92:93], v[48:49]
.LBB76_65:
	s_or_b64 exec, exec, s[28:29]
	v_cmp_lt_u32_e64 s[0:1], 6, v0
	ds_write_b64 v94, v[46:47]
	s_waitcnt lgkmcnt(0)
	; wave barrier
	s_and_saveexec_b64 s[28:29], s[0:1]
	s_cbranch_execz .LBB76_81
; %bb.66:
	s_andn2_b64 vcc, exec, s[26:27]
	s_cbranch_vccnz .LBB76_68
; %bb.67:
	v_cmp_eq_u32_e32 vcc, 1, v0
	v_cndmask_b32_e32 v92, v35, v37, vcc
	v_cmp_eq_u32_e64 s[4:5], 2, v0
	v_cndmask_b32_e64 v92, v92, v39, s[4:5]
	v_cmp_eq_u32_e64 s[6:7], 3, v0
	v_cndmask_b32_e64 v92, v92, v41, s[6:7]
	;; [unrolled: 2-line block ×11, first 2 shown]
	v_cndmask_b32_e32 v92, v34, v36, vcc
	v_cndmask_b32_e64 v92, v92, v38, s[4:5]
	v_cndmask_b32_e64 v92, v92, v40, s[6:7]
	;; [unrolled: 1-line block ×7, first 2 shown]
	ds_read_b64 v[95:96], v94
	v_cndmask_b32_e64 v92, v92, v52, s[18:19]
	v_cndmask_b32_e64 v92, v92, v54, s[20:21]
	;; [unrolled: 1-line block ×4, first 2 shown]
	s_waitcnt lgkmcnt(0)
	v_mul_f64 v[92:93], v[92:93], v[95:96]
	s_cbranch_execz .LBB76_69
	s_branch .LBB76_70
.LBB76_68:
                                        ; implicit-def: $vgpr92_vgpr93
.LBB76_69:
	ds_read_b64 v[92:93], v94
.LBB76_70:
	s_and_saveexec_b64 s[4:5], s[2:3]
	s_cbranch_execz .LBB76_80
; %bb.71:
	v_add_u32_e32 v96, -8, v0
	v_add_u32_e32 v95, -7, v0
	v_cmp_lt_u32_e32 vcc, 6, v96
	v_mov_b32_e32 v96, 7
	s_and_saveexec_b64 s[2:3], vcc
	s_cbranch_execz .LBB76_75
; %bb.72:
	v_and_b32_e32 v96, -8, v95
	v_sub_u32_e32 v97, 0, v96
	s_mov_b64 s[6:7], 14
	s_movk_i32 s10, 0xa8
	s_mov_b64 s[8:9], 0
.LBB76_73:                              ; =>This Inner Loop Header: Depth=1
	s_lshl_b32 s11, s6, 1
	s_add_i32 s12, s11, -13
	v_mov_b32_e32 v96, s10
	s_add_i32 s13, s11, -14
	s_set_gpr_idx_on s12, gpr_idx(SRC0)
	v_mov_b32_e32 v103, v34
	s_set_gpr_idx_off
	s_set_gpr_idx_on s13, gpr_idx(SRC0)
	v_mov_b32_e32 v102, v34
	s_set_gpr_idx_off
	ds_read2_b64 v[98:101], v96 offset1:1
	s_add_i32 s12, s11, -11
	s_add_i32 s13, s11, -12
	;; [unrolled: 1-line block ×4, first 2 shown]
	s_waitcnt lgkmcnt(0)
	v_fma_f64 v[92:93], v[102:103], v[98:99], v[92:93]
	s_set_gpr_idx_on s12, gpr_idx(SRC0)
	v_mov_b32_e32 v99, v34
	s_set_gpr_idx_off
	s_set_gpr_idx_on s13, gpr_idx(SRC0)
	v_mov_b32_e32 v98, v34
	s_set_gpr_idx_off
	s_add_i32 s12, s11, -7
	s_add_i32 s13, s11, -8
	v_fma_f64 v[92:93], v[98:99], v[100:101], v[92:93]
	s_set_gpr_idx_on s14, gpr_idx(SRC0)
	v_mov_b32_e32 v103, v34
	s_set_gpr_idx_off
	s_set_gpr_idx_on s15, gpr_idx(SRC0)
	v_mov_b32_e32 v102, v34
	s_set_gpr_idx_off
	ds_read2_b64 v[98:101], v96 offset0:2 offset1:3
	s_add_i32 s14, s11, -5
	s_add_i32 s15, s11, -6
	s_waitcnt lgkmcnt(0)
	v_fma_f64 v[92:93], v[102:103], v[98:99], v[92:93]
	s_set_gpr_idx_on s12, gpr_idx(SRC0)
	v_mov_b32_e32 v99, v34
	s_set_gpr_idx_off
	s_set_gpr_idx_on s13, gpr_idx(SRC0)
	v_mov_b32_e32 v98, v34
	s_set_gpr_idx_off
	s_add_i32 s12, s11, -3
	s_add_i32 s13, s11, -4
	v_fma_f64 v[92:93], v[98:99], v[100:101], v[92:93]
	s_set_gpr_idx_on s14, gpr_idx(SRC0)
	v_mov_b32_e32 v103, v34
	s_set_gpr_idx_off
	s_set_gpr_idx_on s15, gpr_idx(SRC0)
	v_mov_b32_e32 v102, v34
	s_set_gpr_idx_off
	ds_read2_b64 v[98:101], v96 offset0:4 offset1:5
	s_add_i32 s14, s11, -1
	s_add_i32 s15, s11, -2
	s_add_u32 s6, s6, 8
	s_addc_u32 s7, s7, 0
	s_waitcnt lgkmcnt(0)
	v_fma_f64 v[92:93], v[102:103], v[98:99], v[92:93]
	s_set_gpr_idx_on s12, gpr_idx(SRC0)
	v_mov_b32_e32 v99, v34
	s_set_gpr_idx_off
	s_set_gpr_idx_on s13, gpr_idx(SRC0)
	v_mov_b32_e32 v98, v34
	s_set_gpr_idx_off
	s_add_i32 s10, s10, 64
	v_fma_f64 v[92:93], v[98:99], v[100:101], v[92:93]
	s_set_gpr_idx_on s14, gpr_idx(SRC0)
	v_mov_b32_e32 v103, v34
	s_set_gpr_idx_off
	s_set_gpr_idx_on s15, gpr_idx(SRC0)
	v_mov_b32_e32 v102, v34
	s_set_gpr_idx_off
	ds_read2_b64 v[98:101], v96 offset0:6 offset1:7
	v_add_u32_e32 v96, s6, v97
	v_cmp_eq_u32_e32 vcc, 14, v96
	s_waitcnt lgkmcnt(0)
	v_fma_f64 v[92:93], v[102:103], v[98:99], v[92:93]
	s_set_gpr_idx_on s11, gpr_idx(SRC0)
	v_mov_b32_e32 v99, v35
	v_mov_b32_e32 v98, v34
	s_set_gpr_idx_off
	s_add_i32 s11, s6, -7
	s_or_b64 s[8:9], vcc, s[8:9]
	v_mov_b32_e32 v96, s11
	v_fma_f64 v[92:93], v[98:99], v[100:101], v[92:93]
	s_andn2_b64 exec, exec, s[8:9]
	s_cbranch_execnz .LBB76_73
; %bb.74:
	s_or_b64 exec, exec, s[8:9]
.LBB76_75:
	s_or_b64 exec, exec, s[2:3]
	v_and_b32_e32 v60, 7, v95
	v_cmp_ne_u32_e32 vcc, 0, v60
	s_and_saveexec_b64 s[6:7], vcc
	s_cbranch_execz .LBB76_79
; %bb.76:
	v_mov_b32_e32 v61, 0x70
	v_lshl_add_u32 v61, v96, 3, v61
	v_mov_b32_e32 v62, 0
	s_mov_b64 s[8:9], 0
.LBB76_77:                              ; =>This Inner Loop Header: Depth=1
	v_cmp_eq_u32_e32 vcc, 1, v96
	v_cndmask_b32_e32 v65, v35, v37, vcc
	v_cmp_eq_u32_e64 s[2:3], 2, v96
	v_cndmask_b32_e64 v65, v65, v39, s[2:3]
	v_cndmask_b32_e32 v95, v34, v36, vcc
	v_cmp_eq_u32_e32 vcc, 3, v96
	v_cndmask_b32_e32 v65, v65, v41, vcc
	v_cndmask_b32_e64 v95, v95, v38, s[2:3]
	v_cmp_eq_u32_e64 s[2:3], 4, v96
	v_cndmask_b32_e64 v65, v65, v43, s[2:3]
	v_cndmask_b32_e32 v95, v95, v40, vcc
	v_cmp_eq_u32_e32 vcc, 5, v96
	v_cndmask_b32_e32 v65, v65, v45, vcc
	v_cndmask_b32_e64 v95, v95, v42, s[2:3]
	;; [unrolled: 6-line block ×3, first 2 shown]
	v_cmp_eq_u32_e64 s[2:3], 8, v96
	v_cndmask_b32_e64 v65, v65, v51, s[2:3]
	v_cndmask_b32_e32 v95, v95, v48, vcc
	v_cmp_eq_u32_e32 vcc, 9, v96
	ds_read_b64 v[63:64], v61
	v_cndmask_b32_e32 v65, v65, v53, vcc
	v_cndmask_b32_e64 v95, v95, v50, s[2:3]
	v_cmp_eq_u32_e64 s[2:3], 10, v96
	v_cndmask_b32_e64 v65, v65, v55, s[2:3]
	v_cndmask_b32_e32 v95, v95, v52, vcc
	v_cmp_eq_u32_e32 vcc, 11, v96
	v_cndmask_b32_e32 v65, v65, v57, vcc
	v_cndmask_b32_e64 v95, v95, v54, s[2:3]
	v_cmp_eq_u32_e64 s[2:3], 12, v96
	v_cndmask_b32_e64 v98, v65, v59, s[2:3]
	v_cndmask_b32_e32 v65, v95, v56, vcc
	v_cndmask_b32_e64 v97, v65, v58, s[2:3]
	s_waitcnt lgkmcnt(0)
	v_fma_f64 v[92:93], v[97:98], v[63:64], v[92:93]
	v_add_u32_e32 v60, -1, v60
	v_cmp_eq_u32_e32 vcc, 0, v60
	s_or_b64 s[8:9], vcc, s[8:9]
	v_add_co_u32_e32 v96, vcc, 1, v96
	v_add_u32_e32 v61, 8, v61
	v_addc_co_u32_e32 v62, vcc, 0, v62, vcc
	s_andn2_b64 exec, exec, s[8:9]
	s_cbranch_execnz .LBB76_77
; %bb.78:
	s_or_b64 exec, exec, s[8:9]
.LBB76_79:
	s_or_b64 exec, exec, s[6:7]
.LBB76_80:
	s_or_b64 exec, exec, s[4:5]
	v_mov_b32_e32 v46, 0
	ds_read_b64 v[46:47], v46 offset:48
	s_waitcnt lgkmcnt(0)
	v_mul_f64 v[46:47], v[92:93], v[46:47]
.LBB76_81:
	s_or_b64 exec, exec, s[28:29]
	v_cmp_lt_u32_e64 s[2:3], 5, v0
	ds_write_b64 v94, v[44:45]
	s_waitcnt lgkmcnt(0)
	; wave barrier
	s_and_saveexec_b64 s[28:29], s[2:3]
	s_cbranch_execz .LBB76_97
; %bb.82:
	s_andn2_b64 vcc, exec, s[26:27]
	s_cbranch_vccnz .LBB76_84
; %bb.83:
	v_cmp_eq_u32_e32 vcc, 1, v0
	v_cndmask_b32_e32 v92, v35, v37, vcc
	v_cmp_eq_u32_e64 s[4:5], 2, v0
	v_cndmask_b32_e64 v92, v92, v39, s[4:5]
	v_cmp_eq_u32_e64 s[6:7], 3, v0
	v_cndmask_b32_e64 v92, v92, v41, s[6:7]
	;; [unrolled: 2-line block ×11, first 2 shown]
	v_cndmask_b32_e32 v92, v34, v36, vcc
	v_cndmask_b32_e64 v92, v92, v38, s[4:5]
	v_cndmask_b32_e64 v92, v92, v40, s[6:7]
	;; [unrolled: 1-line block ×7, first 2 shown]
	ds_read_b64 v[95:96], v94
	v_cndmask_b32_e64 v92, v92, v52, s[18:19]
	v_cndmask_b32_e64 v92, v92, v54, s[20:21]
	;; [unrolled: 1-line block ×4, first 2 shown]
	s_waitcnt lgkmcnt(0)
	v_mul_f64 v[92:93], v[92:93], v[95:96]
	s_cbranch_execz .LBB76_85
	s_branch .LBB76_86
.LBB76_84:
                                        ; implicit-def: $vgpr92_vgpr93
.LBB76_85:
	ds_read_b64 v[92:93], v94
.LBB76_86:
	s_and_saveexec_b64 s[4:5], s[0:1]
	s_cbranch_execz .LBB76_96
; %bb.87:
	v_add_u32_e32 v97, -7, v0
	v_add_u32_e32 v96, -6, v0
	v_mov_b32_e32 v95, 6
	v_cmp_lt_u32_e32 vcc, 6, v97
	s_and_saveexec_b64 s[0:1], vcc
	s_cbranch_execz .LBB76_91
; %bb.88:
	v_and_b32_e32 v95, -8, v96
	v_sub_u32_e32 v97, 0, v95
	s_mov_b64 s[6:7], 13
	s_movk_i32 s10, 0xa0
	s_mov_b64 s[8:9], 0
.LBB76_89:                              ; =>This Inner Loop Header: Depth=1
	s_lshl_b32 s11, s6, 1
	s_add_i32 s12, s11, -13
	v_mov_b32_e32 v95, s10
	s_add_i32 s13, s11, -14
	s_set_gpr_idx_on s12, gpr_idx(SRC0)
	v_mov_b32_e32 v107, v34
	s_set_gpr_idx_off
	s_set_gpr_idx_on s13, gpr_idx(SRC0)
	v_mov_b32_e32 v106, v34
	s_set_gpr_idx_off
	ds_read_b128 v[98:101], v95
	ds_read_b128 v[102:105], v95 offset:16
	s_add_i32 s12, s11, -11
	s_add_i32 s13, s11, -12
	s_waitcnt lgkmcnt(1)
	v_fma_f64 v[92:93], v[106:107], v[98:99], v[92:93]
	ds_read_b128 v[106:109], v95 offset:32
	ds_read_b128 v[110:113], v95 offset:48
	s_set_gpr_idx_on s12, gpr_idx(SRC0)
	v_mov_b32_e32 v99, v34
	s_set_gpr_idx_off
	s_set_gpr_idx_on s13, gpr_idx(SRC0)
	v_mov_b32_e32 v98, v34
	s_set_gpr_idx_off
	s_add_i32 s12, s11, -9
	s_add_i32 s13, s11, -10
	v_fma_f64 v[92:93], v[98:99], v[100:101], v[92:93]
	s_set_gpr_idx_on s12, gpr_idx(SRC0)
	v_mov_b32_e32 v99, v34
	s_set_gpr_idx_off
	s_set_gpr_idx_on s13, gpr_idx(SRC0)
	v_mov_b32_e32 v98, v34
	s_set_gpr_idx_off
	s_add_i32 s12, s11, -7
	s_add_i32 s13, s11, -8
	s_waitcnt lgkmcnt(2)
	v_fma_f64 v[92:93], v[98:99], v[102:103], v[92:93]
	s_set_gpr_idx_on s12, gpr_idx(SRC0)
	v_mov_b32_e32 v99, v34
	s_set_gpr_idx_off
	s_set_gpr_idx_on s13, gpr_idx(SRC0)
	v_mov_b32_e32 v98, v34
	s_set_gpr_idx_off
	s_add_i32 s12, s11, -5
	s_add_i32 s13, s11, -6
	v_fma_f64 v[92:93], v[98:99], v[104:105], v[92:93]
	s_set_gpr_idx_on s12, gpr_idx(SRC0)
	v_mov_b32_e32 v99, v34
	s_set_gpr_idx_off
	s_set_gpr_idx_on s13, gpr_idx(SRC0)
	v_mov_b32_e32 v98, v34
	s_set_gpr_idx_off
	s_add_i32 s12, s11, -3
	s_add_i32 s13, s11, -4
	s_waitcnt lgkmcnt(1)
	v_fma_f64 v[92:93], v[98:99], v[106:107], v[92:93]
	s_set_gpr_idx_on s12, gpr_idx(SRC0)
	v_mov_b32_e32 v99, v34
	s_set_gpr_idx_off
	s_set_gpr_idx_on s13, gpr_idx(SRC0)
	v_mov_b32_e32 v98, v34
	s_set_gpr_idx_off
	s_add_i32 s12, s11, -1
	s_add_i32 s13, s11, -2
	s_add_u32 s6, s6, 8
	v_add_u32_e32 v95, s6, v97
	s_addc_u32 s7, s7, 0
	v_fma_f64 v[92:93], v[98:99], v[108:109], v[92:93]
	s_set_gpr_idx_on s12, gpr_idx(SRC0)
	v_mov_b32_e32 v99, v34
	s_set_gpr_idx_off
	s_set_gpr_idx_on s13, gpr_idx(SRC0)
	v_mov_b32_e32 v98, v34
	s_set_gpr_idx_off
	s_add_i32 s10, s10, 64
	v_cmp_eq_u32_e32 vcc, 13, v95
	s_waitcnt lgkmcnt(0)
	v_fma_f64 v[92:93], v[98:99], v[110:111], v[92:93]
	s_set_gpr_idx_on s11, gpr_idx(SRC0)
	v_mov_b32_e32 v99, v35
	v_mov_b32_e32 v98, v34
	s_set_gpr_idx_off
	s_add_i32 s11, s6, -7
	s_or_b64 s[8:9], vcc, s[8:9]
	v_mov_b32_e32 v95, s11
	v_fma_f64 v[92:93], v[98:99], v[112:113], v[92:93]
	s_andn2_b64 exec, exec, s[8:9]
	s_cbranch_execnz .LBB76_89
; %bb.90:
	s_or_b64 exec, exec, s[8:9]
.LBB76_91:
	s_or_b64 exec, exec, s[0:1]
	v_and_b32_e32 v60, 7, v96
	v_cmp_ne_u32_e32 vcc, 0, v60
	s_and_saveexec_b64 s[6:7], vcc
	s_cbranch_execz .LBB76_95
; %bb.92:
	v_mov_b32_e32 v61, 0x70
	v_lshl_add_u32 v61, v95, 3, v61
	v_mov_b32_e32 v62, 0
	s_mov_b64 s[8:9], 0
.LBB76_93:                              ; =>This Inner Loop Header: Depth=1
	v_cmp_eq_u32_e32 vcc, 1, v95
	v_cndmask_b32_e32 v65, v35, v37, vcc
	v_cmp_eq_u32_e64 s[0:1], 2, v95
	v_cndmask_b32_e64 v65, v65, v39, s[0:1]
	v_cndmask_b32_e32 v96, v34, v36, vcc
	v_cmp_eq_u32_e32 vcc, 3, v95
	v_cndmask_b32_e32 v65, v65, v41, vcc
	v_cndmask_b32_e64 v96, v96, v38, s[0:1]
	v_cmp_eq_u32_e64 s[0:1], 4, v95
	v_cndmask_b32_e64 v65, v65, v43, s[0:1]
	v_cndmask_b32_e32 v96, v96, v40, vcc
	v_cmp_eq_u32_e32 vcc, 5, v95
	v_cndmask_b32_e32 v65, v65, v45, vcc
	v_cndmask_b32_e64 v96, v96, v42, s[0:1]
	;; [unrolled: 6-line block ×3, first 2 shown]
	v_cmp_eq_u32_e64 s[0:1], 8, v95
	v_cndmask_b32_e64 v65, v65, v51, s[0:1]
	v_cndmask_b32_e32 v96, v96, v48, vcc
	v_cmp_eq_u32_e32 vcc, 9, v95
	ds_read_b64 v[63:64], v61
	v_cndmask_b32_e32 v65, v65, v53, vcc
	v_cndmask_b32_e64 v96, v96, v50, s[0:1]
	v_cmp_eq_u32_e64 s[0:1], 10, v95
	v_cndmask_b32_e64 v65, v65, v55, s[0:1]
	v_cndmask_b32_e32 v96, v96, v52, vcc
	v_cmp_eq_u32_e32 vcc, 11, v95
	v_cndmask_b32_e32 v65, v65, v57, vcc
	v_cndmask_b32_e64 v96, v96, v54, s[0:1]
	v_cmp_eq_u32_e64 s[0:1], 12, v95
	v_cndmask_b32_e64 v97, v65, v59, s[0:1]
	v_cndmask_b32_e32 v65, v96, v56, vcc
	v_cndmask_b32_e64 v96, v65, v58, s[0:1]
	s_waitcnt lgkmcnt(0)
	v_fma_f64 v[92:93], v[96:97], v[63:64], v[92:93]
	v_add_u32_e32 v60, -1, v60
	v_cmp_eq_u32_e32 vcc, 0, v60
	s_or_b64 s[8:9], vcc, s[8:9]
	v_add_co_u32_e32 v95, vcc, 1, v95
	v_add_u32_e32 v61, 8, v61
	v_addc_co_u32_e32 v62, vcc, 0, v62, vcc
	s_andn2_b64 exec, exec, s[8:9]
	s_cbranch_execnz .LBB76_93
; %bb.94:
	s_or_b64 exec, exec, s[8:9]
.LBB76_95:
	s_or_b64 exec, exec, s[6:7]
.LBB76_96:
	s_or_b64 exec, exec, s[4:5]
	v_mov_b32_e32 v44, 0
	ds_read_b64 v[44:45], v44 offset:40
	s_waitcnt lgkmcnt(0)
	v_mul_f64 v[44:45], v[92:93], v[44:45]
.LBB76_97:
	s_or_b64 exec, exec, s[28:29]
	v_cmp_lt_u32_e64 s[0:1], 4, v0
	ds_write_b64 v94, v[42:43]
	s_waitcnt lgkmcnt(0)
	; wave barrier
	s_and_saveexec_b64 s[28:29], s[0:1]
	s_cbranch_execz .LBB76_113
; %bb.98:
	s_andn2_b64 vcc, exec, s[26:27]
	s_cbranch_vccnz .LBB76_100
; %bb.99:
	v_cmp_eq_u32_e32 vcc, 1, v0
	v_cndmask_b32_e32 v92, v35, v37, vcc
	v_cmp_eq_u32_e64 s[4:5], 2, v0
	v_cndmask_b32_e64 v92, v92, v39, s[4:5]
	v_cmp_eq_u32_e64 s[6:7], 3, v0
	v_cndmask_b32_e64 v92, v92, v41, s[6:7]
	;; [unrolled: 2-line block ×11, first 2 shown]
	v_cndmask_b32_e32 v92, v34, v36, vcc
	v_cndmask_b32_e64 v92, v92, v38, s[4:5]
	v_cndmask_b32_e64 v92, v92, v40, s[6:7]
	;; [unrolled: 1-line block ×7, first 2 shown]
	ds_read_b64 v[95:96], v94
	v_cndmask_b32_e64 v92, v92, v52, s[18:19]
	v_cndmask_b32_e64 v92, v92, v54, s[20:21]
	;; [unrolled: 1-line block ×4, first 2 shown]
	s_waitcnt lgkmcnt(0)
	v_mul_f64 v[92:93], v[92:93], v[95:96]
	s_cbranch_execz .LBB76_101
	s_branch .LBB76_102
.LBB76_100:
                                        ; implicit-def: $vgpr92_vgpr93
.LBB76_101:
	ds_read_b64 v[92:93], v94
.LBB76_102:
	s_and_saveexec_b64 s[4:5], s[2:3]
	s_cbranch_execz .LBB76_112
; %bb.103:
	v_add_u32_e32 v96, -6, v0
	v_add_u32_e32 v95, -5, v0
	v_cmp_lt_u32_e32 vcc, 6, v96
	v_mov_b32_e32 v96, 5
	s_and_saveexec_b64 s[2:3], vcc
	s_cbranch_execz .LBB76_107
; %bb.104:
	v_and_b32_e32 v96, -8, v95
	v_sub_u32_e32 v97, 0, v96
	s_mov_b64 s[6:7], 12
	s_movk_i32 s10, 0x98
	s_mov_b64 s[8:9], 0
.LBB76_105:                             ; =>This Inner Loop Header: Depth=1
	s_lshl_b32 s11, s6, 1
	s_add_i32 s12, s11, -13
	v_mov_b32_e32 v96, s10
	s_add_i32 s13, s11, -14
	s_set_gpr_idx_on s12, gpr_idx(SRC0)
	v_mov_b32_e32 v103, v34
	s_set_gpr_idx_off
	s_set_gpr_idx_on s13, gpr_idx(SRC0)
	v_mov_b32_e32 v102, v34
	s_set_gpr_idx_off
	ds_read2_b64 v[98:101], v96 offset1:1
	s_add_i32 s12, s11, -11
	s_add_i32 s13, s11, -12
	;; [unrolled: 1-line block ×4, first 2 shown]
	s_waitcnt lgkmcnt(0)
	v_fma_f64 v[92:93], v[102:103], v[98:99], v[92:93]
	s_set_gpr_idx_on s12, gpr_idx(SRC0)
	v_mov_b32_e32 v99, v34
	s_set_gpr_idx_off
	s_set_gpr_idx_on s13, gpr_idx(SRC0)
	v_mov_b32_e32 v98, v34
	s_set_gpr_idx_off
	s_add_i32 s12, s11, -7
	s_add_i32 s13, s11, -8
	v_fma_f64 v[92:93], v[98:99], v[100:101], v[92:93]
	s_set_gpr_idx_on s14, gpr_idx(SRC0)
	v_mov_b32_e32 v103, v34
	s_set_gpr_idx_off
	s_set_gpr_idx_on s15, gpr_idx(SRC0)
	v_mov_b32_e32 v102, v34
	s_set_gpr_idx_off
	ds_read2_b64 v[98:101], v96 offset0:2 offset1:3
	s_add_i32 s14, s11, -5
	s_add_i32 s15, s11, -6
	s_waitcnt lgkmcnt(0)
	v_fma_f64 v[92:93], v[102:103], v[98:99], v[92:93]
	s_set_gpr_idx_on s12, gpr_idx(SRC0)
	v_mov_b32_e32 v99, v34
	s_set_gpr_idx_off
	s_set_gpr_idx_on s13, gpr_idx(SRC0)
	v_mov_b32_e32 v98, v34
	s_set_gpr_idx_off
	s_add_i32 s12, s11, -3
	s_add_i32 s13, s11, -4
	v_fma_f64 v[92:93], v[98:99], v[100:101], v[92:93]
	s_set_gpr_idx_on s14, gpr_idx(SRC0)
	v_mov_b32_e32 v103, v34
	s_set_gpr_idx_off
	s_set_gpr_idx_on s15, gpr_idx(SRC0)
	v_mov_b32_e32 v102, v34
	s_set_gpr_idx_off
	ds_read2_b64 v[98:101], v96 offset0:4 offset1:5
	s_add_i32 s14, s11, -1
	s_add_i32 s15, s11, -2
	s_add_u32 s6, s6, 8
	s_addc_u32 s7, s7, 0
	s_waitcnt lgkmcnt(0)
	v_fma_f64 v[92:93], v[102:103], v[98:99], v[92:93]
	s_set_gpr_idx_on s12, gpr_idx(SRC0)
	v_mov_b32_e32 v99, v34
	s_set_gpr_idx_off
	s_set_gpr_idx_on s13, gpr_idx(SRC0)
	v_mov_b32_e32 v98, v34
	s_set_gpr_idx_off
	s_add_i32 s10, s10, 64
	v_fma_f64 v[92:93], v[98:99], v[100:101], v[92:93]
	s_set_gpr_idx_on s14, gpr_idx(SRC0)
	v_mov_b32_e32 v103, v34
	s_set_gpr_idx_off
	s_set_gpr_idx_on s15, gpr_idx(SRC0)
	v_mov_b32_e32 v102, v34
	s_set_gpr_idx_off
	ds_read2_b64 v[98:101], v96 offset0:6 offset1:7
	v_add_u32_e32 v96, s6, v97
	v_cmp_eq_u32_e32 vcc, 12, v96
	s_waitcnt lgkmcnt(0)
	v_fma_f64 v[92:93], v[102:103], v[98:99], v[92:93]
	s_set_gpr_idx_on s11, gpr_idx(SRC0)
	v_mov_b32_e32 v99, v35
	v_mov_b32_e32 v98, v34
	s_set_gpr_idx_off
	s_add_i32 s11, s6, -7
	s_or_b64 s[8:9], vcc, s[8:9]
	v_mov_b32_e32 v96, s11
	v_fma_f64 v[92:93], v[98:99], v[100:101], v[92:93]
	s_andn2_b64 exec, exec, s[8:9]
	s_cbranch_execnz .LBB76_105
; %bb.106:
	s_or_b64 exec, exec, s[8:9]
.LBB76_107:
	s_or_b64 exec, exec, s[2:3]
	v_and_b32_e32 v60, 7, v95
	v_cmp_ne_u32_e32 vcc, 0, v60
	s_and_saveexec_b64 s[6:7], vcc
	s_cbranch_execz .LBB76_111
; %bb.108:
	v_mov_b32_e32 v61, 0x70
	v_lshl_add_u32 v61, v96, 3, v61
	v_mov_b32_e32 v62, 0
	s_mov_b64 s[8:9], 0
.LBB76_109:                             ; =>This Inner Loop Header: Depth=1
	v_cmp_eq_u32_e32 vcc, 1, v96
	v_cndmask_b32_e32 v65, v35, v37, vcc
	v_cmp_eq_u32_e64 s[2:3], 2, v96
	v_cndmask_b32_e64 v65, v65, v39, s[2:3]
	v_cndmask_b32_e32 v95, v34, v36, vcc
	v_cmp_eq_u32_e32 vcc, 3, v96
	v_cndmask_b32_e32 v65, v65, v41, vcc
	v_cndmask_b32_e64 v95, v95, v38, s[2:3]
	v_cmp_eq_u32_e64 s[2:3], 4, v96
	v_cndmask_b32_e64 v65, v65, v43, s[2:3]
	v_cndmask_b32_e32 v95, v95, v40, vcc
	v_cmp_eq_u32_e32 vcc, 5, v96
	v_cndmask_b32_e32 v65, v65, v45, vcc
	v_cndmask_b32_e64 v95, v95, v42, s[2:3]
	;; [unrolled: 6-line block ×3, first 2 shown]
	v_cmp_eq_u32_e64 s[2:3], 8, v96
	v_cndmask_b32_e64 v65, v65, v51, s[2:3]
	v_cndmask_b32_e32 v95, v95, v48, vcc
	v_cmp_eq_u32_e32 vcc, 9, v96
	ds_read_b64 v[63:64], v61
	v_cndmask_b32_e32 v65, v65, v53, vcc
	v_cndmask_b32_e64 v95, v95, v50, s[2:3]
	v_cmp_eq_u32_e64 s[2:3], 10, v96
	v_cndmask_b32_e64 v65, v65, v55, s[2:3]
	v_cndmask_b32_e32 v95, v95, v52, vcc
	v_cmp_eq_u32_e32 vcc, 11, v96
	v_cndmask_b32_e32 v65, v65, v57, vcc
	v_cndmask_b32_e64 v95, v95, v54, s[2:3]
	v_cmp_eq_u32_e64 s[2:3], 12, v96
	v_cndmask_b32_e64 v98, v65, v59, s[2:3]
	v_cndmask_b32_e32 v65, v95, v56, vcc
	v_cndmask_b32_e64 v97, v65, v58, s[2:3]
	s_waitcnt lgkmcnt(0)
	v_fma_f64 v[92:93], v[97:98], v[63:64], v[92:93]
	v_add_u32_e32 v60, -1, v60
	v_cmp_eq_u32_e32 vcc, 0, v60
	s_or_b64 s[8:9], vcc, s[8:9]
	v_add_co_u32_e32 v96, vcc, 1, v96
	v_add_u32_e32 v61, 8, v61
	v_addc_co_u32_e32 v62, vcc, 0, v62, vcc
	s_andn2_b64 exec, exec, s[8:9]
	s_cbranch_execnz .LBB76_109
; %bb.110:
	s_or_b64 exec, exec, s[8:9]
.LBB76_111:
	s_or_b64 exec, exec, s[6:7]
.LBB76_112:
	s_or_b64 exec, exec, s[4:5]
	v_mov_b32_e32 v42, 0
	ds_read_b64 v[42:43], v42 offset:32
	s_waitcnt lgkmcnt(0)
	v_mul_f64 v[42:43], v[92:93], v[42:43]
.LBB76_113:
	s_or_b64 exec, exec, s[28:29]
	v_cmp_lt_u32_e64 s[2:3], 3, v0
	ds_write_b64 v94, v[40:41]
	s_waitcnt lgkmcnt(0)
	; wave barrier
	s_and_saveexec_b64 s[28:29], s[2:3]
	s_cbranch_execz .LBB76_129
; %bb.114:
	s_andn2_b64 vcc, exec, s[26:27]
	s_cbranch_vccnz .LBB76_116
; %bb.115:
	v_cmp_eq_u32_e32 vcc, 1, v0
	v_cndmask_b32_e32 v92, v35, v37, vcc
	v_cmp_eq_u32_e64 s[4:5], 2, v0
	v_cndmask_b32_e64 v92, v92, v39, s[4:5]
	v_cmp_eq_u32_e64 s[6:7], 3, v0
	v_cndmask_b32_e64 v92, v92, v41, s[6:7]
	;; [unrolled: 2-line block ×11, first 2 shown]
	v_cndmask_b32_e32 v92, v34, v36, vcc
	v_cndmask_b32_e64 v92, v92, v38, s[4:5]
	v_cndmask_b32_e64 v92, v92, v40, s[6:7]
	;; [unrolled: 1-line block ×7, first 2 shown]
	ds_read_b64 v[95:96], v94
	v_cndmask_b32_e64 v92, v92, v52, s[18:19]
	v_cndmask_b32_e64 v92, v92, v54, s[20:21]
	;; [unrolled: 1-line block ×4, first 2 shown]
	s_waitcnt lgkmcnt(0)
	v_mul_f64 v[92:93], v[92:93], v[95:96]
	s_cbranch_execz .LBB76_117
	s_branch .LBB76_118
.LBB76_116:
                                        ; implicit-def: $vgpr92_vgpr93
.LBB76_117:
	ds_read_b64 v[92:93], v94
.LBB76_118:
	s_and_saveexec_b64 s[4:5], s[0:1]
	s_cbranch_execz .LBB76_128
; %bb.119:
	v_add_u32_e32 v95, -5, v0
	v_add_u32_e32 v96, -4, v0
	v_cmp_lt_u32_e32 vcc, 6, v95
	v_mov_b32_e32 v95, 4
	s_and_saveexec_b64 s[0:1], vcc
	s_cbranch_execz .LBB76_123
; %bb.120:
	v_and_b32_e32 v95, -8, v96
	v_sub_u32_e32 v97, 0, v95
	s_mov_b64 s[6:7], 5
	s_movk_i32 s10, 0x90
	s_mov_b64 s[8:9], 0
.LBB76_121:                             ; =>This Inner Loop Header: Depth=1
	s_lshl_b32 s11, s6, 1
	s_add_i32 s12, s11, -1
	v_mov_b32_e32 v95, s10
	s_add_i32 s13, s11, -2
	s_set_gpr_idx_on s12, gpr_idx(SRC0)
	v_mov_b32_e32 v107, v34
	s_set_gpr_idx_off
	s_set_gpr_idx_on s13, gpr_idx(SRC0)
	v_mov_b32_e32 v106, v34
	s_set_gpr_idx_off
	ds_read_b128 v[98:101], v95
	ds_read_b128 v[102:105], v95 offset:16
	s_add_i32 s12, s11, 3
	s_add_i32 s13, s11, 2
	s_waitcnt lgkmcnt(1)
	v_fma_f64 v[92:93], v[106:107], v[98:99], v[92:93]
	ds_read_b128 v[106:109], v95 offset:32
	ds_read_b128 v[110:113], v95 offset:48
	s_set_gpr_idx_on s11, gpr_idx(SRC0)
	v_mov_b32_e32 v99, v35
	v_mov_b32_e32 v98, v34
	s_set_gpr_idx_off
	v_fma_f64 v[92:93], v[98:99], v[100:101], v[92:93]
	s_set_gpr_idx_on s12, gpr_idx(SRC0)
	v_mov_b32_e32 v99, v34
	s_set_gpr_idx_off
	s_set_gpr_idx_on s13, gpr_idx(SRC0)
	v_mov_b32_e32 v98, v34
	s_set_gpr_idx_off
	s_add_i32 s12, s11, 5
	s_add_i32 s13, s11, 4
	s_waitcnt lgkmcnt(2)
	v_fma_f64 v[92:93], v[98:99], v[102:103], v[92:93]
	s_set_gpr_idx_on s12, gpr_idx(SRC0)
	v_mov_b32_e32 v99, v34
	s_set_gpr_idx_off
	s_set_gpr_idx_on s13, gpr_idx(SRC0)
	v_mov_b32_e32 v98, v34
	s_set_gpr_idx_off
	s_add_i32 s12, s11, 7
	s_add_i32 s13, s11, 6
	v_fma_f64 v[92:93], v[98:99], v[104:105], v[92:93]
	s_set_gpr_idx_on s12, gpr_idx(SRC0)
	v_mov_b32_e32 v99, v34
	s_set_gpr_idx_off
	s_set_gpr_idx_on s13, gpr_idx(SRC0)
	v_mov_b32_e32 v98, v34
	s_set_gpr_idx_off
	s_add_i32 s12, s11, 9
	s_add_i32 s13, s11, 8
	s_waitcnt lgkmcnt(1)
	v_fma_f64 v[92:93], v[98:99], v[106:107], v[92:93]
	s_set_gpr_idx_on s12, gpr_idx(SRC0)
	v_mov_b32_e32 v99, v34
	s_set_gpr_idx_off
	s_set_gpr_idx_on s13, gpr_idx(SRC0)
	v_mov_b32_e32 v98, v34
	s_set_gpr_idx_off
	s_add_i32 s12, s11, 11
	s_add_i32 s13, s11, 10
	v_fma_f64 v[92:93], v[98:99], v[108:109], v[92:93]
	s_set_gpr_idx_on s12, gpr_idx(SRC0)
	v_mov_b32_e32 v99, v34
	s_set_gpr_idx_off
	s_set_gpr_idx_on s13, gpr_idx(SRC0)
	v_mov_b32_e32 v98, v34
	s_set_gpr_idx_off
	s_add_i32 s12, s11, 13
	s_add_i32 s11, s11, 12
	s_add_u32 s6, s6, 8
	v_add_u32_e32 v95, s6, v97
	s_addc_u32 s7, s7, 0
	s_waitcnt lgkmcnt(0)
	v_fma_f64 v[92:93], v[98:99], v[110:111], v[92:93]
	s_set_gpr_idx_on s12, gpr_idx(SRC0)
	v_mov_b32_e32 v99, v34
	s_set_gpr_idx_off
	s_set_gpr_idx_on s11, gpr_idx(SRC0)
	v_mov_b32_e32 v98, v34
	s_set_gpr_idx_off
	s_add_i32 s10, s10, 64
	s_add_i32 s11, s6, -1
	v_cmp_eq_u32_e32 vcc, 5, v95
	s_or_b64 s[8:9], vcc, s[8:9]
	v_mov_b32_e32 v95, s11
	v_fma_f64 v[92:93], v[98:99], v[112:113], v[92:93]
	s_andn2_b64 exec, exec, s[8:9]
	s_cbranch_execnz .LBB76_121
; %bb.122:
	s_or_b64 exec, exec, s[8:9]
.LBB76_123:
	s_or_b64 exec, exec, s[0:1]
	v_and_b32_e32 v60, 7, v96
	v_cmp_ne_u32_e32 vcc, 0, v60
	s_and_saveexec_b64 s[6:7], vcc
	s_cbranch_execz .LBB76_127
; %bb.124:
	v_mov_b32_e32 v61, 0x70
	v_lshl_add_u32 v61, v95, 3, v61
	v_mov_b32_e32 v62, 0
	s_mov_b64 s[8:9], 0
.LBB76_125:                             ; =>This Inner Loop Header: Depth=1
	v_cmp_eq_u32_e32 vcc, 1, v95
	v_cndmask_b32_e32 v65, v35, v37, vcc
	v_cmp_eq_u32_e64 s[0:1], 2, v95
	v_cndmask_b32_e64 v65, v65, v39, s[0:1]
	v_cndmask_b32_e32 v96, v34, v36, vcc
	v_cmp_eq_u32_e32 vcc, 3, v95
	v_cndmask_b32_e32 v65, v65, v41, vcc
	v_cndmask_b32_e64 v96, v96, v38, s[0:1]
	v_cmp_eq_u32_e64 s[0:1], 4, v95
	v_cndmask_b32_e64 v65, v65, v43, s[0:1]
	v_cndmask_b32_e32 v96, v96, v40, vcc
	v_cmp_eq_u32_e32 vcc, 5, v95
	v_cndmask_b32_e32 v65, v65, v45, vcc
	v_cndmask_b32_e64 v96, v96, v42, s[0:1]
	;; [unrolled: 6-line block ×3, first 2 shown]
	v_cmp_eq_u32_e64 s[0:1], 8, v95
	v_cndmask_b32_e64 v65, v65, v51, s[0:1]
	v_cndmask_b32_e32 v96, v96, v48, vcc
	v_cmp_eq_u32_e32 vcc, 9, v95
	ds_read_b64 v[63:64], v61
	v_cndmask_b32_e32 v65, v65, v53, vcc
	v_cndmask_b32_e64 v96, v96, v50, s[0:1]
	v_cmp_eq_u32_e64 s[0:1], 10, v95
	v_cndmask_b32_e64 v65, v65, v55, s[0:1]
	v_cndmask_b32_e32 v96, v96, v52, vcc
	v_cmp_eq_u32_e32 vcc, 11, v95
	v_cndmask_b32_e32 v65, v65, v57, vcc
	v_cndmask_b32_e64 v96, v96, v54, s[0:1]
	v_cmp_eq_u32_e64 s[0:1], 12, v95
	v_cndmask_b32_e64 v97, v65, v59, s[0:1]
	v_cndmask_b32_e32 v65, v96, v56, vcc
	v_cndmask_b32_e64 v96, v65, v58, s[0:1]
	s_waitcnt lgkmcnt(0)
	v_fma_f64 v[92:93], v[96:97], v[63:64], v[92:93]
	v_add_u32_e32 v60, -1, v60
	v_cmp_eq_u32_e32 vcc, 0, v60
	s_or_b64 s[8:9], vcc, s[8:9]
	v_add_co_u32_e32 v95, vcc, 1, v95
	v_add_u32_e32 v61, 8, v61
	v_addc_co_u32_e32 v62, vcc, 0, v62, vcc
	s_andn2_b64 exec, exec, s[8:9]
	s_cbranch_execnz .LBB76_125
; %bb.126:
	s_or_b64 exec, exec, s[8:9]
.LBB76_127:
	s_or_b64 exec, exec, s[6:7]
.LBB76_128:
	s_or_b64 exec, exec, s[4:5]
	v_mov_b32_e32 v40, 0
	ds_read_b64 v[40:41], v40 offset:24
	s_waitcnt lgkmcnt(0)
	v_mul_f64 v[40:41], v[92:93], v[40:41]
.LBB76_129:
	s_or_b64 exec, exec, s[28:29]
	v_cmp_lt_u32_e64 s[0:1], 2, v0
	ds_write_b64 v94, v[38:39]
	s_waitcnt lgkmcnt(0)
	; wave barrier
	s_and_saveexec_b64 s[28:29], s[0:1]
	s_cbranch_execz .LBB76_145
; %bb.130:
	s_andn2_b64 vcc, exec, s[26:27]
	s_cbranch_vccnz .LBB76_132
; %bb.131:
	v_cmp_eq_u32_e32 vcc, 1, v0
	v_cndmask_b32_e32 v92, v35, v37, vcc
	v_cmp_eq_u32_e64 s[4:5], 2, v0
	v_cndmask_b32_e64 v92, v92, v39, s[4:5]
	v_cmp_eq_u32_e64 s[6:7], 3, v0
	v_cndmask_b32_e64 v92, v92, v41, s[6:7]
	;; [unrolled: 2-line block ×11, first 2 shown]
	v_cndmask_b32_e32 v92, v34, v36, vcc
	v_cndmask_b32_e64 v92, v92, v38, s[4:5]
	v_cndmask_b32_e64 v92, v92, v40, s[6:7]
	;; [unrolled: 1-line block ×7, first 2 shown]
	ds_read_b64 v[95:96], v94
	v_cndmask_b32_e64 v92, v92, v52, s[18:19]
	v_cndmask_b32_e64 v92, v92, v54, s[20:21]
	;; [unrolled: 1-line block ×4, first 2 shown]
	s_waitcnt lgkmcnt(0)
	v_mul_f64 v[92:93], v[92:93], v[95:96]
	s_cbranch_execz .LBB76_133
	s_branch .LBB76_134
.LBB76_132:
                                        ; implicit-def: $vgpr92_vgpr93
.LBB76_133:
	ds_read_b64 v[92:93], v94
.LBB76_134:
	s_and_saveexec_b64 s[4:5], s[2:3]
	s_cbranch_execz .LBB76_144
; %bb.135:
	v_add_u32_e32 v96, -4, v0
	v_add_u32_e32 v95, -3, v0
	v_cmp_lt_u32_e32 vcc, 6, v96
	v_mov_b32_e32 v96, 3
	s_and_saveexec_b64 s[2:3], vcc
	s_cbranch_execz .LBB76_139
; %bb.136:
	v_and_b32_e32 v96, -8, v95
	v_sub_u32_e32 v97, 0, v96
	s_mov_b64 s[6:7], 10
	s_movk_i32 s10, 0x88
	s_mov_b64 s[8:9], 0
.LBB76_137:                             ; =>This Inner Loop Header: Depth=1
	s_lshl_b32 s11, s6, 1
	s_add_i32 s12, s11, -13
	v_mov_b32_e32 v96, s10
	s_add_i32 s13, s11, -14
	s_set_gpr_idx_on s12, gpr_idx(SRC0)
	v_mov_b32_e32 v103, v34
	s_set_gpr_idx_off
	s_set_gpr_idx_on s13, gpr_idx(SRC0)
	v_mov_b32_e32 v102, v34
	s_set_gpr_idx_off
	ds_read2_b64 v[98:101], v96 offset1:1
	s_add_i32 s12, s11, -11
	s_add_i32 s13, s11, -12
	;; [unrolled: 1-line block ×4, first 2 shown]
	s_waitcnt lgkmcnt(0)
	v_fma_f64 v[92:93], v[102:103], v[98:99], v[92:93]
	s_set_gpr_idx_on s12, gpr_idx(SRC0)
	v_mov_b32_e32 v99, v34
	s_set_gpr_idx_off
	s_set_gpr_idx_on s13, gpr_idx(SRC0)
	v_mov_b32_e32 v98, v34
	s_set_gpr_idx_off
	s_add_i32 s12, s11, -7
	s_add_i32 s13, s11, -8
	v_fma_f64 v[92:93], v[98:99], v[100:101], v[92:93]
	s_set_gpr_idx_on s14, gpr_idx(SRC0)
	v_mov_b32_e32 v103, v34
	s_set_gpr_idx_off
	s_set_gpr_idx_on s15, gpr_idx(SRC0)
	v_mov_b32_e32 v102, v34
	s_set_gpr_idx_off
	ds_read2_b64 v[98:101], v96 offset0:2 offset1:3
	s_add_i32 s14, s11, -5
	s_add_i32 s15, s11, -6
	s_waitcnt lgkmcnt(0)
	v_fma_f64 v[92:93], v[102:103], v[98:99], v[92:93]
	s_set_gpr_idx_on s12, gpr_idx(SRC0)
	v_mov_b32_e32 v99, v34
	s_set_gpr_idx_off
	s_set_gpr_idx_on s13, gpr_idx(SRC0)
	v_mov_b32_e32 v98, v34
	s_set_gpr_idx_off
	s_add_i32 s12, s11, -3
	s_add_i32 s13, s11, -4
	v_fma_f64 v[92:93], v[98:99], v[100:101], v[92:93]
	s_set_gpr_idx_on s14, gpr_idx(SRC0)
	v_mov_b32_e32 v103, v34
	s_set_gpr_idx_off
	s_set_gpr_idx_on s15, gpr_idx(SRC0)
	v_mov_b32_e32 v102, v34
	s_set_gpr_idx_off
	ds_read2_b64 v[98:101], v96 offset0:4 offset1:5
	s_add_i32 s14, s11, -1
	s_add_i32 s15, s11, -2
	s_add_u32 s6, s6, 8
	s_addc_u32 s7, s7, 0
	s_waitcnt lgkmcnt(0)
	v_fma_f64 v[92:93], v[102:103], v[98:99], v[92:93]
	s_set_gpr_idx_on s12, gpr_idx(SRC0)
	v_mov_b32_e32 v99, v34
	s_set_gpr_idx_off
	s_set_gpr_idx_on s13, gpr_idx(SRC0)
	v_mov_b32_e32 v98, v34
	s_set_gpr_idx_off
	s_add_i32 s10, s10, 64
	v_fma_f64 v[92:93], v[98:99], v[100:101], v[92:93]
	s_set_gpr_idx_on s14, gpr_idx(SRC0)
	v_mov_b32_e32 v103, v34
	s_set_gpr_idx_off
	s_set_gpr_idx_on s15, gpr_idx(SRC0)
	v_mov_b32_e32 v102, v34
	s_set_gpr_idx_off
	ds_read2_b64 v[98:101], v96 offset0:6 offset1:7
	v_add_u32_e32 v96, s6, v97
	v_cmp_eq_u32_e32 vcc, 10, v96
	s_waitcnt lgkmcnt(0)
	v_fma_f64 v[92:93], v[102:103], v[98:99], v[92:93]
	s_set_gpr_idx_on s11, gpr_idx(SRC0)
	v_mov_b32_e32 v99, v35
	v_mov_b32_e32 v98, v34
	s_set_gpr_idx_off
	s_add_i32 s11, s6, -7
	s_or_b64 s[8:9], vcc, s[8:9]
	v_mov_b32_e32 v96, s11
	v_fma_f64 v[92:93], v[98:99], v[100:101], v[92:93]
	s_andn2_b64 exec, exec, s[8:9]
	s_cbranch_execnz .LBB76_137
; %bb.138:
	s_or_b64 exec, exec, s[8:9]
.LBB76_139:
	s_or_b64 exec, exec, s[2:3]
	v_and_b32_e32 v60, 7, v95
	v_cmp_ne_u32_e32 vcc, 0, v60
	s_and_saveexec_b64 s[6:7], vcc
	s_cbranch_execz .LBB76_143
; %bb.140:
	v_mov_b32_e32 v61, 0x70
	v_lshl_add_u32 v61, v96, 3, v61
	v_mov_b32_e32 v62, 0
	s_mov_b64 s[8:9], 0
.LBB76_141:                             ; =>This Inner Loop Header: Depth=1
	v_cmp_eq_u32_e32 vcc, 1, v96
	v_cndmask_b32_e32 v65, v35, v37, vcc
	v_cmp_eq_u32_e64 s[2:3], 2, v96
	v_cndmask_b32_e64 v65, v65, v39, s[2:3]
	v_cndmask_b32_e32 v95, v34, v36, vcc
	v_cmp_eq_u32_e32 vcc, 3, v96
	v_cndmask_b32_e32 v65, v65, v41, vcc
	v_cndmask_b32_e64 v95, v95, v38, s[2:3]
	v_cmp_eq_u32_e64 s[2:3], 4, v96
	v_cndmask_b32_e64 v65, v65, v43, s[2:3]
	v_cndmask_b32_e32 v95, v95, v40, vcc
	v_cmp_eq_u32_e32 vcc, 5, v96
	v_cndmask_b32_e32 v65, v65, v45, vcc
	v_cndmask_b32_e64 v95, v95, v42, s[2:3]
	;; [unrolled: 6-line block ×3, first 2 shown]
	v_cmp_eq_u32_e64 s[2:3], 8, v96
	v_cndmask_b32_e64 v65, v65, v51, s[2:3]
	v_cndmask_b32_e32 v95, v95, v48, vcc
	v_cmp_eq_u32_e32 vcc, 9, v96
	ds_read_b64 v[63:64], v61
	v_cndmask_b32_e32 v65, v65, v53, vcc
	v_cndmask_b32_e64 v95, v95, v50, s[2:3]
	v_cmp_eq_u32_e64 s[2:3], 10, v96
	v_cndmask_b32_e64 v65, v65, v55, s[2:3]
	v_cndmask_b32_e32 v95, v95, v52, vcc
	v_cmp_eq_u32_e32 vcc, 11, v96
	v_cndmask_b32_e32 v65, v65, v57, vcc
	v_cndmask_b32_e64 v95, v95, v54, s[2:3]
	v_cmp_eq_u32_e64 s[2:3], 12, v96
	v_cndmask_b32_e64 v98, v65, v59, s[2:3]
	v_cndmask_b32_e32 v65, v95, v56, vcc
	v_cndmask_b32_e64 v97, v65, v58, s[2:3]
	s_waitcnt lgkmcnt(0)
	v_fma_f64 v[92:93], v[97:98], v[63:64], v[92:93]
	v_add_u32_e32 v60, -1, v60
	v_cmp_eq_u32_e32 vcc, 0, v60
	s_or_b64 s[8:9], vcc, s[8:9]
	v_add_co_u32_e32 v96, vcc, 1, v96
	v_add_u32_e32 v61, 8, v61
	v_addc_co_u32_e32 v62, vcc, 0, v62, vcc
	s_andn2_b64 exec, exec, s[8:9]
	s_cbranch_execnz .LBB76_141
; %bb.142:
	s_or_b64 exec, exec, s[8:9]
.LBB76_143:
	s_or_b64 exec, exec, s[6:7]
.LBB76_144:
	s_or_b64 exec, exec, s[4:5]
	v_mov_b32_e32 v38, 0
	ds_read_b64 v[38:39], v38 offset:16
	s_waitcnt lgkmcnt(0)
	v_mul_f64 v[38:39], v[92:93], v[38:39]
.LBB76_145:
	s_or_b64 exec, exec, s[28:29]
	v_cmp_lt_u32_e64 s[2:3], 1, v0
	ds_write_b64 v94, v[36:37]
	s_waitcnt lgkmcnt(0)
	; wave barrier
	s_and_saveexec_b64 s[28:29], s[2:3]
	s_cbranch_execz .LBB76_161
; %bb.146:
	s_andn2_b64 vcc, exec, s[26:27]
	s_cbranch_vccnz .LBB76_148
; %bb.147:
	v_cmp_eq_u32_e32 vcc, 1, v0
	v_cndmask_b32_e32 v92, v35, v37, vcc
	v_cmp_eq_u32_e64 s[4:5], 2, v0
	v_cndmask_b32_e64 v92, v92, v39, s[4:5]
	v_cmp_eq_u32_e64 s[6:7], 3, v0
	v_cndmask_b32_e64 v92, v92, v41, s[6:7]
	;; [unrolled: 2-line block ×11, first 2 shown]
	v_cndmask_b32_e32 v92, v34, v36, vcc
	v_cndmask_b32_e64 v92, v92, v38, s[4:5]
	v_cndmask_b32_e64 v92, v92, v40, s[6:7]
	;; [unrolled: 1-line block ×7, first 2 shown]
	ds_read_b64 v[95:96], v94
	v_cndmask_b32_e64 v92, v92, v52, s[18:19]
	v_cndmask_b32_e64 v92, v92, v54, s[20:21]
	;; [unrolled: 1-line block ×4, first 2 shown]
	s_waitcnt lgkmcnt(0)
	v_mul_f64 v[92:93], v[92:93], v[95:96]
	s_cbranch_execz .LBB76_149
	s_branch .LBB76_150
.LBB76_148:
                                        ; implicit-def: $vgpr92_vgpr93
.LBB76_149:
	ds_read_b64 v[92:93], v94
.LBB76_150:
	s_and_saveexec_b64 s[4:5], s[0:1]
	s_cbranch_execz .LBB76_160
; %bb.151:
	v_add_u32_e32 v96, -3, v0
	v_add_u32_e32 v95, -2, v0
	v_cmp_lt_u32_e32 vcc, 6, v96
	v_mov_b32_e32 v96, 2
	s_and_saveexec_b64 s[0:1], vcc
	s_cbranch_execz .LBB76_155
; %bb.152:
	v_and_b32_e32 v96, -8, v95
	v_sub_u32_e32 v97, 0, v96
	s_mov_b64 s[6:7], 9
	s_movk_i32 s10, 0x80
	s_mov_b64 s[8:9], 0
.LBB76_153:                             ; =>This Inner Loop Header: Depth=1
	s_lshl_b32 s11, s6, 1
	s_add_i32 s12, s11, -13
	v_mov_b32_e32 v96, s10
	s_add_i32 s13, s11, -14
	s_set_gpr_idx_on s12, gpr_idx(SRC0)
	v_mov_b32_e32 v107, v34
	s_set_gpr_idx_off
	s_set_gpr_idx_on s13, gpr_idx(SRC0)
	v_mov_b32_e32 v106, v34
	s_set_gpr_idx_off
	ds_read_b128 v[98:101], v96
	ds_read_b128 v[102:105], v96 offset:16
	s_add_i32 s12, s11, -11
	s_add_i32 s13, s11, -12
	s_waitcnt lgkmcnt(1)
	v_fma_f64 v[92:93], v[106:107], v[98:99], v[92:93]
	ds_read_b128 v[106:109], v96 offset:32
	ds_read_b128 v[110:113], v96 offset:48
	s_set_gpr_idx_on s12, gpr_idx(SRC0)
	v_mov_b32_e32 v99, v34
	s_set_gpr_idx_off
	s_set_gpr_idx_on s13, gpr_idx(SRC0)
	v_mov_b32_e32 v98, v34
	s_set_gpr_idx_off
	s_add_i32 s12, s11, -9
	s_add_i32 s13, s11, -10
	v_fma_f64 v[92:93], v[98:99], v[100:101], v[92:93]
	s_set_gpr_idx_on s12, gpr_idx(SRC0)
	v_mov_b32_e32 v99, v34
	s_set_gpr_idx_off
	s_set_gpr_idx_on s13, gpr_idx(SRC0)
	v_mov_b32_e32 v98, v34
	s_set_gpr_idx_off
	s_add_i32 s12, s11, -7
	s_add_i32 s13, s11, -8
	s_waitcnt lgkmcnt(2)
	v_fma_f64 v[92:93], v[98:99], v[102:103], v[92:93]
	s_set_gpr_idx_on s12, gpr_idx(SRC0)
	v_mov_b32_e32 v99, v34
	s_set_gpr_idx_off
	s_set_gpr_idx_on s13, gpr_idx(SRC0)
	v_mov_b32_e32 v98, v34
	s_set_gpr_idx_off
	s_add_i32 s12, s11, -5
	s_add_i32 s13, s11, -6
	v_fma_f64 v[92:93], v[98:99], v[104:105], v[92:93]
	s_set_gpr_idx_on s12, gpr_idx(SRC0)
	v_mov_b32_e32 v99, v34
	s_set_gpr_idx_off
	s_set_gpr_idx_on s13, gpr_idx(SRC0)
	v_mov_b32_e32 v98, v34
	s_set_gpr_idx_off
	s_add_i32 s12, s11, -3
	s_add_i32 s13, s11, -4
	s_waitcnt lgkmcnt(1)
	v_fma_f64 v[92:93], v[98:99], v[106:107], v[92:93]
	s_set_gpr_idx_on s12, gpr_idx(SRC0)
	v_mov_b32_e32 v99, v34
	s_set_gpr_idx_off
	s_set_gpr_idx_on s13, gpr_idx(SRC0)
	v_mov_b32_e32 v98, v34
	s_set_gpr_idx_off
	s_add_i32 s12, s11, -1
	s_add_i32 s13, s11, -2
	s_add_u32 s6, s6, 8
	v_add_u32_e32 v96, s6, v97
	s_addc_u32 s7, s7, 0
	v_fma_f64 v[92:93], v[98:99], v[108:109], v[92:93]
	s_set_gpr_idx_on s12, gpr_idx(SRC0)
	v_mov_b32_e32 v99, v34
	s_set_gpr_idx_off
	s_set_gpr_idx_on s13, gpr_idx(SRC0)
	v_mov_b32_e32 v98, v34
	s_set_gpr_idx_off
	s_add_i32 s10, s10, 64
	v_cmp_eq_u32_e32 vcc, 9, v96
	s_waitcnt lgkmcnt(0)
	v_fma_f64 v[92:93], v[98:99], v[110:111], v[92:93]
	s_set_gpr_idx_on s11, gpr_idx(SRC0)
	v_mov_b32_e32 v99, v35
	v_mov_b32_e32 v98, v34
	s_set_gpr_idx_off
	s_add_i32 s11, s6, -7
	s_or_b64 s[8:9], vcc, s[8:9]
	v_mov_b32_e32 v96, s11
	v_fma_f64 v[92:93], v[98:99], v[112:113], v[92:93]
	s_andn2_b64 exec, exec, s[8:9]
	s_cbranch_execnz .LBB76_153
; %bb.154:
	s_or_b64 exec, exec, s[8:9]
.LBB76_155:
	s_or_b64 exec, exec, s[0:1]
	v_and_b32_e32 v60, 7, v95
	v_cmp_ne_u32_e32 vcc, 0, v60
	s_and_saveexec_b64 s[6:7], vcc
	s_cbranch_execz .LBB76_159
; %bb.156:
	v_mov_b32_e32 v61, 0x70
	v_lshl_add_u32 v61, v96, 3, v61
	v_mov_b32_e32 v62, 0
	s_mov_b64 s[8:9], 0
.LBB76_157:                             ; =>This Inner Loop Header: Depth=1
	v_cmp_eq_u32_e32 vcc, 1, v96
	v_cndmask_b32_e32 v65, v35, v37, vcc
	v_cmp_eq_u32_e64 s[0:1], 2, v96
	v_cndmask_b32_e64 v65, v65, v39, s[0:1]
	v_cndmask_b32_e32 v95, v34, v36, vcc
	v_cmp_eq_u32_e32 vcc, 3, v96
	v_cndmask_b32_e32 v65, v65, v41, vcc
	v_cndmask_b32_e64 v95, v95, v38, s[0:1]
	v_cmp_eq_u32_e64 s[0:1], 4, v96
	v_cndmask_b32_e64 v65, v65, v43, s[0:1]
	v_cndmask_b32_e32 v95, v95, v40, vcc
	v_cmp_eq_u32_e32 vcc, 5, v96
	v_cndmask_b32_e32 v65, v65, v45, vcc
	v_cndmask_b32_e64 v95, v95, v42, s[0:1]
	;; [unrolled: 6-line block ×3, first 2 shown]
	v_cmp_eq_u32_e64 s[0:1], 8, v96
	v_cndmask_b32_e64 v65, v65, v51, s[0:1]
	v_cndmask_b32_e32 v95, v95, v48, vcc
	v_cmp_eq_u32_e32 vcc, 9, v96
	ds_read_b64 v[63:64], v61
	v_cndmask_b32_e32 v65, v65, v53, vcc
	v_cndmask_b32_e64 v95, v95, v50, s[0:1]
	v_cmp_eq_u32_e64 s[0:1], 10, v96
	v_cndmask_b32_e64 v65, v65, v55, s[0:1]
	v_cndmask_b32_e32 v95, v95, v52, vcc
	v_cmp_eq_u32_e32 vcc, 11, v96
	v_cndmask_b32_e32 v65, v65, v57, vcc
	v_cndmask_b32_e64 v95, v95, v54, s[0:1]
	v_cmp_eq_u32_e64 s[0:1], 12, v96
	v_cndmask_b32_e64 v98, v65, v59, s[0:1]
	v_cndmask_b32_e32 v65, v95, v56, vcc
	v_cndmask_b32_e64 v97, v65, v58, s[0:1]
	s_waitcnt lgkmcnt(0)
	v_fma_f64 v[92:93], v[97:98], v[63:64], v[92:93]
	v_add_u32_e32 v60, -1, v60
	v_cmp_eq_u32_e32 vcc, 0, v60
	s_or_b64 s[8:9], vcc, s[8:9]
	v_add_co_u32_e32 v96, vcc, 1, v96
	v_add_u32_e32 v61, 8, v61
	v_addc_co_u32_e32 v62, vcc, 0, v62, vcc
	s_andn2_b64 exec, exec, s[8:9]
	s_cbranch_execnz .LBB76_157
; %bb.158:
	s_or_b64 exec, exec, s[8:9]
.LBB76_159:
	s_or_b64 exec, exec, s[6:7]
.LBB76_160:
	s_or_b64 exec, exec, s[4:5]
	v_mov_b32_e32 v36, 0
	ds_read_b64 v[36:37], v36 offset:8
	s_waitcnt lgkmcnt(0)
	v_mul_f64 v[36:37], v[92:93], v[36:37]
.LBB76_161:
	s_or_b64 exec, exec, s[28:29]
	v_cmp_ne_u32_e32 vcc, 0, v0
	ds_write_b64 v94, v[34:35]
	s_waitcnt lgkmcnt(0)
	; wave barrier
	s_and_saveexec_b64 s[24:25], vcc
	s_cbranch_execz .LBB76_177
; %bb.162:
	s_andn2_b64 vcc, exec, s[26:27]
	s_cbranch_vccnz .LBB76_164
; %bb.163:
	v_cmp_eq_u32_e32 vcc, 1, v0
	v_cndmask_b32_e32 v92, v35, v37, vcc
	v_cmp_eq_u32_e64 s[0:1], 2, v0
	v_cndmask_b32_e64 v92, v92, v39, s[0:1]
	v_cmp_eq_u32_e64 s[4:5], 3, v0
	v_cndmask_b32_e64 v92, v92, v41, s[4:5]
	;; [unrolled: 2-line block ×11, first 2 shown]
	v_cndmask_b32_e32 v92, v34, v36, vcc
	v_cndmask_b32_e64 v92, v92, v38, s[0:1]
	v_cndmask_b32_e64 v92, v92, v40, s[4:5]
	;; [unrolled: 1-line block ×7, first 2 shown]
	ds_read_b64 v[95:96], v94
	v_cndmask_b32_e64 v92, v92, v52, s[16:17]
	v_cndmask_b32_e64 v92, v92, v54, s[18:19]
	;; [unrolled: 1-line block ×4, first 2 shown]
	s_waitcnt lgkmcnt(0)
	v_mul_f64 v[92:93], v[92:93], v[95:96]
	s_cbranch_execz .LBB76_165
	s_branch .LBB76_166
.LBB76_164:
                                        ; implicit-def: $vgpr92_vgpr93
.LBB76_165:
	ds_read_b64 v[92:93], v94
.LBB76_166:
	s_and_saveexec_b64 s[4:5], s[2:3]
	s_cbranch_execz .LBB76_176
; %bb.167:
	v_add_u32_e32 v96, -2, v0
	v_add_u32_e32 v95, -1, v0
	v_cmp_lt_u32_e32 vcc, 6, v96
	v_mov_b32_e32 v96, 1
	s_and_saveexec_b64 s[0:1], vcc
	s_cbranch_execz .LBB76_171
; %bb.168:
	v_and_b32_e32 v96, -8, v95
	v_sub_u32_e32 v97, 0, v96
	s_mov_b64 s[2:3], 8
	s_movk_i32 s8, 0x78
	s_mov_b64 s[6:7], 0
.LBB76_169:                             ; =>This Inner Loop Header: Depth=1
	s_lshl_b32 s9, s2, 1
	s_add_i32 s10, s9, -13
	v_mov_b32_e32 v96, s8
	s_add_i32 s11, s9, -14
	s_set_gpr_idx_on s10, gpr_idx(SRC0)
	v_mov_b32_e32 v103, v34
	s_set_gpr_idx_off
	s_set_gpr_idx_on s11, gpr_idx(SRC0)
	v_mov_b32_e32 v102, v34
	s_set_gpr_idx_off
	ds_read2_b64 v[98:101], v96 offset1:1
	s_add_i32 s10, s9, -11
	s_add_i32 s11, s9, -12
	;; [unrolled: 1-line block ×4, first 2 shown]
	s_waitcnt lgkmcnt(0)
	v_fma_f64 v[92:93], v[102:103], v[98:99], v[92:93]
	s_set_gpr_idx_on s10, gpr_idx(SRC0)
	v_mov_b32_e32 v99, v34
	s_set_gpr_idx_off
	s_set_gpr_idx_on s11, gpr_idx(SRC0)
	v_mov_b32_e32 v98, v34
	s_set_gpr_idx_off
	s_add_i32 s10, s9, -7
	s_add_i32 s11, s9, -8
	v_fma_f64 v[92:93], v[98:99], v[100:101], v[92:93]
	s_set_gpr_idx_on s12, gpr_idx(SRC0)
	v_mov_b32_e32 v103, v34
	s_set_gpr_idx_off
	s_set_gpr_idx_on s13, gpr_idx(SRC0)
	v_mov_b32_e32 v102, v34
	s_set_gpr_idx_off
	ds_read2_b64 v[98:101], v96 offset0:2 offset1:3
	s_add_i32 s12, s9, -5
	s_add_i32 s13, s9, -6
	s_waitcnt lgkmcnt(0)
	v_fma_f64 v[92:93], v[102:103], v[98:99], v[92:93]
	s_set_gpr_idx_on s10, gpr_idx(SRC0)
	v_mov_b32_e32 v99, v34
	s_set_gpr_idx_off
	s_set_gpr_idx_on s11, gpr_idx(SRC0)
	v_mov_b32_e32 v98, v34
	s_set_gpr_idx_off
	s_add_i32 s10, s9, -3
	s_add_i32 s11, s9, -4
	v_fma_f64 v[92:93], v[98:99], v[100:101], v[92:93]
	s_set_gpr_idx_on s12, gpr_idx(SRC0)
	v_mov_b32_e32 v103, v34
	s_set_gpr_idx_off
	s_set_gpr_idx_on s13, gpr_idx(SRC0)
	v_mov_b32_e32 v102, v34
	s_set_gpr_idx_off
	ds_read2_b64 v[98:101], v96 offset0:4 offset1:5
	s_add_i32 s12, s9, -1
	s_add_i32 s13, s9, -2
	s_add_u32 s2, s2, 8
	s_addc_u32 s3, s3, 0
	s_waitcnt lgkmcnt(0)
	v_fma_f64 v[92:93], v[102:103], v[98:99], v[92:93]
	s_set_gpr_idx_on s10, gpr_idx(SRC0)
	v_mov_b32_e32 v99, v34
	s_set_gpr_idx_off
	s_set_gpr_idx_on s11, gpr_idx(SRC0)
	v_mov_b32_e32 v98, v34
	s_set_gpr_idx_off
	s_add_i32 s8, s8, 64
	v_fma_f64 v[92:93], v[98:99], v[100:101], v[92:93]
	s_set_gpr_idx_on s12, gpr_idx(SRC0)
	v_mov_b32_e32 v103, v34
	s_set_gpr_idx_off
	s_set_gpr_idx_on s13, gpr_idx(SRC0)
	v_mov_b32_e32 v102, v34
	s_set_gpr_idx_off
	ds_read2_b64 v[98:101], v96 offset0:6 offset1:7
	v_add_u32_e32 v96, s2, v97
	v_cmp_eq_u32_e32 vcc, 8, v96
	s_waitcnt lgkmcnt(0)
	v_fma_f64 v[92:93], v[102:103], v[98:99], v[92:93]
	s_set_gpr_idx_on s9, gpr_idx(SRC0)
	v_mov_b32_e32 v99, v35
	v_mov_b32_e32 v98, v34
	s_set_gpr_idx_off
	s_add_i32 s9, s2, -7
	s_or_b64 s[6:7], vcc, s[6:7]
	v_mov_b32_e32 v96, s9
	v_fma_f64 v[92:93], v[98:99], v[100:101], v[92:93]
	s_andn2_b64 exec, exec, s[6:7]
	s_cbranch_execnz .LBB76_169
; %bb.170:
	s_or_b64 exec, exec, s[6:7]
.LBB76_171:
	s_or_b64 exec, exec, s[0:1]
	v_and_b32_e32 v60, 7, v95
	v_cmp_ne_u32_e32 vcc, 0, v60
	s_and_saveexec_b64 s[2:3], vcc
	s_cbranch_execz .LBB76_175
; %bb.172:
	v_mov_b32_e32 v61, 0x70
	v_lshl_add_u32 v61, v96, 3, v61
	v_mov_b32_e32 v62, 0
	s_mov_b64 s[6:7], 0
.LBB76_173:                             ; =>This Inner Loop Header: Depth=1
	v_cmp_eq_u32_e32 vcc, 1, v96
	v_cndmask_b32_e32 v65, v35, v37, vcc
	v_cmp_eq_u32_e64 s[0:1], 2, v96
	v_cndmask_b32_e64 v65, v65, v39, s[0:1]
	v_cndmask_b32_e32 v95, v34, v36, vcc
	v_cmp_eq_u32_e32 vcc, 3, v96
	v_cndmask_b32_e32 v65, v65, v41, vcc
	v_cndmask_b32_e64 v95, v95, v38, s[0:1]
	v_cmp_eq_u32_e64 s[0:1], 4, v96
	v_cndmask_b32_e64 v65, v65, v43, s[0:1]
	v_cndmask_b32_e32 v95, v95, v40, vcc
	v_cmp_eq_u32_e32 vcc, 5, v96
	v_cndmask_b32_e32 v65, v65, v45, vcc
	v_cndmask_b32_e64 v95, v95, v42, s[0:1]
	;; [unrolled: 6-line block ×3, first 2 shown]
	v_cmp_eq_u32_e64 s[0:1], 8, v96
	v_cndmask_b32_e64 v65, v65, v51, s[0:1]
	v_cndmask_b32_e32 v95, v95, v48, vcc
	v_cmp_eq_u32_e32 vcc, 9, v96
	ds_read_b64 v[63:64], v61
	v_cndmask_b32_e32 v65, v65, v53, vcc
	v_cndmask_b32_e64 v95, v95, v50, s[0:1]
	v_cmp_eq_u32_e64 s[0:1], 10, v96
	v_cndmask_b32_e64 v65, v65, v55, s[0:1]
	v_cndmask_b32_e32 v95, v95, v52, vcc
	v_cmp_eq_u32_e32 vcc, 11, v96
	v_cndmask_b32_e32 v65, v65, v57, vcc
	v_cndmask_b32_e64 v95, v95, v54, s[0:1]
	v_cmp_eq_u32_e64 s[0:1], 12, v96
	v_cndmask_b32_e64 v98, v65, v59, s[0:1]
	v_cndmask_b32_e32 v65, v95, v56, vcc
	v_cndmask_b32_e64 v97, v65, v58, s[0:1]
	s_waitcnt lgkmcnt(0)
	v_fma_f64 v[92:93], v[97:98], v[63:64], v[92:93]
	v_add_u32_e32 v60, -1, v60
	v_cmp_eq_u32_e32 vcc, 0, v60
	s_or_b64 s[6:7], vcc, s[6:7]
	v_add_co_u32_e32 v96, vcc, 1, v96
	v_add_u32_e32 v61, 8, v61
	v_addc_co_u32_e32 v62, vcc, 0, v62, vcc
	s_andn2_b64 exec, exec, s[6:7]
	s_cbranch_execnz .LBB76_173
; %bb.174:
	s_or_b64 exec, exec, s[6:7]
.LBB76_175:
	s_or_b64 exec, exec, s[2:3]
.LBB76_176:
	s_or_b64 exec, exec, s[4:5]
	v_mov_b32_e32 v34, 0
	ds_read_b64 v[34:35], v34
	s_waitcnt lgkmcnt(0)
	v_mul_f64 v[34:35], v[92:93], v[34:35]
.LBB76_177:
	s_or_b64 exec, exec, s[24:25]
	s_branch .LBB76_301
.LBB76_178:
	v_cmp_eq_u32_e64 s[2:3], 0, v0
	s_waitcnt vmcnt(0) lgkmcnt(0)
	ds_write_b64 v94, v[4:5]
	s_waitcnt lgkmcnt(0)
	; wave barrier
	s_and_saveexec_b64 s[24:25], s[2:3]
	s_cbranch_execz .LBB76_184
; %bb.179:
	s_and_b64 vcc, exec, s[26:27]
	s_cbranch_vccz .LBB76_181
; %bb.180:
	v_cmp_eq_u32_e32 vcc, 1, v0
	v_cndmask_b32_e32 v5, v3, v5, vcc
	v_cmp_eq_u32_e64 s[0:1], 2, v0
	v_cndmask_b32_e32 v4, v2, v4, vcc
	v_cndmask_b32_e64 v5, v5, v7, s[0:1]
	v_cmp_eq_u32_e64 s[4:5], 3, v0
	v_cndmask_b32_e64 v4, v4, v6, s[0:1]
	v_cndmask_b32_e64 v5, v5, v9, s[4:5]
	v_cmp_eq_u32_e64 s[6:7], 4, v0
	v_cndmask_b32_e64 v4, v4, v8, s[4:5]
	;; [unrolled: 3-line block ×7, first 2 shown]
	ds_read_b64 v[28:29], v94
	v_cndmask_b32_e64 v5, v5, v21, s[16:17]
	v_cmp_eq_u32_e64 s[18:19], 10, v0
	v_cndmask_b32_e64 v4, v4, v20, s[16:17]
	v_cndmask_b32_e64 v5, v5, v23, s[18:19]
	v_cmp_eq_u32_e64 s[20:21], 11, v0
	v_cndmask_b32_e64 v4, v4, v22, s[18:19]
	;; [unrolled: 3-line block ×3, first 2 shown]
	v_cndmask_b32_e64 v5, v5, v27, s[22:23]
	v_cndmask_b32_e64 v4, v4, v26, s[22:23]
	s_waitcnt lgkmcnt(0)
	v_mul_f64 v[4:5], v[4:5], v[28:29]
	s_cbranch_execz .LBB76_182
	s_branch .LBB76_183
.LBB76_181:
                                        ; implicit-def: $vgpr4_vgpr5
.LBB76_182:
	ds_read_b64 v[4:5], v94
.LBB76_183:
	v_mov_b32_e32 v28, 0
	ds_read_b64 v[28:29], v28 offset:8
	s_waitcnt lgkmcnt(0)
	v_mul_f64 v[4:5], v[4:5], v[28:29]
.LBB76_184:
	s_or_b64 exec, exec, s[24:25]
	v_cndmask_b32_e64 v34, 0, 1, s[26:27]
	v_cmp_gt_u32_e32 vcc, 2, v0
	v_cmp_ne_u32_e64 s[0:1], 1, v34
	ds_write_b64 v94, v[6:7]
	s_waitcnt lgkmcnt(0)
	; wave barrier
	s_and_saveexec_b64 s[26:27], vcc
	s_cbranch_execz .LBB76_190
; %bb.185:
	s_and_b64 vcc, exec, s[0:1]
	s_cbranch_vccnz .LBB76_187
; %bb.186:
	v_cmp_eq_u32_e32 vcc, 1, v0
	v_cndmask_b32_e32 v28, v3, v5, vcc
	v_cmp_eq_u32_e64 s[4:5], 2, v0
	v_cndmask_b32_e64 v7, v28, v7, s[4:5]
	v_cndmask_b32_e32 v28, v2, v4, vcc
	v_cmp_eq_u32_e64 s[6:7], 3, v0
	v_cndmask_b32_e64 v6, v28, v6, s[4:5]
	v_cndmask_b32_e64 v7, v7, v9, s[6:7]
	v_cmp_eq_u32_e64 s[8:9], 4, v0
	v_cndmask_b32_e64 v6, v6, v8, s[6:7]
	v_cndmask_b32_e64 v7, v7, v11, s[8:9]
	;; [unrolled: 3-line block ×6, first 2 shown]
	v_cmp_eq_u32_e64 s[18:19], 9, v0
	v_cndmask_b32_e64 v6, v6, v18, s[16:17]
	ds_read_b64 v[28:29], v94
	v_cndmask_b32_e64 v7, v7, v21, s[18:19]
	v_cmp_eq_u32_e64 s[20:21], 10, v0
	v_cndmask_b32_e64 v6, v6, v20, s[18:19]
	v_cndmask_b32_e64 v7, v7, v23, s[20:21]
	v_cmp_eq_u32_e64 s[22:23], 11, v0
	v_cndmask_b32_e64 v6, v6, v22, s[20:21]
	;; [unrolled: 3-line block ×3, first 2 shown]
	v_cndmask_b32_e64 v7, v7, v27, s[24:25]
	v_cndmask_b32_e64 v6, v6, v26, s[24:25]
	s_waitcnt lgkmcnt(0)
	v_mul_f64 v[6:7], v[6:7], v[28:29]
	s_cbranch_execz .LBB76_188
	s_branch .LBB76_189
.LBB76_187:
                                        ; implicit-def: $vgpr6_vgpr7
.LBB76_188:
	ds_read_b64 v[6:7], v94
.LBB76_189:
	v_mov_b32_e32 v28, 0
	ds_read2_b64 v[28:31], v28 offset0:2 offset1:15
	s_waitcnt lgkmcnt(0)
	v_fma_f64 v[30:31], v[4:5], v[30:31], v[6:7]
	v_cndmask_b32_e64 v7, v7, v31, s[2:3]
	v_cndmask_b32_e64 v6, v6, v30, s[2:3]
	v_mul_f64 v[6:7], v[6:7], v[28:29]
.LBB76_190:
	s_or_b64 exec, exec, s[26:27]
	v_add_u32_e32 v34, 1, v0
	v_cmp_gt_u32_e64 s[4:5], 3, v0
	ds_write_b64 v94, v[8:9]
	s_waitcnt lgkmcnt(0)
	; wave barrier
	s_and_saveexec_b64 s[28:29], s[4:5]
	s_cbranch_execz .LBB76_198
; %bb.191:
	s_and_b64 vcc, exec, s[0:1]
	s_cbranch_vccnz .LBB76_193
; %bb.192:
	v_cmp_eq_u32_e32 vcc, 1, v0
	v_cndmask_b32_e32 v28, v3, v5, vcc
	v_cmp_eq_u32_e64 s[6:7], 2, v0
	v_cndmask_b32_e64 v28, v28, v7, s[6:7]
	v_cmp_eq_u32_e64 s[8:9], 3, v0
	v_cndmask_b32_e64 v28, v28, v9, s[8:9]
	;; [unrolled: 2-line block ×11, first 2 shown]
	v_cndmask_b32_e32 v28, v2, v4, vcc
	v_cndmask_b32_e64 v28, v28, v6, s[6:7]
	v_cndmask_b32_e64 v28, v28, v8, s[8:9]
	;; [unrolled: 1-line block ×7, first 2 shown]
	ds_read_b64 v[30:31], v94
	v_cndmask_b32_e64 v28, v28, v20, s[20:21]
	v_cndmask_b32_e64 v28, v28, v22, s[22:23]
	;; [unrolled: 1-line block ×4, first 2 shown]
	s_waitcnt lgkmcnt(0)
	v_mul_f64 v[28:29], v[28:29], v[30:31]
	s_cbranch_execz .LBB76_194
	s_branch .LBB76_195
.LBB76_193:
                                        ; implicit-def: $vgpr28_vgpr29
.LBB76_194:
	ds_read_b64 v[28:29], v94
.LBB76_195:
	v_cmp_ne_u32_e32 vcc, 2, v0
	s_and_saveexec_b64 s[30:31], vcc
	s_cbranch_execz .LBB76_197
; %bb.196:
	v_cmp_eq_u32_e32 vcc, 1, v34
	v_cndmask_b32_e32 v30, v3, v5, vcc
	v_cmp_eq_u32_e64 s[6:7], 2, v34
	v_cndmask_b32_e64 v30, v30, v7, s[6:7]
	v_cmp_eq_u32_e64 s[8:9], 3, v34
	v_cndmask_b32_e64 v9, v30, v9, s[8:9]
	v_cndmask_b32_e32 v30, v2, v4, vcc
	v_cndmask_b32_e64 v30, v30, v6, s[6:7]
	v_cmp_eq_u32_e64 s[10:11], 4, v34
	v_cndmask_b32_e64 v8, v30, v8, s[8:9]
	v_cndmask_b32_e64 v9, v9, v11, s[10:11]
	v_cmp_eq_u32_e64 s[12:13], 5, v34
	v_cndmask_b32_e64 v8, v8, v10, s[10:11]
	;; [unrolled: 3-line block ×6, first 2 shown]
	ds_read_b64 v[30:31], v94 offset:8
	v_cndmask_b32_e64 v9, v9, v21, s[20:21]
	v_cmp_eq_u32_e64 s[22:23], 10, v34
	v_cndmask_b32_e64 v8, v8, v20, s[20:21]
	v_cndmask_b32_e64 v9, v9, v23, s[22:23]
	v_cmp_eq_u32_e64 s[24:25], 11, v34
	v_cndmask_b32_e64 v8, v8, v22, s[22:23]
	;; [unrolled: 3-line block ×3, first 2 shown]
	v_cndmask_b32_e64 v9, v9, v27, s[26:27]
	v_cndmask_b32_e64 v8, v8, v26, s[26:27]
	v_mov_b32_e32 v32, 0
	ds_read_b64 v[32:33], v32 offset:128
	s_waitcnt lgkmcnt(1)
	v_fma_f64 v[8:9], v[8:9], v[30:31], v[28:29]
	s_waitcnt lgkmcnt(0)
	v_fma_f64 v[28:29], v[6:7], v[32:33], v[8:9]
	v_cndmask_b32_e64 v29, v9, v29, s[2:3]
	v_cndmask_b32_e64 v28, v8, v28, s[2:3]
.LBB76_197:
	s_or_b64 exec, exec, s[30:31]
	v_mov_b32_e32 v8, 0
	ds_read_b64 v[8:9], v8 offset:24
	s_waitcnt lgkmcnt(0)
	v_mul_f64 v[8:9], v[28:29], v[8:9]
.LBB76_198:
	s_or_b64 exec, exec, s[28:29]
	v_cmp_gt_u32_e32 vcc, 4, v0
	ds_write_b64 v94, v[10:11]
	s_waitcnt lgkmcnt(0)
	; wave barrier
	s_and_saveexec_b64 s[28:29], vcc
	s_cbranch_execz .LBB76_208
; %bb.199:
	s_and_b64 vcc, exec, s[0:1]
	s_cbranch_vccnz .LBB76_201
; %bb.200:
	v_cmp_eq_u32_e32 vcc, 1, v0
	v_cndmask_b32_e32 v28, v3, v5, vcc
	v_cmp_eq_u32_e64 s[6:7], 2, v0
	v_cndmask_b32_e64 v28, v28, v7, s[6:7]
	v_cmp_eq_u32_e64 s[8:9], 3, v0
	v_cndmask_b32_e64 v28, v28, v9, s[8:9]
	;; [unrolled: 2-line block ×11, first 2 shown]
	v_cndmask_b32_e32 v28, v2, v4, vcc
	v_cndmask_b32_e64 v28, v28, v6, s[6:7]
	v_cndmask_b32_e64 v28, v28, v8, s[8:9]
	;; [unrolled: 1-line block ×7, first 2 shown]
	ds_read_b64 v[30:31], v94
	v_cndmask_b32_e64 v28, v28, v20, s[20:21]
	v_cndmask_b32_e64 v28, v28, v22, s[22:23]
	;; [unrolled: 1-line block ×4, first 2 shown]
	s_waitcnt lgkmcnt(0)
	v_mul_f64 v[28:29], v[28:29], v[30:31]
	s_cbranch_execz .LBB76_202
	s_branch .LBB76_203
.LBB76_201:
                                        ; implicit-def: $vgpr28_vgpr29
.LBB76_202:
	ds_read_b64 v[28:29], v94
.LBB76_203:
	v_cmp_ne_u32_e32 vcc, 3, v0
	s_and_saveexec_b64 s[8:9], vcc
	s_cbranch_execz .LBB76_207
; %bb.204:
	v_mov_b32_e32 v30, 0x78
	v_lshl_add_u32 v32, v0, 3, v30
	v_mov_b32_e32 v31, v1
	s_mov_b64 s[10:11], 0
	v_mov_b32_e32 v30, v0
.LBB76_205:                             ; =>This Inner Loop Header: Depth=1
	v_add_co_u32_e32 v30, vcc, 1, v30
	v_addc_co_u32_e32 v31, vcc, 0, v31, vcc
	v_cmp_eq_u32_e32 vcc, 1, v30
	v_cndmask_b32_e32 v33, v3, v5, vcc
	v_cmp_eq_u32_e64 s[6:7], 2, v30
	v_cndmask_b32_e64 v33, v33, v7, s[6:7]
	v_cndmask_b32_e32 v37, v2, v4, vcc
	v_cmp_eq_u32_e32 vcc, 3, v30
	v_cndmask_b32_e32 v33, v33, v9, vcc
	v_cndmask_b32_e64 v37, v37, v6, s[6:7]
	v_cmp_eq_u32_e64 s[6:7], 4, v30
	v_cndmask_b32_e64 v33, v33, v11, s[6:7]
	v_cndmask_b32_e32 v37, v37, v8, vcc
	v_cmp_eq_u32_e32 vcc, 5, v30
	v_cndmask_b32_e32 v33, v33, v13, vcc
	v_cndmask_b32_e64 v37, v37, v10, s[6:7]
	;; [unrolled: 6-line block ×3, first 2 shown]
	v_cmp_eq_u32_e64 s[6:7], 8, v30
	v_cndmask_b32_e64 v33, v33, v19, s[6:7]
	v_cndmask_b32_e32 v37, v37, v16, vcc
	v_cmp_eq_u32_e32 vcc, 9, v30
	ds_read_b64 v[35:36], v32
	v_cndmask_b32_e32 v33, v33, v21, vcc
	v_cndmask_b32_e64 v37, v37, v18, s[6:7]
	v_cmp_eq_u32_e64 s[6:7], 10, v30
	v_cndmask_b32_e64 v33, v33, v23, s[6:7]
	v_cndmask_b32_e32 v37, v37, v20, vcc
	v_cmp_eq_u32_e32 vcc, 11, v30
	v_cndmask_b32_e32 v33, v33, v25, vcc
	v_cndmask_b32_e64 v37, v37, v22, s[6:7]
	v_cmp_eq_u32_e64 s[6:7], 12, v30
	v_cndmask_b32_e64 v38, v33, v27, s[6:7]
	v_cndmask_b32_e32 v33, v37, v24, vcc
	v_cndmask_b32_e64 v37, v33, v26, s[6:7]
	s_waitcnt lgkmcnt(0)
	v_fma_f64 v[28:29], v[37:38], v[35:36], v[28:29]
	v_cmp_lt_u32_e32 vcc, 2, v30
	s_or_b64 s[10:11], vcc, s[10:11]
	v_add_u32_e32 v32, 8, v32
	s_andn2_b64 exec, exec, s[10:11]
	s_cbranch_execnz .LBB76_205
; %bb.206:
	s_or_b64 exec, exec, s[10:11]
.LBB76_207:
	s_or_b64 exec, exec, s[8:9]
	v_mov_b32_e32 v10, 0
	ds_read_b64 v[10:11], v10 offset:32
	s_waitcnt lgkmcnt(0)
	v_mul_f64 v[10:11], v[28:29], v[10:11]
.LBB76_208:
	s_or_b64 exec, exec, s[28:29]
	v_cmp_gt_u32_e64 s[6:7], 5, v0
	ds_write_b64 v94, v[12:13]
	s_waitcnt lgkmcnt(0)
	; wave barrier
	s_and_saveexec_b64 s[30:31], s[6:7]
	s_cbranch_execz .LBB76_218
; %bb.209:
	s_and_b64 vcc, exec, s[0:1]
	s_cbranch_vccnz .LBB76_211
; %bb.210:
	v_cmp_eq_u32_e32 vcc, 1, v0
	v_cndmask_b32_e32 v28, v3, v5, vcc
	v_cmp_eq_u32_e64 s[8:9], 2, v0
	v_cndmask_b32_e64 v28, v28, v7, s[8:9]
	v_cmp_eq_u32_e64 s[10:11], 3, v0
	v_cndmask_b32_e64 v28, v28, v9, s[10:11]
	v_cmp_eq_u32_e64 s[12:13], 4, v0
	v_cndmask_b32_e64 v28, v28, v11, s[12:13]
	v_cmp_eq_u32_e64 s[14:15], 5, v0
	v_cndmask_b32_e64 v28, v28, v13, s[14:15]
	v_cmp_eq_u32_e64 s[16:17], 6, v0
	v_cndmask_b32_e64 v28, v28, v15, s[16:17]
	v_cmp_eq_u32_e64 s[18:19], 7, v0
	v_cndmask_b32_e64 v28, v28, v17, s[18:19]
	v_cmp_eq_u32_e64 s[20:21], 8, v0
	v_cndmask_b32_e64 v28, v28, v19, s[20:21]
	v_cmp_eq_u32_e64 s[22:23], 9, v0
	v_cndmask_b32_e64 v28, v28, v21, s[22:23]
	v_cmp_eq_u32_e64 s[24:25], 10, v0
	v_cndmask_b32_e64 v28, v28, v23, s[24:25]
	v_cmp_eq_u32_e64 s[26:27], 11, v0
	v_cndmask_b32_e64 v28, v28, v25, s[26:27]
	v_cmp_eq_u32_e64 s[28:29], 12, v0
	v_cndmask_b32_e64 v29, v28, v27, s[28:29]
	v_cndmask_b32_e32 v28, v2, v4, vcc
	v_cndmask_b32_e64 v28, v28, v6, s[8:9]
	v_cndmask_b32_e64 v28, v28, v8, s[10:11]
	;; [unrolled: 1-line block ×7, first 2 shown]
	ds_read_b64 v[30:31], v94
	v_cndmask_b32_e64 v28, v28, v20, s[22:23]
	v_cndmask_b32_e64 v28, v28, v22, s[24:25]
	;; [unrolled: 1-line block ×4, first 2 shown]
	s_waitcnt lgkmcnt(0)
	v_mul_f64 v[28:29], v[28:29], v[30:31]
	s_cbranch_execz .LBB76_212
	s_branch .LBB76_213
.LBB76_211:
                                        ; implicit-def: $vgpr28_vgpr29
.LBB76_212:
	ds_read_b64 v[28:29], v94
.LBB76_213:
	v_cmp_ne_u32_e32 vcc, 4, v0
	s_and_saveexec_b64 s[10:11], vcc
	s_cbranch_execz .LBB76_217
; %bb.214:
	v_mov_b32_e32 v30, 0x78
	v_lshl_add_u32 v32, v0, 3, v30
	v_mov_b32_e32 v31, v1
	s_mov_b64 s[12:13], 0
	v_mov_b32_e32 v30, v0
.LBB76_215:                             ; =>This Inner Loop Header: Depth=1
	v_add_co_u32_e32 v30, vcc, 1, v30
	v_addc_co_u32_e32 v31, vcc, 0, v31, vcc
	v_cmp_eq_u32_e32 vcc, 1, v30
	v_cndmask_b32_e32 v33, v3, v5, vcc
	v_cmp_eq_u32_e64 s[8:9], 2, v30
	v_cndmask_b32_e64 v33, v33, v7, s[8:9]
	v_cndmask_b32_e32 v37, v2, v4, vcc
	v_cmp_eq_u32_e32 vcc, 3, v30
	v_cndmask_b32_e32 v33, v33, v9, vcc
	v_cndmask_b32_e64 v37, v37, v6, s[8:9]
	v_cmp_eq_u32_e64 s[8:9], 4, v30
	v_cndmask_b32_e64 v33, v33, v11, s[8:9]
	v_cndmask_b32_e32 v37, v37, v8, vcc
	v_cmp_eq_u32_e32 vcc, 5, v30
	v_cndmask_b32_e32 v33, v33, v13, vcc
	v_cndmask_b32_e64 v37, v37, v10, s[8:9]
	;; [unrolled: 6-line block ×3, first 2 shown]
	v_cmp_eq_u32_e64 s[8:9], 8, v30
	v_cndmask_b32_e64 v33, v33, v19, s[8:9]
	v_cndmask_b32_e32 v37, v37, v16, vcc
	v_cmp_eq_u32_e32 vcc, 9, v30
	ds_read_b64 v[35:36], v32
	v_cndmask_b32_e32 v33, v33, v21, vcc
	v_cndmask_b32_e64 v37, v37, v18, s[8:9]
	v_cmp_eq_u32_e64 s[8:9], 10, v30
	v_cndmask_b32_e64 v33, v33, v23, s[8:9]
	v_cndmask_b32_e32 v37, v37, v20, vcc
	v_cmp_eq_u32_e32 vcc, 11, v30
	v_cndmask_b32_e32 v33, v33, v25, vcc
	v_cndmask_b32_e64 v37, v37, v22, s[8:9]
	v_cmp_eq_u32_e64 s[8:9], 12, v30
	v_cndmask_b32_e64 v38, v33, v27, s[8:9]
	v_cndmask_b32_e32 v33, v37, v24, vcc
	v_cndmask_b32_e64 v37, v33, v26, s[8:9]
	s_waitcnt lgkmcnt(0)
	v_fma_f64 v[28:29], v[37:38], v[35:36], v[28:29]
	v_cmp_lt_u32_e32 vcc, 3, v30
	s_or_b64 s[12:13], vcc, s[12:13]
	v_add_u32_e32 v32, 8, v32
	s_andn2_b64 exec, exec, s[12:13]
	s_cbranch_execnz .LBB76_215
; %bb.216:
	s_or_b64 exec, exec, s[12:13]
.LBB76_217:
	s_or_b64 exec, exec, s[10:11]
	v_mov_b32_e32 v12, 0
	ds_read_b64 v[12:13], v12 offset:40
	s_waitcnt lgkmcnt(0)
	v_mul_f64 v[12:13], v[28:29], v[12:13]
.LBB76_218:
	s_or_b64 exec, exec, s[30:31]
	v_cmp_gt_u32_e32 vcc, 6, v0
	ds_write_b64 v94, v[14:15]
	s_waitcnt lgkmcnt(0)
	; wave barrier
	s_and_saveexec_b64 s[30:31], vcc
	s_cbranch_execz .LBB76_228
; %bb.219:
	s_and_b64 vcc, exec, s[0:1]
	s_cbranch_vccnz .LBB76_221
; %bb.220:
	v_cmp_eq_u32_e32 vcc, 1, v0
	v_cndmask_b32_e32 v28, v3, v5, vcc
	v_cmp_eq_u32_e64 s[8:9], 2, v0
	v_cndmask_b32_e64 v28, v28, v7, s[8:9]
	v_cmp_eq_u32_e64 s[10:11], 3, v0
	v_cndmask_b32_e64 v28, v28, v9, s[10:11]
	;; [unrolled: 2-line block ×11, first 2 shown]
	v_cndmask_b32_e32 v28, v2, v4, vcc
	v_cndmask_b32_e64 v28, v28, v6, s[8:9]
	v_cndmask_b32_e64 v28, v28, v8, s[10:11]
	;; [unrolled: 1-line block ×7, first 2 shown]
	ds_read_b64 v[30:31], v94
	v_cndmask_b32_e64 v28, v28, v20, s[22:23]
	v_cndmask_b32_e64 v28, v28, v22, s[24:25]
	;; [unrolled: 1-line block ×4, first 2 shown]
	s_waitcnt lgkmcnt(0)
	v_mul_f64 v[28:29], v[28:29], v[30:31]
	s_cbranch_execz .LBB76_222
	s_branch .LBB76_223
.LBB76_221:
                                        ; implicit-def: $vgpr28_vgpr29
.LBB76_222:
	ds_read_b64 v[28:29], v94
.LBB76_223:
	v_cmp_ne_u32_e32 vcc, 5, v0
	s_and_saveexec_b64 s[10:11], vcc
	s_cbranch_execz .LBB76_227
; %bb.224:
	v_mov_b32_e32 v30, 0x78
	v_lshl_add_u32 v32, v0, 3, v30
	v_mov_b32_e32 v31, v1
	s_mov_b64 s[12:13], 0
	v_mov_b32_e32 v30, v0
.LBB76_225:                             ; =>This Inner Loop Header: Depth=1
	v_add_co_u32_e32 v30, vcc, 1, v30
	v_addc_co_u32_e32 v31, vcc, 0, v31, vcc
	v_cmp_eq_u32_e32 vcc, 1, v30
	v_cndmask_b32_e32 v33, v3, v5, vcc
	v_cmp_eq_u32_e64 s[8:9], 2, v30
	v_cndmask_b32_e64 v33, v33, v7, s[8:9]
	v_cndmask_b32_e32 v37, v2, v4, vcc
	v_cmp_eq_u32_e32 vcc, 3, v30
	v_cndmask_b32_e32 v33, v33, v9, vcc
	v_cndmask_b32_e64 v37, v37, v6, s[8:9]
	v_cmp_eq_u32_e64 s[8:9], 4, v30
	v_cndmask_b32_e64 v33, v33, v11, s[8:9]
	v_cndmask_b32_e32 v37, v37, v8, vcc
	v_cmp_eq_u32_e32 vcc, 5, v30
	v_cndmask_b32_e32 v33, v33, v13, vcc
	v_cndmask_b32_e64 v37, v37, v10, s[8:9]
	;; [unrolled: 6-line block ×3, first 2 shown]
	v_cmp_eq_u32_e64 s[8:9], 8, v30
	v_cndmask_b32_e64 v33, v33, v19, s[8:9]
	v_cndmask_b32_e32 v37, v37, v16, vcc
	v_cmp_eq_u32_e32 vcc, 9, v30
	ds_read_b64 v[35:36], v32
	v_cndmask_b32_e32 v33, v33, v21, vcc
	v_cndmask_b32_e64 v37, v37, v18, s[8:9]
	v_cmp_eq_u32_e64 s[8:9], 10, v30
	v_cndmask_b32_e64 v33, v33, v23, s[8:9]
	v_cndmask_b32_e32 v37, v37, v20, vcc
	v_cmp_eq_u32_e32 vcc, 11, v30
	v_cndmask_b32_e32 v33, v33, v25, vcc
	v_cndmask_b32_e64 v37, v37, v22, s[8:9]
	v_cmp_eq_u32_e64 s[8:9], 12, v30
	v_cndmask_b32_e64 v38, v33, v27, s[8:9]
	v_cndmask_b32_e32 v33, v37, v24, vcc
	v_cndmask_b32_e64 v37, v33, v26, s[8:9]
	s_waitcnt lgkmcnt(0)
	v_fma_f64 v[28:29], v[37:38], v[35:36], v[28:29]
	v_cmp_lt_u32_e32 vcc, 4, v30
	s_or_b64 s[12:13], vcc, s[12:13]
	v_add_u32_e32 v32, 8, v32
	s_andn2_b64 exec, exec, s[12:13]
	s_cbranch_execnz .LBB76_225
; %bb.226:
	s_or_b64 exec, exec, s[12:13]
.LBB76_227:
	s_or_b64 exec, exec, s[10:11]
	v_mov_b32_e32 v14, 0
	ds_read_b64 v[14:15], v14 offset:48
	s_waitcnt lgkmcnt(0)
	v_mul_f64 v[14:15], v[28:29], v[14:15]
.LBB76_228:
	s_or_b64 exec, exec, s[30:31]
	v_cmp_gt_u32_e64 s[8:9], 7, v0
	ds_write_b64 v94, v[16:17]
	s_waitcnt lgkmcnt(0)
	; wave barrier
	s_and_saveexec_b64 s[34:35], s[8:9]
	s_cbranch_execz .LBB76_238
; %bb.229:
	s_and_b64 vcc, exec, s[0:1]
	s_cbranch_vccnz .LBB76_231
; %bb.230:
	v_cmp_eq_u32_e32 vcc, 1, v0
	v_cndmask_b32_e32 v28, v3, v5, vcc
	v_cmp_eq_u32_e64 s[10:11], 2, v0
	v_cndmask_b32_e64 v28, v28, v7, s[10:11]
	v_cmp_eq_u32_e64 s[12:13], 3, v0
	v_cndmask_b32_e64 v28, v28, v9, s[12:13]
	;; [unrolled: 2-line block ×11, first 2 shown]
	v_cndmask_b32_e32 v28, v2, v4, vcc
	v_cndmask_b32_e64 v28, v28, v6, s[10:11]
	v_cndmask_b32_e64 v28, v28, v8, s[12:13]
	;; [unrolled: 1-line block ×7, first 2 shown]
	ds_read_b64 v[30:31], v94
	v_cndmask_b32_e64 v28, v28, v20, s[24:25]
	v_cndmask_b32_e64 v28, v28, v22, s[26:27]
	;; [unrolled: 1-line block ×4, first 2 shown]
	s_waitcnt lgkmcnt(0)
	v_mul_f64 v[28:29], v[28:29], v[30:31]
	s_cbranch_execz .LBB76_232
	s_branch .LBB76_233
.LBB76_231:
                                        ; implicit-def: $vgpr28_vgpr29
.LBB76_232:
	ds_read_b64 v[28:29], v94
.LBB76_233:
	v_cmp_ne_u32_e32 vcc, 6, v0
	s_and_saveexec_b64 s[12:13], vcc
	s_cbranch_execz .LBB76_237
; %bb.234:
	v_mov_b32_e32 v30, 0x78
	v_lshl_add_u32 v32, v0, 3, v30
	v_mov_b32_e32 v31, v1
	s_mov_b64 s[14:15], 0
	v_mov_b32_e32 v30, v0
.LBB76_235:                             ; =>This Inner Loop Header: Depth=1
	v_add_co_u32_e32 v30, vcc, 1, v30
	v_addc_co_u32_e32 v31, vcc, 0, v31, vcc
	v_cmp_eq_u32_e32 vcc, 1, v30
	v_cndmask_b32_e32 v33, v3, v5, vcc
	v_cmp_eq_u32_e64 s[10:11], 2, v30
	v_cndmask_b32_e64 v33, v33, v7, s[10:11]
	v_cndmask_b32_e32 v37, v2, v4, vcc
	v_cmp_eq_u32_e32 vcc, 3, v30
	v_cndmask_b32_e32 v33, v33, v9, vcc
	v_cndmask_b32_e64 v37, v37, v6, s[10:11]
	v_cmp_eq_u32_e64 s[10:11], 4, v30
	v_cndmask_b32_e64 v33, v33, v11, s[10:11]
	v_cndmask_b32_e32 v37, v37, v8, vcc
	v_cmp_eq_u32_e32 vcc, 5, v30
	v_cndmask_b32_e32 v33, v33, v13, vcc
	v_cndmask_b32_e64 v37, v37, v10, s[10:11]
	;; [unrolled: 6-line block ×3, first 2 shown]
	v_cmp_eq_u32_e64 s[10:11], 8, v30
	v_cndmask_b32_e64 v33, v33, v19, s[10:11]
	v_cndmask_b32_e32 v37, v37, v16, vcc
	v_cmp_eq_u32_e32 vcc, 9, v30
	ds_read_b64 v[35:36], v32
	v_cndmask_b32_e32 v33, v33, v21, vcc
	v_cndmask_b32_e64 v37, v37, v18, s[10:11]
	v_cmp_eq_u32_e64 s[10:11], 10, v30
	v_cndmask_b32_e64 v33, v33, v23, s[10:11]
	v_cndmask_b32_e32 v37, v37, v20, vcc
	v_cmp_eq_u32_e32 vcc, 11, v30
	v_cndmask_b32_e32 v33, v33, v25, vcc
	v_cndmask_b32_e64 v37, v37, v22, s[10:11]
	v_cmp_eq_u32_e64 s[10:11], 12, v30
	v_cndmask_b32_e64 v38, v33, v27, s[10:11]
	v_cndmask_b32_e32 v33, v37, v24, vcc
	v_cndmask_b32_e64 v37, v33, v26, s[10:11]
	s_waitcnt lgkmcnt(0)
	v_fma_f64 v[28:29], v[37:38], v[35:36], v[28:29]
	v_cmp_lt_u32_e32 vcc, 5, v30
	s_or_b64 s[14:15], vcc, s[14:15]
	v_add_u32_e32 v32, 8, v32
	s_andn2_b64 exec, exec, s[14:15]
	s_cbranch_execnz .LBB76_235
; %bb.236:
	s_or_b64 exec, exec, s[14:15]
.LBB76_237:
	s_or_b64 exec, exec, s[12:13]
	v_mov_b32_e32 v16, 0
	ds_read_b64 v[16:17], v16 offset:56
	s_waitcnt lgkmcnt(0)
	v_mul_f64 v[16:17], v[28:29], v[16:17]
.LBB76_238:
	s_or_b64 exec, exec, s[34:35]
	v_cmp_gt_u32_e32 vcc, 8, v0
	ds_write_b64 v94, v[18:19]
	s_waitcnt lgkmcnt(0)
	; wave barrier
	s_and_saveexec_b64 s[34:35], vcc
	s_cbranch_execz .LBB76_248
; %bb.239:
	s_and_b64 vcc, exec, s[0:1]
	s_cbranch_vccnz .LBB76_241
; %bb.240:
	v_cmp_eq_u32_e32 vcc, 1, v0
	v_cndmask_b32_e32 v28, v3, v5, vcc
	v_cmp_eq_u32_e64 s[10:11], 2, v0
	v_cndmask_b32_e64 v28, v28, v7, s[10:11]
	v_cmp_eq_u32_e64 s[12:13], 3, v0
	v_cndmask_b32_e64 v28, v28, v9, s[12:13]
	;; [unrolled: 2-line block ×11, first 2 shown]
	v_cndmask_b32_e32 v28, v2, v4, vcc
	v_cndmask_b32_e64 v28, v28, v6, s[10:11]
	v_cndmask_b32_e64 v28, v28, v8, s[12:13]
	;; [unrolled: 1-line block ×7, first 2 shown]
	ds_read_b64 v[30:31], v94
	v_cndmask_b32_e64 v28, v28, v20, s[24:25]
	v_cndmask_b32_e64 v28, v28, v22, s[26:27]
	v_cndmask_b32_e64 v28, v28, v24, s[28:29]
	v_cndmask_b32_e64 v28, v28, v26, s[30:31]
	s_waitcnt lgkmcnt(0)
	v_mul_f64 v[28:29], v[28:29], v[30:31]
	s_cbranch_execz .LBB76_242
	s_branch .LBB76_243
.LBB76_241:
                                        ; implicit-def: $vgpr28_vgpr29
.LBB76_242:
	ds_read_b64 v[28:29], v94
.LBB76_243:
	v_cmp_ne_u32_e32 vcc, 7, v0
	s_and_saveexec_b64 s[12:13], vcc
	s_cbranch_execz .LBB76_247
; %bb.244:
	v_mov_b32_e32 v30, 0x78
	v_lshl_add_u32 v32, v0, 3, v30
	v_mov_b32_e32 v31, v1
	s_mov_b64 s[14:15], 0
	v_mov_b32_e32 v30, v0
.LBB76_245:                             ; =>This Inner Loop Header: Depth=1
	v_add_co_u32_e32 v30, vcc, 1, v30
	v_addc_co_u32_e32 v31, vcc, 0, v31, vcc
	v_cmp_eq_u32_e32 vcc, 1, v30
	v_cndmask_b32_e32 v33, v3, v5, vcc
	v_cmp_eq_u32_e64 s[10:11], 2, v30
	v_cndmask_b32_e64 v33, v33, v7, s[10:11]
	v_cndmask_b32_e32 v37, v2, v4, vcc
	v_cmp_eq_u32_e32 vcc, 3, v30
	v_cndmask_b32_e32 v33, v33, v9, vcc
	v_cndmask_b32_e64 v37, v37, v6, s[10:11]
	v_cmp_eq_u32_e64 s[10:11], 4, v30
	v_cndmask_b32_e64 v33, v33, v11, s[10:11]
	v_cndmask_b32_e32 v37, v37, v8, vcc
	v_cmp_eq_u32_e32 vcc, 5, v30
	v_cndmask_b32_e32 v33, v33, v13, vcc
	v_cndmask_b32_e64 v37, v37, v10, s[10:11]
	;; [unrolled: 6-line block ×3, first 2 shown]
	v_cmp_eq_u32_e64 s[10:11], 8, v30
	v_cndmask_b32_e64 v33, v33, v19, s[10:11]
	v_cndmask_b32_e32 v37, v37, v16, vcc
	v_cmp_eq_u32_e32 vcc, 9, v30
	ds_read_b64 v[35:36], v32
	v_cndmask_b32_e32 v33, v33, v21, vcc
	v_cndmask_b32_e64 v37, v37, v18, s[10:11]
	v_cmp_eq_u32_e64 s[10:11], 10, v30
	v_cndmask_b32_e64 v33, v33, v23, s[10:11]
	v_cndmask_b32_e32 v37, v37, v20, vcc
	v_cmp_eq_u32_e32 vcc, 11, v30
	v_cndmask_b32_e32 v33, v33, v25, vcc
	v_cndmask_b32_e64 v37, v37, v22, s[10:11]
	v_cmp_eq_u32_e64 s[10:11], 12, v30
	v_cndmask_b32_e64 v38, v33, v27, s[10:11]
	v_cndmask_b32_e32 v33, v37, v24, vcc
	v_cndmask_b32_e64 v37, v33, v26, s[10:11]
	s_waitcnt lgkmcnt(0)
	v_fma_f64 v[28:29], v[37:38], v[35:36], v[28:29]
	v_cmp_lt_u32_e32 vcc, 6, v30
	s_or_b64 s[14:15], vcc, s[14:15]
	v_add_u32_e32 v32, 8, v32
	s_andn2_b64 exec, exec, s[14:15]
	s_cbranch_execnz .LBB76_245
; %bb.246:
	s_or_b64 exec, exec, s[14:15]
.LBB76_247:
	s_or_b64 exec, exec, s[12:13]
	v_mov_b32_e32 v18, 0
	ds_read_b64 v[18:19], v18 offset:64
	s_waitcnt lgkmcnt(0)
	v_mul_f64 v[18:19], v[28:29], v[18:19]
.LBB76_248:
	s_or_b64 exec, exec, s[34:35]
	v_cmp_gt_u32_e32 vcc, 9, v0
	ds_write_b64 v94, v[20:21]
	s_waitcnt lgkmcnt(0)
	; wave barrier
	s_and_saveexec_b64 s[34:35], vcc
	s_cbranch_execz .LBB76_270
; %bb.249:
	s_and_b64 vcc, exec, s[0:1]
	s_cbranch_vccnz .LBB76_251
; %bb.250:
	v_cmp_eq_u32_e32 vcc, 1, v0
	v_cndmask_b32_e32 v28, v3, v5, vcc
	v_cmp_eq_u32_e64 s[10:11], 2, v0
	v_cndmask_b32_e64 v28, v28, v7, s[10:11]
	v_cmp_eq_u32_e64 s[12:13], 3, v0
	v_cndmask_b32_e64 v28, v28, v9, s[12:13]
	;; [unrolled: 2-line block ×11, first 2 shown]
	v_cndmask_b32_e32 v28, v2, v4, vcc
	v_cndmask_b32_e64 v28, v28, v6, s[10:11]
	v_cndmask_b32_e64 v28, v28, v8, s[12:13]
	;; [unrolled: 1-line block ×7, first 2 shown]
	ds_read_b64 v[30:31], v94
	v_cndmask_b32_e64 v28, v28, v20, s[24:25]
	v_cndmask_b32_e64 v28, v28, v22, s[26:27]
	;; [unrolled: 1-line block ×4, first 2 shown]
	s_waitcnt lgkmcnt(0)
	v_mul_f64 v[28:29], v[28:29], v[30:31]
	s_cbranch_execz .LBB76_252
	s_branch .LBB76_253
.LBB76_251:
                                        ; implicit-def: $vgpr28_vgpr29
.LBB76_252:
	ds_read_b64 v[28:29], v94
.LBB76_253:
	v_cmp_ne_u32_e32 vcc, 8, v0
	s_and_saveexec_b64 s[36:37], vcc
	s_cbranch_execz .LBB76_269
; %bb.254:
	v_cmp_eq_u32_e32 vcc, 1, v34
	v_cndmask_b32_e32 v30, v3, v5, vcc
	v_cmp_eq_u32_e64 s[10:11], 2, v34
	v_cndmask_b32_e64 v30, v30, v7, s[10:11]
	v_cmp_eq_u32_e64 s[12:13], 3, v34
	v_cndmask_b32_e64 v30, v30, v9, s[12:13]
	;; [unrolled: 2-line block ×11, first 2 shown]
	v_cndmask_b32_e32 v30, v2, v4, vcc
	v_cndmask_b32_e64 v30, v30, v6, s[10:11]
	v_cndmask_b32_e64 v30, v30, v8, s[12:13]
	;; [unrolled: 1-line block ×7, first 2 shown]
	ds_read_b64 v[32:33], v94 offset:8
	v_cndmask_b32_e64 v30, v30, v20, s[24:25]
	v_cndmask_b32_e64 v30, v30, v22, s[26:27]
	;; [unrolled: 1-line block ×4, first 2 shown]
	s_waitcnt lgkmcnt(0)
	v_fma_f64 v[28:29], v[30:31], v[32:33], v[28:29]
	s_and_saveexec_b64 s[30:31], s[8:9]
	s_cbranch_execz .LBB76_268
; %bb.255:
	v_add_u32_e32 v30, 2, v0
	v_cmp_eq_u32_e32 vcc, 1, v30
	v_cndmask_b32_e32 v31, v3, v5, vcc
	v_cmp_eq_u32_e64 s[8:9], 2, v30
	v_cmp_eq_u32_e64 s[10:11], 3, v30
	;; [unrolled: 1-line block ×11, first 2 shown]
	v_cndmask_b32_e32 v30, v2, v4, vcc
	v_cndmask_b32_e64 v31, v31, v7, s[8:9]
	v_cndmask_b32_e64 v30, v30, v6, s[8:9]
	v_cndmask_b32_e64 v31, v31, v9, s[10:11]
	v_cndmask_b32_e64 v30, v30, v8, s[10:11]
	v_cndmask_b32_e64 v31, v31, v11, s[12:13]
	v_cndmask_b32_e64 v30, v30, v10, s[12:13]
	v_cndmask_b32_e64 v31, v31, v13, s[14:15]
	v_cndmask_b32_e64 v30, v30, v12, s[14:15]
	v_cndmask_b32_e64 v31, v31, v15, s[16:17]
	v_cndmask_b32_e64 v30, v30, v14, s[16:17]
	v_cndmask_b32_e64 v31, v31, v17, s[18:19]
	v_cndmask_b32_e64 v30, v30, v16, s[18:19]
	v_cndmask_b32_e64 v31, v31, v19, s[20:21]
	v_cndmask_b32_e64 v30, v30, v18, s[20:21]
	ds_read_b64 v[32:33], v94 offset:16
	v_cndmask_b32_e64 v31, v31, v21, s[22:23]
	v_cndmask_b32_e64 v30, v30, v20, s[22:23]
	;; [unrolled: 1-line block ×8, first 2 shown]
	s_waitcnt lgkmcnt(0)
	v_fma_f64 v[28:29], v[30:31], v[32:33], v[28:29]
	v_cmp_ne_u32_e32 vcc, 6, v0
	s_and_saveexec_b64 s[38:39], vcc
	s_cbranch_execz .LBB76_267
; %bb.256:
	v_add_u32_e32 v30, 3, v0
	v_cmp_eq_u32_e32 vcc, 1, v30
	v_cndmask_b32_e32 v31, v3, v5, vcc
	v_cmp_eq_u32_e64 s[8:9], 2, v30
	v_cmp_eq_u32_e64 s[10:11], 3, v30
	;; [unrolled: 1-line block ×11, first 2 shown]
	v_cndmask_b32_e32 v30, v2, v4, vcc
	v_cndmask_b32_e64 v31, v31, v7, s[8:9]
	v_cndmask_b32_e64 v30, v30, v6, s[8:9]
	;; [unrolled: 1-line block ×14, first 2 shown]
	ds_read_b64 v[32:33], v94 offset:24
	v_cndmask_b32_e64 v31, v31, v21, s[22:23]
	v_cndmask_b32_e64 v30, v30, v20, s[22:23]
	;; [unrolled: 1-line block ×8, first 2 shown]
	s_waitcnt lgkmcnt(0)
	v_fma_f64 v[28:29], v[30:31], v[32:33], v[28:29]
	s_and_saveexec_b64 s[28:29], s[6:7]
	s_cbranch_execz .LBB76_266
; %bb.257:
	v_add_u32_e32 v30, 4, v0
	v_cmp_eq_u32_e32 vcc, 1, v30
	v_cndmask_b32_e32 v31, v3, v5, vcc
	v_cmp_eq_u32_e64 s[6:7], 2, v30
	v_cmp_eq_u32_e64 s[8:9], 3, v30
	;; [unrolled: 1-line block ×11, first 2 shown]
	v_cndmask_b32_e32 v30, v2, v4, vcc
	v_cndmask_b32_e64 v31, v31, v7, s[6:7]
	v_cndmask_b32_e64 v30, v30, v6, s[6:7]
	;; [unrolled: 1-line block ×14, first 2 shown]
	ds_read_b64 v[32:33], v94 offset:32
	v_cndmask_b32_e64 v31, v31, v21, s[20:21]
	v_cndmask_b32_e64 v30, v30, v20, s[20:21]
	;; [unrolled: 1-line block ×8, first 2 shown]
	s_waitcnt lgkmcnt(0)
	v_fma_f64 v[28:29], v[30:31], v[32:33], v[28:29]
	v_cmp_ne_u32_e32 vcc, 4, v0
	s_and_saveexec_b64 s[40:41], vcc
	s_cbranch_execz .LBB76_265
; %bb.258:
	v_add_u32_e32 v30, 5, v0
	v_cmp_eq_u32_e32 vcc, 1, v30
	v_cndmask_b32_e32 v31, v3, v5, vcc
	v_cmp_eq_u32_e64 s[6:7], 2, v30
	v_cmp_eq_u32_e64 s[8:9], 3, v30
	;; [unrolled: 1-line block ×11, first 2 shown]
	v_cndmask_b32_e32 v30, v2, v4, vcc
	v_cndmask_b32_e64 v31, v31, v7, s[6:7]
	v_cndmask_b32_e64 v30, v30, v6, s[6:7]
	;; [unrolled: 1-line block ×14, first 2 shown]
	ds_read_b64 v[32:33], v94 offset:40
	v_cndmask_b32_e64 v31, v31, v21, s[20:21]
	v_cndmask_b32_e64 v30, v30, v20, s[20:21]
	;; [unrolled: 1-line block ×8, first 2 shown]
	s_waitcnt lgkmcnt(0)
	v_fma_f64 v[28:29], v[30:31], v[32:33], v[28:29]
	s_and_saveexec_b64 s[26:27], s[4:5]
	s_cbranch_execz .LBB76_264
; %bb.259:
	v_add_u32_e32 v30, 6, v0
	v_cmp_eq_u32_e32 vcc, 1, v30
	v_cndmask_b32_e32 v31, v3, v5, vcc
	v_cmp_eq_u32_e64 s[4:5], 2, v30
	v_cmp_eq_u32_e64 s[6:7], 3, v30
	;; [unrolled: 1-line block ×11, first 2 shown]
	v_cndmask_b32_e32 v30, v2, v4, vcc
	v_cndmask_b32_e64 v31, v31, v7, s[4:5]
	v_cndmask_b32_e64 v30, v30, v6, s[4:5]
	;; [unrolled: 1-line block ×14, first 2 shown]
	ds_read_b64 v[32:33], v94 offset:48
	v_cndmask_b32_e64 v31, v31, v21, s[18:19]
	v_cndmask_b32_e64 v30, v30, v20, s[18:19]
	v_cndmask_b32_e64 v31, v31, v23, s[20:21]
	v_cndmask_b32_e64 v30, v30, v22, s[20:21]
	v_cndmask_b32_e64 v31, v31, v25, s[22:23]
	v_cndmask_b32_e64 v30, v30, v24, s[22:23]
	v_cndmask_b32_e64 v31, v31, v27, s[24:25]
	v_cndmask_b32_e64 v30, v30, v26, s[24:25]
	s_waitcnt lgkmcnt(0)
	v_fma_f64 v[28:29], v[30:31], v[32:33], v[28:29]
	v_cmp_ne_u32_e32 vcc, 2, v0
	s_and_saveexec_b64 s[42:43], vcc
	s_cbranch_execz .LBB76_263
; %bb.260:
	v_add_u32_e32 v30, 7, v0
	v_cmp_eq_u32_e32 vcc, 1, v30
	v_cndmask_b32_e32 v31, v3, v5, vcc
	v_cmp_eq_u32_e64 s[4:5], 2, v30
	v_cndmask_b32_e64 v31, v31, v7, s[4:5]
	v_cmp_eq_u32_e64 s[6:7], 3, v30
	v_cmp_eq_u32_e64 s[8:9], 4, v30
	;; [unrolled: 1-line block ×10, first 2 shown]
	v_cndmask_b32_e32 v30, v2, v4, vcc
	v_cndmask_b32_e64 v31, v31, v9, s[6:7]
	v_cndmask_b32_e64 v30, v30, v6, s[4:5]
	;; [unrolled: 1-line block ×14, first 2 shown]
	ds_read_b64 v[30:31], v94 offset:56
	v_cndmask_b32_e64 v20, v32, v20, s[18:19]
	v_cndmask_b32_e64 v21, v21, v23, s[20:21]
	v_cndmask_b32_e64 v20, v20, v22, s[20:21]
	v_cndmask_b32_e64 v21, v21, v25, s[22:23]
	v_cndmask_b32_e64 v20, v20, v24, s[22:23]
	v_cndmask_b32_e64 v21, v21, v27, s[24:25]
	v_cndmask_b32_e64 v20, v20, v26, s[24:25]
	s_waitcnt lgkmcnt(0)
	v_fma_f64 v[28:29], v[20:21], v[30:31], v[28:29]
	s_and_saveexec_b64 s[4:5], s[2:3]
	s_cbranch_execz .LBB76_262
; %bb.261:
	ds_read_b64 v[20:21], v94 offset:64
	s_waitcnt lgkmcnt(0)
	v_fma_f64 v[28:29], v[18:19], v[20:21], v[28:29]
.LBB76_262:
	s_or_b64 exec, exec, s[4:5]
.LBB76_263:
	s_or_b64 exec, exec, s[42:43]
.LBB76_264:
	s_or_b64 exec, exec, s[26:27]
.LBB76_265:
	s_or_b64 exec, exec, s[40:41]
.LBB76_266:
	s_or_b64 exec, exec, s[28:29]
.LBB76_267:
	s_or_b64 exec, exec, s[38:39]
.LBB76_268:
	s_or_b64 exec, exec, s[30:31]
.LBB76_269:
	s_or_b64 exec, exec, s[36:37]
	v_mov_b32_e32 v20, 0
	ds_read_b64 v[20:21], v20 offset:72
	s_waitcnt lgkmcnt(0)
	v_mul_f64 v[20:21], v[28:29], v[20:21]
.LBB76_270:
	s_or_b64 exec, exec, s[34:35]
	v_cmp_gt_u32_e32 vcc, 10, v0
	ds_write_b64 v94, v[22:23]
	s_waitcnt lgkmcnt(0)
	; wave barrier
	s_and_saveexec_b64 s[24:25], vcc
	s_cbranch_execz .LBB76_280
; %bb.271:
	s_and_b64 vcc, exec, s[0:1]
	s_cbranch_vccnz .LBB76_273
; %bb.272:
	v_cmp_eq_u32_e32 vcc, 1, v0
	v_cndmask_b32_e32 v28, v3, v5, vcc
	v_cmp_eq_u32_e64 s[2:3], 2, v0
	v_cndmask_b32_e64 v28, v28, v7, s[2:3]
	v_cmp_eq_u32_e64 s[4:5], 3, v0
	v_cndmask_b32_e64 v28, v28, v9, s[4:5]
	;; [unrolled: 2-line block ×11, first 2 shown]
	v_cndmask_b32_e32 v28, v2, v4, vcc
	v_cndmask_b32_e64 v28, v28, v6, s[2:3]
	v_cndmask_b32_e64 v28, v28, v8, s[4:5]
	;; [unrolled: 1-line block ×7, first 2 shown]
	ds_read_b64 v[30:31], v94
	v_cndmask_b32_e64 v28, v28, v20, s[16:17]
	v_cndmask_b32_e64 v28, v28, v22, s[18:19]
	;; [unrolled: 1-line block ×4, first 2 shown]
	s_waitcnt lgkmcnt(0)
	v_mul_f64 v[28:29], v[28:29], v[30:31]
	s_cbranch_execz .LBB76_274
	s_branch .LBB76_275
.LBB76_273:
                                        ; implicit-def: $vgpr28_vgpr29
.LBB76_274:
	ds_read_b64 v[28:29], v94
.LBB76_275:
	v_cmp_ne_u32_e32 vcc, 9, v0
	s_and_saveexec_b64 s[4:5], vcc
	s_cbranch_execz .LBB76_279
; %bb.276:
	v_mov_b32_e32 v30, 0x78
	v_lshl_add_u32 v32, v0, 3, v30
	v_mov_b32_e32 v31, v1
	s_mov_b64 s[6:7], 0
	v_mov_b32_e32 v30, v0
.LBB76_277:                             ; =>This Inner Loop Header: Depth=1
	v_add_co_u32_e32 v30, vcc, 1, v30
	v_addc_co_u32_e32 v31, vcc, 0, v31, vcc
	v_cmp_eq_u32_e32 vcc, 1, v30
	v_cndmask_b32_e32 v35, v3, v5, vcc
	v_cmp_eq_u32_e64 s[2:3], 2, v30
	v_cndmask_b32_e64 v35, v35, v7, s[2:3]
	v_cndmask_b32_e32 v36, v2, v4, vcc
	v_cmp_eq_u32_e32 vcc, 3, v30
	v_cndmask_b32_e32 v35, v35, v9, vcc
	v_cndmask_b32_e64 v36, v36, v6, s[2:3]
	v_cmp_eq_u32_e64 s[2:3], 4, v30
	v_cndmask_b32_e64 v35, v35, v11, s[2:3]
	v_cndmask_b32_e32 v36, v36, v8, vcc
	v_cmp_eq_u32_e32 vcc, 5, v30
	v_cndmask_b32_e32 v35, v35, v13, vcc
	v_cndmask_b32_e64 v36, v36, v10, s[2:3]
	;; [unrolled: 6-line block ×3, first 2 shown]
	v_cmp_eq_u32_e64 s[2:3], 8, v30
	v_cndmask_b32_e64 v35, v35, v19, s[2:3]
	v_cndmask_b32_e32 v36, v36, v16, vcc
	v_cmp_eq_u32_e32 vcc, 9, v30
	ds_read_b64 v[33:34], v32
	v_cndmask_b32_e32 v35, v35, v21, vcc
	v_cndmask_b32_e64 v36, v36, v18, s[2:3]
	v_cmp_eq_u32_e64 s[2:3], 10, v30
	v_cndmask_b32_e64 v35, v35, v23, s[2:3]
	v_cndmask_b32_e32 v36, v36, v20, vcc
	v_cmp_eq_u32_e32 vcc, 11, v30
	v_cndmask_b32_e32 v35, v35, v25, vcc
	v_cndmask_b32_e64 v37, v36, v22, s[2:3]
	v_cmp_eq_u32_e64 s[2:3], 12, v30
	v_cndmask_b32_e64 v36, v35, v27, s[2:3]
	v_cndmask_b32_e32 v35, v37, v24, vcc
	v_cndmask_b32_e64 v35, v35, v26, s[2:3]
	s_waitcnt lgkmcnt(0)
	v_fma_f64 v[28:29], v[35:36], v[33:34], v[28:29]
	v_cmp_lt_u32_e32 vcc, 8, v30
	s_or_b64 s[6:7], vcc, s[6:7]
	v_add_u32_e32 v32, 8, v32
	s_andn2_b64 exec, exec, s[6:7]
	s_cbranch_execnz .LBB76_277
; %bb.278:
	s_or_b64 exec, exec, s[6:7]
.LBB76_279:
	s_or_b64 exec, exec, s[4:5]
	v_mov_b32_e32 v22, 0
	ds_read_b64 v[22:23], v22 offset:80
	s_waitcnt lgkmcnt(0)
	v_mul_f64 v[22:23], v[28:29], v[22:23]
.LBB76_280:
	s_or_b64 exec, exec, s[24:25]
	v_cmp_gt_u32_e64 s[2:3], 11, v0
	ds_write_b64 v94, v[24:25]
	s_waitcnt lgkmcnt(0)
	; wave barrier
	s_and_saveexec_b64 s[26:27], s[2:3]
	s_cbranch_execz .LBB76_290
; %bb.281:
	s_and_b64 vcc, exec, s[0:1]
	s_cbranch_vccnz .LBB76_283
; %bb.282:
	v_cmp_eq_u32_e32 vcc, 1, v0
	v_cndmask_b32_e32 v28, v3, v5, vcc
	v_cmp_eq_u32_e64 s[4:5], 2, v0
	v_cndmask_b32_e64 v28, v28, v7, s[4:5]
	v_cmp_eq_u32_e64 s[6:7], 3, v0
	v_cndmask_b32_e64 v28, v28, v9, s[6:7]
	;; [unrolled: 2-line block ×11, first 2 shown]
	v_cndmask_b32_e32 v28, v2, v4, vcc
	v_cndmask_b32_e64 v28, v28, v6, s[4:5]
	v_cndmask_b32_e64 v28, v28, v8, s[6:7]
	;; [unrolled: 1-line block ×7, first 2 shown]
	ds_read_b64 v[30:31], v94
	v_cndmask_b32_e64 v28, v28, v20, s[18:19]
	v_cndmask_b32_e64 v28, v28, v22, s[20:21]
	;; [unrolled: 1-line block ×4, first 2 shown]
	s_waitcnt lgkmcnt(0)
	v_mul_f64 v[28:29], v[28:29], v[30:31]
	s_cbranch_execz .LBB76_284
	s_branch .LBB76_285
.LBB76_283:
                                        ; implicit-def: $vgpr28_vgpr29
.LBB76_284:
	ds_read_b64 v[28:29], v94
.LBB76_285:
	v_cmp_ne_u32_e32 vcc, 10, v0
	s_and_saveexec_b64 s[6:7], vcc
	s_cbranch_execz .LBB76_289
; %bb.286:
	v_mov_b32_e32 v30, 0x78
	v_lshl_add_u32 v32, v0, 3, v30
	v_mov_b32_e32 v31, v1
	s_mov_b64 s[8:9], 0
	v_mov_b32_e32 v30, v0
.LBB76_287:                             ; =>This Inner Loop Header: Depth=1
	v_add_co_u32_e32 v30, vcc, 1, v30
	v_addc_co_u32_e32 v31, vcc, 0, v31, vcc
	v_cmp_eq_u32_e32 vcc, 1, v30
	v_cndmask_b32_e32 v35, v3, v5, vcc
	v_cmp_eq_u32_e64 s[4:5], 2, v30
	v_cndmask_b32_e64 v35, v35, v7, s[4:5]
	v_cndmask_b32_e32 v36, v2, v4, vcc
	v_cmp_eq_u32_e32 vcc, 3, v30
	v_cndmask_b32_e32 v35, v35, v9, vcc
	v_cndmask_b32_e64 v36, v36, v6, s[4:5]
	v_cmp_eq_u32_e64 s[4:5], 4, v30
	v_cndmask_b32_e64 v35, v35, v11, s[4:5]
	v_cndmask_b32_e32 v36, v36, v8, vcc
	v_cmp_eq_u32_e32 vcc, 5, v30
	v_cndmask_b32_e32 v35, v35, v13, vcc
	v_cndmask_b32_e64 v36, v36, v10, s[4:5]
	;; [unrolled: 6-line block ×3, first 2 shown]
	v_cmp_eq_u32_e64 s[4:5], 8, v30
	v_cndmask_b32_e64 v35, v35, v19, s[4:5]
	v_cndmask_b32_e32 v36, v36, v16, vcc
	v_cmp_eq_u32_e32 vcc, 9, v30
	ds_read_b64 v[33:34], v32
	v_cndmask_b32_e32 v35, v35, v21, vcc
	v_cndmask_b32_e64 v36, v36, v18, s[4:5]
	v_cmp_eq_u32_e64 s[4:5], 10, v30
	v_cndmask_b32_e64 v35, v35, v23, s[4:5]
	v_cndmask_b32_e32 v36, v36, v20, vcc
	v_cmp_eq_u32_e32 vcc, 11, v30
	v_cndmask_b32_e32 v35, v35, v25, vcc
	v_cndmask_b32_e64 v37, v36, v22, s[4:5]
	v_cmp_eq_u32_e64 s[4:5], 12, v30
	v_cndmask_b32_e64 v36, v35, v27, s[4:5]
	v_cndmask_b32_e32 v35, v37, v24, vcc
	v_cndmask_b32_e64 v35, v35, v26, s[4:5]
	s_waitcnt lgkmcnt(0)
	v_fma_f64 v[28:29], v[35:36], v[33:34], v[28:29]
	v_cmp_lt_u32_e32 vcc, 9, v30
	s_or_b64 s[8:9], vcc, s[8:9]
	v_add_u32_e32 v32, 8, v32
	s_andn2_b64 exec, exec, s[8:9]
	s_cbranch_execnz .LBB76_287
; %bb.288:
	s_or_b64 exec, exec, s[8:9]
.LBB76_289:
	s_or_b64 exec, exec, s[6:7]
	v_mov_b32_e32 v24, 0
	ds_read_b64 v[24:25], v24 offset:88
	s_waitcnt lgkmcnt(0)
	v_mul_f64 v[24:25], v[28:29], v[24:25]
.LBB76_290:
	s_or_b64 exec, exec, s[26:27]
	v_cmp_ne_u32_e32 vcc, 12, v0
	ds_write_b64 v94, v[26:27]
	s_waitcnt lgkmcnt(0)
	; wave barrier
	s_and_saveexec_b64 s[24:25], vcc
	s_cbranch_execz .LBB76_300
; %bb.291:
	s_and_b64 vcc, exec, s[0:1]
	s_cbranch_vccnz .LBB76_293
; %bb.292:
	v_cmp_eq_u32_e32 vcc, 1, v0
	v_cndmask_b32_e32 v28, v3, v5, vcc
	v_cmp_eq_u32_e64 s[0:1], 2, v0
	v_cndmask_b32_e64 v28, v28, v7, s[0:1]
	v_cmp_eq_u32_e64 s[4:5], 3, v0
	v_cndmask_b32_e64 v28, v28, v9, s[4:5]
	v_cmp_eq_u32_e64 s[6:7], 4, v0
	v_cndmask_b32_e64 v28, v28, v11, s[6:7]
	v_cmp_eq_u32_e64 s[8:9], 5, v0
	v_cndmask_b32_e64 v28, v28, v13, s[8:9]
	v_cmp_eq_u32_e64 s[10:11], 6, v0
	v_cndmask_b32_e64 v28, v28, v15, s[10:11]
	v_cmp_eq_u32_e64 s[12:13], 7, v0
	v_cndmask_b32_e64 v28, v28, v17, s[12:13]
	v_cmp_eq_u32_e64 s[14:15], 8, v0
	v_cndmask_b32_e64 v28, v28, v19, s[14:15]
	v_cmp_eq_u32_e64 s[16:17], 9, v0
	v_cndmask_b32_e64 v28, v28, v21, s[16:17]
	v_cmp_eq_u32_e64 s[18:19], 10, v0
	v_cndmask_b32_e64 v28, v28, v23, s[18:19]
	v_cmp_eq_u32_e64 s[20:21], 11, v0
	v_cndmask_b32_e64 v28, v28, v25, s[20:21]
	v_cmp_eq_u32_e64 s[22:23], 12, v0
	v_cndmask_b32_e64 v29, v28, v27, s[22:23]
	v_cndmask_b32_e32 v28, v2, v4, vcc
	v_cndmask_b32_e64 v28, v28, v6, s[0:1]
	v_cndmask_b32_e64 v28, v28, v8, s[4:5]
	;; [unrolled: 1-line block ×7, first 2 shown]
	ds_read_b64 v[30:31], v94
	v_cndmask_b32_e64 v28, v28, v20, s[16:17]
	v_cndmask_b32_e64 v28, v28, v22, s[18:19]
	;; [unrolled: 1-line block ×4, first 2 shown]
	s_waitcnt lgkmcnt(0)
	v_mul_f64 v[28:29], v[28:29], v[30:31]
	s_cbranch_execz .LBB76_294
	s_branch .LBB76_295
.LBB76_293:
                                        ; implicit-def: $vgpr28_vgpr29
.LBB76_294:
	ds_read_b64 v[28:29], v94
.LBB76_295:
	s_and_saveexec_b64 s[4:5], s[2:3]
	s_cbranch_execz .LBB76_299
; %bb.296:
	v_mov_b32_e32 v30, 0x78
	v_lshl_add_u32 v30, v0, 3, v30
	s_mov_b64 s[2:3], 0
.LBB76_297:                             ; =>This Inner Loop Header: Depth=1
	v_add_co_u32_e32 v0, vcc, 1, v0
	v_addc_co_u32_e32 v1, vcc, 0, v1, vcc
	v_cmp_eq_u32_e32 vcc, 1, v0
	v_cndmask_b32_e32 v33, v3, v5, vcc
	v_cmp_eq_u32_e64 s[0:1], 2, v0
	v_cndmask_b32_e64 v33, v33, v7, s[0:1]
	v_cndmask_b32_e32 v34, v2, v4, vcc
	v_cmp_eq_u32_e32 vcc, 3, v0
	v_cndmask_b32_e32 v33, v33, v9, vcc
	v_cndmask_b32_e64 v34, v34, v6, s[0:1]
	v_cmp_eq_u32_e64 s[0:1], 4, v0
	v_cndmask_b32_e64 v33, v33, v11, s[0:1]
	v_cndmask_b32_e32 v34, v34, v8, vcc
	v_cmp_eq_u32_e32 vcc, 5, v0
	v_cndmask_b32_e32 v33, v33, v13, vcc
	v_cndmask_b32_e64 v34, v34, v10, s[0:1]
	;; [unrolled: 6-line block ×3, first 2 shown]
	v_cmp_eq_u32_e64 s[0:1], 8, v0
	v_cndmask_b32_e64 v33, v33, v19, s[0:1]
	v_cndmask_b32_e32 v34, v34, v16, vcc
	v_cmp_eq_u32_e32 vcc, 9, v0
	ds_read_b64 v[31:32], v30
	v_cndmask_b32_e32 v33, v33, v21, vcc
	v_cndmask_b32_e64 v34, v34, v18, s[0:1]
	v_cmp_eq_u32_e64 s[0:1], 10, v0
	v_cndmask_b32_e64 v33, v33, v23, s[0:1]
	v_cndmask_b32_e32 v34, v34, v20, vcc
	v_cmp_eq_u32_e32 vcc, 11, v0
	v_cndmask_b32_e32 v33, v33, v25, vcc
	v_cndmask_b32_e64 v35, v34, v22, s[0:1]
	v_cmp_eq_u32_e64 s[0:1], 12, v0
	v_cndmask_b32_e64 v34, v33, v27, s[0:1]
	v_cndmask_b32_e32 v33, v35, v24, vcc
	v_cndmask_b32_e64 v33, v33, v26, s[0:1]
	s_waitcnt lgkmcnt(0)
	v_fma_f64 v[28:29], v[33:34], v[31:32], v[28:29]
	v_cmp_lt_u32_e32 vcc, 10, v0
	s_or_b64 s[2:3], vcc, s[2:3]
	v_add_u32_e32 v30, 8, v30
	s_andn2_b64 exec, exec, s[2:3]
	s_cbranch_execnz .LBB76_297
; %bb.298:
	s_or_b64 exec, exec, s[2:3]
.LBB76_299:
	s_or_b64 exec, exec, s[4:5]
	v_mov_b32_e32 v0, 0
	ds_read_b64 v[0:1], v0 offset:96
	s_waitcnt lgkmcnt(0)
	v_mul_f64 v[26:27], v[28:29], v[0:1]
.LBB76_300:
	s_or_b64 exec, exec, s[24:25]
	v_mov_b32_e32 v65, v33
	v_mov_b32_e32 v64, v32
	;; [unrolled: 1-line block ×32, first 2 shown]
.LBB76_301:
	flat_store_dwordx2 v[88:89], v[34:35]
	flat_store_dwordx2 v[90:91], v[36:37]
	;; [unrolled: 1-line block ×13, first 2 shown]
.LBB76_302:
	s_endpgm
	.section	.rodata,"a",@progbits
	.p2align	6, 0x0
	.amdhsa_kernel _ZN9rocsolver6v33100L18trti2_kernel_smallILi13EdPKPdEEv13rocblas_fill_17rocblas_diagonal_T1_iil
		.amdhsa_group_segment_fixed_size 216
		.amdhsa_private_segment_fixed_size 0
		.amdhsa_kernarg_size 32
		.amdhsa_user_sgpr_count 6
		.amdhsa_user_sgpr_private_segment_buffer 1
		.amdhsa_user_sgpr_dispatch_ptr 0
		.amdhsa_user_sgpr_queue_ptr 0
		.amdhsa_user_sgpr_kernarg_segment_ptr 1
		.amdhsa_user_sgpr_dispatch_id 0
		.amdhsa_user_sgpr_flat_scratch_init 0
		.amdhsa_user_sgpr_private_segment_size 0
		.amdhsa_uses_dynamic_stack 0
		.amdhsa_system_sgpr_private_segment_wavefront_offset 0
		.amdhsa_system_sgpr_workgroup_id_x 1
		.amdhsa_system_sgpr_workgroup_id_y 0
		.amdhsa_system_sgpr_workgroup_id_z 0
		.amdhsa_system_sgpr_workgroup_info 0
		.amdhsa_system_vgpr_workitem_id 0
		.amdhsa_next_free_vgpr 114
		.amdhsa_next_free_sgpr 44
		.amdhsa_reserve_vcc 1
		.amdhsa_reserve_flat_scratch 0
		.amdhsa_float_round_mode_32 0
		.amdhsa_float_round_mode_16_64 0
		.amdhsa_float_denorm_mode_32 3
		.amdhsa_float_denorm_mode_16_64 3
		.amdhsa_dx10_clamp 1
		.amdhsa_ieee_mode 1
		.amdhsa_fp16_overflow 0
		.amdhsa_exception_fp_ieee_invalid_op 0
		.amdhsa_exception_fp_denorm_src 0
		.amdhsa_exception_fp_ieee_div_zero 0
		.amdhsa_exception_fp_ieee_overflow 0
		.amdhsa_exception_fp_ieee_underflow 0
		.amdhsa_exception_fp_ieee_inexact 0
		.amdhsa_exception_int_div_zero 0
	.end_amdhsa_kernel
	.section	.text._ZN9rocsolver6v33100L18trti2_kernel_smallILi13EdPKPdEEv13rocblas_fill_17rocblas_diagonal_T1_iil,"axG",@progbits,_ZN9rocsolver6v33100L18trti2_kernel_smallILi13EdPKPdEEv13rocblas_fill_17rocblas_diagonal_T1_iil,comdat
.Lfunc_end76:
	.size	_ZN9rocsolver6v33100L18trti2_kernel_smallILi13EdPKPdEEv13rocblas_fill_17rocblas_diagonal_T1_iil, .Lfunc_end76-_ZN9rocsolver6v33100L18trti2_kernel_smallILi13EdPKPdEEv13rocblas_fill_17rocblas_diagonal_T1_iil
                                        ; -- End function
	.set _ZN9rocsolver6v33100L18trti2_kernel_smallILi13EdPKPdEEv13rocblas_fill_17rocblas_diagonal_T1_iil.num_vgpr, 114
	.set _ZN9rocsolver6v33100L18trti2_kernel_smallILi13EdPKPdEEv13rocblas_fill_17rocblas_diagonal_T1_iil.num_agpr, 0
	.set _ZN9rocsolver6v33100L18trti2_kernel_smallILi13EdPKPdEEv13rocblas_fill_17rocblas_diagonal_T1_iil.numbered_sgpr, 44
	.set _ZN9rocsolver6v33100L18trti2_kernel_smallILi13EdPKPdEEv13rocblas_fill_17rocblas_diagonal_T1_iil.num_named_barrier, 0
	.set _ZN9rocsolver6v33100L18trti2_kernel_smallILi13EdPKPdEEv13rocblas_fill_17rocblas_diagonal_T1_iil.private_seg_size, 0
	.set _ZN9rocsolver6v33100L18trti2_kernel_smallILi13EdPKPdEEv13rocblas_fill_17rocblas_diagonal_T1_iil.uses_vcc, 1
	.set _ZN9rocsolver6v33100L18trti2_kernel_smallILi13EdPKPdEEv13rocblas_fill_17rocblas_diagonal_T1_iil.uses_flat_scratch, 0
	.set _ZN9rocsolver6v33100L18trti2_kernel_smallILi13EdPKPdEEv13rocblas_fill_17rocblas_diagonal_T1_iil.has_dyn_sized_stack, 0
	.set _ZN9rocsolver6v33100L18trti2_kernel_smallILi13EdPKPdEEv13rocblas_fill_17rocblas_diagonal_T1_iil.has_recursion, 0
	.set _ZN9rocsolver6v33100L18trti2_kernel_smallILi13EdPKPdEEv13rocblas_fill_17rocblas_diagonal_T1_iil.has_indirect_call, 0
	.section	.AMDGPU.csdata,"",@progbits
; Kernel info:
; codeLenInByte = 23544
; TotalNumSgprs: 48
; NumVgprs: 114
; ScratchSize: 0
; MemoryBound: 0
; FloatMode: 240
; IeeeMode: 1
; LDSByteSize: 216 bytes/workgroup (compile time only)
; SGPRBlocks: 5
; VGPRBlocks: 28
; NumSGPRsForWavesPerEU: 48
; NumVGPRsForWavesPerEU: 114
; Occupancy: 2
; WaveLimiterHint : 1
; COMPUTE_PGM_RSRC2:SCRATCH_EN: 0
; COMPUTE_PGM_RSRC2:USER_SGPR: 6
; COMPUTE_PGM_RSRC2:TRAP_HANDLER: 0
; COMPUTE_PGM_RSRC2:TGID_X_EN: 1
; COMPUTE_PGM_RSRC2:TGID_Y_EN: 0
; COMPUTE_PGM_RSRC2:TGID_Z_EN: 0
; COMPUTE_PGM_RSRC2:TIDIG_COMP_CNT: 0
	.section	.text._ZN9rocsolver6v33100L18trti2_kernel_smallILi14EdPKPdEEv13rocblas_fill_17rocblas_diagonal_T1_iil,"axG",@progbits,_ZN9rocsolver6v33100L18trti2_kernel_smallILi14EdPKPdEEv13rocblas_fill_17rocblas_diagonal_T1_iil,comdat
	.globl	_ZN9rocsolver6v33100L18trti2_kernel_smallILi14EdPKPdEEv13rocblas_fill_17rocblas_diagonal_T1_iil ; -- Begin function _ZN9rocsolver6v33100L18trti2_kernel_smallILi14EdPKPdEEv13rocblas_fill_17rocblas_diagonal_T1_iil
	.p2align	8
	.type	_ZN9rocsolver6v33100L18trti2_kernel_smallILi14EdPKPdEEv13rocblas_fill_17rocblas_diagonal_T1_iil,@function
_ZN9rocsolver6v33100L18trti2_kernel_smallILi14EdPKPdEEv13rocblas_fill_17rocblas_diagonal_T1_iil: ; @_ZN9rocsolver6v33100L18trti2_kernel_smallILi14EdPKPdEEv13rocblas_fill_17rocblas_diagonal_T1_iil
; %bb.0:
	v_cmp_gt_u32_e32 vcc, 14, v0
	s_and_saveexec_b64 s[0:1], vcc
	s_cbranch_execz .LBB77_328
; %bb.1:
	s_load_dwordx2 s[0:1], s[4:5], 0x10
	s_load_dwordx4 s[28:31], s[4:5], 0x0
	s_ashr_i32 s7, s6, 31
	s_lshl_b64 s[2:3], s[6:7], 3
	v_lshlrev_b32_e32 v36, 3, v0
	s_waitcnt lgkmcnt(0)
	s_ashr_i32 s5, s0, 31
	s_add_u32 s2, s30, s2
	s_addc_u32 s3, s31, s3
	s_load_dwordx2 s[2:3], s[2:3], 0x0
	s_mov_b32 s4, s0
	s_lshl_b64 s[4:5], s[4:5], 3
	v_mov_b32_e32 v34, 0
	v_mov_b32_e32 v35, 0xbff00000
	s_waitcnt lgkmcnt(0)
	s_add_u32 s0, s2, s4
	s_addc_u32 s2, s3, s5
	s_add_i32 s3, s1, s1
	v_add_u32_e32 v1, s3, v0
	v_ashrrev_i32_e32 v2, 31, v1
	v_lshlrev_b64 v[2:3], 3, v[1:2]
	v_add_u32_e32 v1, s1, v1
	v_mov_b32_e32 v4, s2
	v_add_co_u32_e32 v66, vcc, s0, v2
	v_ashrrev_i32_e32 v2, 31, v1
	v_addc_co_u32_e32 v67, vcc, v4, v3, vcc
	v_lshlrev_b64 v[2:3], 3, v[1:2]
	v_add_u32_e32 v1, s1, v1
	v_add_co_u32_e32 v68, vcc, s0, v2
	v_ashrrev_i32_e32 v2, 31, v1
	v_addc_co_u32_e32 v69, vcc, v4, v3, vcc
	v_lshlrev_b64 v[2:3], 3, v[1:2]
	v_add_u32_e32 v1, s1, v1
	;; [unrolled: 5-line block ×10, first 2 shown]
	v_add_co_u32_e32 v86, vcc, s0, v2
	v_ashrrev_i32_e32 v2, 31, v1
	v_lshlrev_b64 v[1:2], 3, v[1:2]
	v_addc_co_u32_e32 v87, vcc, v4, v3, vcc
	v_mov_b32_e32 v3, s2
	v_add_co_u32_e32 v88, vcc, s0, v1
	v_addc_co_u32_e32 v89, vcc, v3, v2, vcc
	v_mov_b32_e32 v1, s2
	v_add_co_u32_e32 v90, vcc, s0, v36
	s_ashr_i32 s3, s1, 31
	s_mov_b32 s2, s1
	v_addc_co_u32_e32 v91, vcc, 0, v1, vcc
	s_lshl_b64 s[0:1], s[2:3], 3
	v_mov_b32_e32 v1, s1
	v_add_co_u32_e32 v92, vcc, s0, v90
	v_addc_co_u32_e32 v93, vcc, v91, v1, vcc
	flat_load_dwordx2 v[2:3], v[90:91]
	flat_load_dwordx2 v[4:5], v[92:93]
	;; [unrolled: 1-line block ×14, first 2 shown]
	s_cmpk_lg_i32 s29, 0x84
	s_cselect_b64 s[30:31], -1, 0
	s_cmpk_eq_i32 s29, 0x84
	v_mov_b32_e32 v1, 0
	s_cbranch_scc1 .LBB77_3
; %bb.2:
	v_cmp_eq_u32_e64 s[0:1], 1, v0
	s_waitcnt vmcnt(0) lgkmcnt(0)
	v_cndmask_b32_e64 v30, v3, v5, s[0:1]
	v_cmp_eq_u32_e64 s[2:3], 2, v0
	v_cndmask_b32_e64 v30, v30, v7, s[2:3]
	v_cmp_eq_u32_e64 s[4:5], 3, v0
	;; [unrolled: 2-line block ×12, first 2 shown]
	v_cndmask_b32_e64 v31, v30, v29, s[24:25]
	v_cndmask_b32_e64 v30, v2, v4, s[0:1]
	;; [unrolled: 1-line block ×14, first 2 shown]
	v_div_scale_f64 v[32:33], s[26:27], v[30:31], v[30:31], 1.0
	v_rcp_f64_e32 v[34:35], v[32:33]
	v_fma_f64 v[37:38], -v[32:33], v[34:35], 1.0
	v_fma_f64 v[34:35], v[34:35], v[37:38], v[34:35]
	v_div_scale_f64 v[37:38], vcc, 1.0, v[30:31], 1.0
	v_fma_f64 v[39:40], -v[32:33], v[34:35], 1.0
	v_fma_f64 v[34:35], v[34:35], v[39:40], v[34:35]
	v_mul_f64 v[39:40], v[37:38], v[34:35]
	v_fma_f64 v[32:33], -v[32:33], v[39:40], v[37:38]
	v_div_fmas_f64 v[32:33], v[32:33], v[34:35], v[39:40]
	v_cmp_eq_u32_e32 vcc, 0, v0
	v_div_fixup_f64 v[34:35], v[32:33], v[30:31], 1.0
	v_cndmask_b32_e64 v29, v29, v35, s[24:25]
	v_cndmask_b32_e64 v28, v28, v34, s[24:25]
	;; [unrolled: 1-line block ×26, first 2 shown]
	v_cndmask_b32_e32 v3, v3, v35, vcc
	v_cndmask_b32_e32 v2, v2, v34, vcc
	v_xor_b32_e32 v35, 0x80000000, v35
.LBB77_3:
	s_cmpk_eq_i32 s28, 0x79
	v_add_u32_e32 v96, 0x70, v36
	ds_write_b64 v36, v[34:35]
	s_cbranch_scc1 .LBB77_7
; %bb.4:
	s_waitcnt vmcnt(0) lgkmcnt(0)
	v_mov_b32_e32 v65, v33
	v_mov_b32_e32 v64, v32
	;; [unrolled: 1-line block ×32, first 2 shown]
	v_cmp_eq_u32_e64 s[0:1], 13, v0
	ds_write_b64 v96, v[26:27]
	s_waitcnt lgkmcnt(0)
	; wave barrier
	s_and_saveexec_b64 s[26:27], s[0:1]
	s_cbranch_execz .LBB77_11
; %bb.5:
	s_and_b64 vcc, exec, s[30:31]
	s_cbranch_vccz .LBB77_8
; %bb.6:
	v_cmp_eq_u32_e32 vcc, 1, v0
	v_cndmask_b32_e32 v34, v3, v5, vcc
	v_cmp_eq_u32_e64 s[2:3], 2, v0
	v_cndmask_b32_e64 v34, v34, v7, s[2:3]
	v_cmp_eq_u32_e64 s[4:5], 3, v0
	v_cndmask_b32_e64 v34, v34, v9, s[4:5]
	;; [unrolled: 2-line block ×12, first 2 shown]
	v_cndmask_b32_e32 v34, v2, v4, vcc
	v_cndmask_b32_e64 v34, v34, v6, s[2:3]
	v_cndmask_b32_e64 v34, v34, v8, s[4:5]
	;; [unrolled: 1-line block ×8, first 2 shown]
	ds_read_b64 v[36:37], v96
	v_cndmask_b32_e64 v34, v34, v22, s[18:19]
	v_cndmask_b32_e64 v34, v34, v24, s[20:21]
	;; [unrolled: 1-line block ×4, first 2 shown]
	s_waitcnt lgkmcnt(0)
	v_mul_f64 v[38:39], v[34:35], v[36:37]
	s_cbranch_execz .LBB77_9
	s_branch .LBB77_10
.LBB77_7:
                                        ; implicit-def: $vgpr34_vgpr35_vgpr36_vgpr37_vgpr38_vgpr39_vgpr40_vgpr41_vgpr42_vgpr43_vgpr44_vgpr45_vgpr46_vgpr47_vgpr48_vgpr49_vgpr50_vgpr51_vgpr52_vgpr53_vgpr54_vgpr55_vgpr56_vgpr57_vgpr58_vgpr59_vgpr60_vgpr61_vgpr62_vgpr63_vgpr64_vgpr65
	s_cbranch_execnz .LBB77_194
	s_branch .LBB77_327
.LBB77_8:
                                        ; implicit-def: $vgpr38_vgpr39
.LBB77_9:
	ds_read_b64 v[38:39], v96
.LBB77_10:
	v_mov_b32_e32 v34, 0
	ds_read_b64 v[40:41], v34 offset:96
	v_mov_b32_e32 v34, v2
	v_mov_b32_e32 v35, v3
	;; [unrolled: 1-line block ×4, first 2 shown]
	s_waitcnt lgkmcnt(0)
	v_mul_f64 v[58:59], v[38:39], v[40:41]
	v_mov_b32_e32 v38, v6
	v_mov_b32_e32 v39, v7
	;; [unrolled: 1-line block ×22, first 2 shown]
.LBB77_11:
	s_or_b64 exec, exec, s[26:27]
	v_cmp_lt_u32_e64 s[2:3], 11, v0
	ds_write_b64 v96, v[56:57]
	s_waitcnt lgkmcnt(0)
	; wave barrier
	s_and_saveexec_b64 s[28:29], s[2:3]
	s_cbranch_execz .LBB77_17
; %bb.12:
	s_andn2_b64 vcc, exec, s[30:31]
	s_cbranch_vccnz .LBB77_14
; %bb.13:
	v_cmp_eq_u32_e32 vcc, 1, v0
	v_cndmask_b32_e32 v62, v35, v37, vcc
	v_cmp_eq_u32_e64 s[4:5], 2, v0
	v_cndmask_b32_e64 v62, v62, v39, s[4:5]
	v_cmp_eq_u32_e64 s[6:7], 3, v0
	v_cndmask_b32_e64 v62, v62, v41, s[6:7]
	;; [unrolled: 2-line block ×10, first 2 shown]
	v_cndmask_b32_e32 v62, v34, v36, vcc
	v_cndmask_b32_e64 v62, v62, v38, s[4:5]
	v_cndmask_b32_e64 v62, v62, v40, s[6:7]
	;; [unrolled: 1-line block ×8, first 2 shown]
	ds_read_b64 v[62:63], v96
	v_cndmask_b32_e64 v64, v64, v54, s[20:21]
	v_cmp_eq_u32_e64 s[24:25], 12, v0
	v_cndmask_b32_e64 v56, v64, v56, s[22:23]
	v_cndmask_b32_e64 v57, v57, v59, s[24:25]
	v_cmp_eq_u32_e64 s[26:27], 13, v0
	v_cndmask_b32_e64 v56, v56, v58, s[24:25]
	v_cndmask_b32_e64 v57, v57, v61, s[26:27]
	;; [unrolled: 1-line block ×3, first 2 shown]
	s_waitcnt lgkmcnt(0)
	v_mul_f64 v[56:57], v[56:57], v[62:63]
	s_cbranch_execz .LBB77_15
	s_branch .LBB77_16
.LBB77_14:
                                        ; implicit-def: $vgpr56_vgpr57
.LBB77_15:
	ds_read_b64 v[56:57], v96
.LBB77_16:
	v_mov_b32_e32 v62, 0
	ds_read2_b64 v[62:65], v62 offset0:11 offset1:26
	s_waitcnt lgkmcnt(0)
	v_fma_f64 v[64:65], v[58:59], v[64:65], v[56:57]
	v_cndmask_b32_e64 v57, v57, v65, s[0:1]
	v_cndmask_b32_e64 v56, v56, v64, s[0:1]
	v_mul_f64 v[56:57], v[56:57], v[62:63]
.LBB77_17:
	s_or_b64 exec, exec, s[28:29]
	v_cmp_lt_u32_e64 s[0:1], 10, v0
	ds_write_b64 v96, v[54:55]
	s_waitcnt lgkmcnt(0)
	; wave barrier
	s_and_saveexec_b64 s[28:29], s[0:1]
	s_cbranch_execz .LBB77_33
; %bb.18:
	s_andn2_b64 vcc, exec, s[30:31]
	s_cbranch_vccnz .LBB77_20
; %bb.19:
	v_cmp_eq_u32_e32 vcc, 1, v0
	v_cndmask_b32_e32 v94, v35, v37, vcc
	v_cmp_eq_u32_e64 s[4:5], 2, v0
	v_cndmask_b32_e64 v94, v94, v39, s[4:5]
	v_cmp_eq_u32_e64 s[6:7], 3, v0
	v_cndmask_b32_e64 v94, v94, v41, s[6:7]
	;; [unrolled: 2-line block ×12, first 2 shown]
	v_cndmask_b32_e32 v94, v34, v36, vcc
	v_cndmask_b32_e64 v94, v94, v38, s[4:5]
	v_cndmask_b32_e64 v94, v94, v40, s[6:7]
	;; [unrolled: 1-line block ×8, first 2 shown]
	ds_read_b64 v[97:98], v96
	v_cndmask_b32_e64 v94, v94, v54, s[20:21]
	v_cndmask_b32_e64 v94, v94, v56, s[22:23]
	;; [unrolled: 1-line block ×4, first 2 shown]
	s_waitcnt lgkmcnt(0)
	v_mul_f64 v[94:95], v[94:95], v[97:98]
	s_cbranch_execz .LBB77_21
	s_branch .LBB77_22
.LBB77_20:
                                        ; implicit-def: $vgpr94_vgpr95
.LBB77_21:
	ds_read_b64 v[94:95], v96
.LBB77_22:
	s_and_saveexec_b64 s[4:5], s[2:3]
	s_cbranch_execz .LBB77_32
; %bb.23:
	v_add_u32_e32 v97, -12, v0
	v_add_u32_e32 v98, -11, v0
	v_cmp_lt_u32_e32 vcc, 6, v97
	v_mov_b32_e32 v97, 11
	s_and_saveexec_b64 s[2:3], vcc
	s_cbranch_execz .LBB77_27
; %bb.24:
	v_and_b32_e32 v97, -8, v98
	v_sub_u32_e32 v99, 0, v97
	s_mov_b64 s[6:7], 18
	s_movk_i32 s10, 0xc8
	s_mov_b64 s[8:9], 0
.LBB77_25:                              ; =>This Inner Loop Header: Depth=1
	s_lshl_b32 s11, s6, 1
	s_add_i32 s12, s11, -13
	v_mov_b32_e32 v97, s10
	s_add_i32 s13, s11, -14
	s_set_gpr_idx_on s12, gpr_idx(SRC0)
	v_mov_b32_e32 v105, v34
	s_set_gpr_idx_off
	s_set_gpr_idx_on s13, gpr_idx(SRC0)
	v_mov_b32_e32 v104, v34
	s_set_gpr_idx_off
	ds_read2_b64 v[100:103], v97 offset1:1
	s_add_i32 s12, s11, -11
	s_add_i32 s13, s11, -12
	;; [unrolled: 1-line block ×4, first 2 shown]
	s_waitcnt lgkmcnt(0)
	v_fma_f64 v[94:95], v[104:105], v[100:101], v[94:95]
	s_set_gpr_idx_on s12, gpr_idx(SRC0)
	v_mov_b32_e32 v101, v34
	s_set_gpr_idx_off
	s_set_gpr_idx_on s13, gpr_idx(SRC0)
	v_mov_b32_e32 v100, v34
	s_set_gpr_idx_off
	s_add_i32 s12, s11, -7
	s_add_i32 s13, s11, -8
	v_fma_f64 v[94:95], v[100:101], v[102:103], v[94:95]
	s_set_gpr_idx_on s14, gpr_idx(SRC0)
	v_mov_b32_e32 v105, v34
	s_set_gpr_idx_off
	s_set_gpr_idx_on s15, gpr_idx(SRC0)
	v_mov_b32_e32 v104, v34
	s_set_gpr_idx_off
	ds_read2_b64 v[100:103], v97 offset0:2 offset1:3
	s_add_i32 s14, s11, -5
	s_add_i32 s15, s11, -6
	s_waitcnt lgkmcnt(0)
	v_fma_f64 v[94:95], v[104:105], v[100:101], v[94:95]
	s_set_gpr_idx_on s12, gpr_idx(SRC0)
	v_mov_b32_e32 v101, v34
	s_set_gpr_idx_off
	s_set_gpr_idx_on s13, gpr_idx(SRC0)
	v_mov_b32_e32 v100, v34
	s_set_gpr_idx_off
	s_add_i32 s12, s11, -3
	s_add_i32 s13, s11, -4
	v_fma_f64 v[94:95], v[100:101], v[102:103], v[94:95]
	s_set_gpr_idx_on s14, gpr_idx(SRC0)
	v_mov_b32_e32 v105, v34
	s_set_gpr_idx_off
	s_set_gpr_idx_on s15, gpr_idx(SRC0)
	v_mov_b32_e32 v104, v34
	s_set_gpr_idx_off
	ds_read2_b64 v[100:103], v97 offset0:4 offset1:5
	s_add_i32 s14, s11, -1
	s_add_i32 s15, s11, -2
	s_add_u32 s6, s6, 8
	s_addc_u32 s7, s7, 0
	s_waitcnt lgkmcnt(0)
	v_fma_f64 v[94:95], v[104:105], v[100:101], v[94:95]
	s_set_gpr_idx_on s12, gpr_idx(SRC0)
	v_mov_b32_e32 v101, v34
	s_set_gpr_idx_off
	s_set_gpr_idx_on s13, gpr_idx(SRC0)
	v_mov_b32_e32 v100, v34
	s_set_gpr_idx_off
	s_add_i32 s10, s10, 64
	v_fma_f64 v[94:95], v[100:101], v[102:103], v[94:95]
	s_set_gpr_idx_on s14, gpr_idx(SRC0)
	v_mov_b32_e32 v105, v34
	s_set_gpr_idx_off
	s_set_gpr_idx_on s15, gpr_idx(SRC0)
	v_mov_b32_e32 v104, v34
	s_set_gpr_idx_off
	ds_read2_b64 v[100:103], v97 offset0:6 offset1:7
	v_add_u32_e32 v97, s6, v99
	v_cmp_eq_u32_e32 vcc, 18, v97
	s_waitcnt lgkmcnt(0)
	v_fma_f64 v[94:95], v[104:105], v[100:101], v[94:95]
	s_set_gpr_idx_on s11, gpr_idx(SRC0)
	v_mov_b32_e32 v101, v35
	v_mov_b32_e32 v100, v34
	s_set_gpr_idx_off
	s_add_i32 s11, s6, -7
	s_or_b64 s[8:9], vcc, s[8:9]
	v_mov_b32_e32 v97, s11
	v_fma_f64 v[94:95], v[100:101], v[102:103], v[94:95]
	s_andn2_b64 exec, exec, s[8:9]
	s_cbranch_execnz .LBB77_25
; %bb.26:
	s_or_b64 exec, exec, s[8:9]
.LBB77_27:
	s_or_b64 exec, exec, s[2:3]
	v_and_b32_e32 v62, 7, v98
	v_cmp_ne_u32_e32 vcc, 0, v62
	s_and_saveexec_b64 s[6:7], vcc
	s_cbranch_execz .LBB77_31
; %bb.28:
	v_mov_b32_e32 v63, 0x70
	v_lshl_add_u32 v63, v97, 3, v63
	v_mov_b32_e32 v64, 0
	s_mov_b64 s[8:9], 0
.LBB77_29:                              ; =>This Inner Loop Header: Depth=1
	v_cmp_eq_u32_e32 vcc, 1, v97
	v_cndmask_b32_e32 v65, v35, v37, vcc
	v_cmp_eq_u32_e64 s[2:3], 2, v97
	v_cndmask_b32_e64 v65, v65, v39, s[2:3]
	v_cndmask_b32_e32 v100, v34, v36, vcc
	v_cmp_eq_u32_e32 vcc, 3, v97
	v_cndmask_b32_e32 v65, v65, v41, vcc
	v_cndmask_b32_e64 v100, v100, v38, s[2:3]
	v_cmp_eq_u32_e64 s[2:3], 4, v97
	v_cndmask_b32_e64 v65, v65, v43, s[2:3]
	v_cndmask_b32_e32 v100, v100, v40, vcc
	v_cmp_eq_u32_e32 vcc, 5, v97
	v_cndmask_b32_e32 v65, v65, v45, vcc
	v_cndmask_b32_e64 v100, v100, v42, s[2:3]
	;; [unrolled: 6-line block ×4, first 2 shown]
	v_cmp_eq_u32_e64 s[2:3], 10, v97
	ds_read_b64 v[98:99], v63
	v_cndmask_b32_e64 v65, v65, v55, s[2:3]
	v_cndmask_b32_e32 v100, v100, v52, vcc
	v_cmp_eq_u32_e32 vcc, 11, v97
	v_cndmask_b32_e32 v65, v65, v57, vcc
	v_cndmask_b32_e64 v100, v100, v54, s[2:3]
	v_cmp_eq_u32_e64 s[2:3], 12, v97
	v_cndmask_b32_e64 v65, v65, v59, s[2:3]
	v_cndmask_b32_e32 v100, v100, v56, vcc
	v_cmp_eq_u32_e32 vcc, 13, v97
	v_cndmask_b32_e32 v101, v65, v61, vcc
	v_cndmask_b32_e64 v65, v100, v58, s[2:3]
	v_cndmask_b32_e32 v100, v65, v60, vcc
	s_waitcnt lgkmcnt(0)
	v_fma_f64 v[94:95], v[100:101], v[98:99], v[94:95]
	v_add_u32_e32 v62, -1, v62
	v_cmp_eq_u32_e32 vcc, 0, v62
	s_or_b64 s[8:9], vcc, s[8:9]
	v_add_co_u32_e32 v97, vcc, 1, v97
	v_add_u32_e32 v63, 8, v63
	v_addc_co_u32_e32 v64, vcc, 0, v64, vcc
	s_andn2_b64 exec, exec, s[8:9]
	s_cbranch_execnz .LBB77_29
; %bb.30:
	s_or_b64 exec, exec, s[8:9]
.LBB77_31:
	s_or_b64 exec, exec, s[6:7]
.LBB77_32:
	s_or_b64 exec, exec, s[4:5]
	v_mov_b32_e32 v54, 0
	ds_read_b64 v[54:55], v54 offset:80
	s_waitcnt lgkmcnt(0)
	v_mul_f64 v[54:55], v[94:95], v[54:55]
.LBB77_33:
	s_or_b64 exec, exec, s[28:29]
	v_cmp_lt_u32_e64 s[2:3], 9, v0
	ds_write_b64 v96, v[52:53]
	s_waitcnt lgkmcnt(0)
	; wave barrier
	s_and_saveexec_b64 s[28:29], s[2:3]
	s_cbranch_execz .LBB77_49
; %bb.34:
	s_andn2_b64 vcc, exec, s[30:31]
	s_cbranch_vccnz .LBB77_36
; %bb.35:
	v_cmp_eq_u32_e32 vcc, 1, v0
	v_cndmask_b32_e32 v94, v35, v37, vcc
	v_cmp_eq_u32_e64 s[4:5], 2, v0
	v_cndmask_b32_e64 v94, v94, v39, s[4:5]
	v_cmp_eq_u32_e64 s[6:7], 3, v0
	v_cndmask_b32_e64 v94, v94, v41, s[6:7]
	;; [unrolled: 2-line block ×12, first 2 shown]
	v_cndmask_b32_e32 v94, v34, v36, vcc
	v_cndmask_b32_e64 v94, v94, v38, s[4:5]
	v_cndmask_b32_e64 v94, v94, v40, s[6:7]
	v_cndmask_b32_e64 v94, v94, v42, s[8:9]
	v_cndmask_b32_e64 v94, v94, v44, s[10:11]
	v_cndmask_b32_e64 v94, v94, v46, s[12:13]
	v_cndmask_b32_e64 v94, v94, v48, s[14:15]
	v_cndmask_b32_e64 v94, v94, v50, s[16:17]
	v_cndmask_b32_e64 v94, v94, v52, s[18:19]
	ds_read_b64 v[97:98], v96
	v_cndmask_b32_e64 v94, v94, v54, s[20:21]
	v_cndmask_b32_e64 v94, v94, v56, s[22:23]
	;; [unrolled: 1-line block ×4, first 2 shown]
	s_waitcnt lgkmcnt(0)
	v_mul_f64 v[94:95], v[94:95], v[97:98]
	s_cbranch_execz .LBB77_37
	s_branch .LBB77_38
.LBB77_36:
                                        ; implicit-def: $vgpr94_vgpr95
.LBB77_37:
	ds_read_b64 v[94:95], v96
.LBB77_38:
	s_and_saveexec_b64 s[4:5], s[0:1]
	s_cbranch_execz .LBB77_48
; %bb.39:
	v_add_u32_e32 v97, -11, v0
	v_add_u32_e32 v98, -10, v0
	v_cmp_lt_u32_e32 vcc, 6, v97
	v_mov_b32_e32 v97, 10
	s_and_saveexec_b64 s[0:1], vcc
	s_cbranch_execz .LBB77_43
; %bb.40:
	v_and_b32_e32 v97, -8, v98
	v_sub_u32_e32 v99, 0, v97
	s_mov_b64 s[6:7], 17
	s_movk_i32 s10, 0xc0
	s_mov_b64 s[8:9], 0
.LBB77_41:                              ; =>This Inner Loop Header: Depth=1
	s_lshl_b32 s11, s6, 1
	s_add_i32 s12, s11, -13
	v_mov_b32_e32 v97, s10
	s_add_i32 s13, s11, -14
	s_set_gpr_idx_on s12, gpr_idx(SRC0)
	v_mov_b32_e32 v109, v34
	s_set_gpr_idx_off
	s_set_gpr_idx_on s13, gpr_idx(SRC0)
	v_mov_b32_e32 v108, v34
	s_set_gpr_idx_off
	ds_read_b128 v[100:103], v97
	ds_read_b128 v[104:107], v97 offset:16
	s_add_i32 s12, s11, -11
	s_add_i32 s13, s11, -12
	s_waitcnt lgkmcnt(1)
	v_fma_f64 v[94:95], v[108:109], v[100:101], v[94:95]
	ds_read_b128 v[108:111], v97 offset:32
	ds_read_b128 v[112:115], v97 offset:48
	s_set_gpr_idx_on s12, gpr_idx(SRC0)
	v_mov_b32_e32 v101, v34
	s_set_gpr_idx_off
	s_set_gpr_idx_on s13, gpr_idx(SRC0)
	v_mov_b32_e32 v100, v34
	s_set_gpr_idx_off
	s_add_i32 s12, s11, -9
	s_add_i32 s13, s11, -10
	v_fma_f64 v[94:95], v[100:101], v[102:103], v[94:95]
	s_set_gpr_idx_on s12, gpr_idx(SRC0)
	v_mov_b32_e32 v101, v34
	s_set_gpr_idx_off
	s_set_gpr_idx_on s13, gpr_idx(SRC0)
	v_mov_b32_e32 v100, v34
	s_set_gpr_idx_off
	s_add_i32 s12, s11, -7
	s_add_i32 s13, s11, -8
	s_waitcnt lgkmcnt(2)
	v_fma_f64 v[94:95], v[100:101], v[104:105], v[94:95]
	s_set_gpr_idx_on s12, gpr_idx(SRC0)
	v_mov_b32_e32 v101, v34
	s_set_gpr_idx_off
	s_set_gpr_idx_on s13, gpr_idx(SRC0)
	v_mov_b32_e32 v100, v34
	s_set_gpr_idx_off
	s_add_i32 s12, s11, -5
	s_add_i32 s13, s11, -6
	v_fma_f64 v[94:95], v[100:101], v[106:107], v[94:95]
	s_set_gpr_idx_on s12, gpr_idx(SRC0)
	v_mov_b32_e32 v101, v34
	s_set_gpr_idx_off
	s_set_gpr_idx_on s13, gpr_idx(SRC0)
	v_mov_b32_e32 v100, v34
	s_set_gpr_idx_off
	s_add_i32 s12, s11, -3
	s_add_i32 s13, s11, -4
	s_waitcnt lgkmcnt(1)
	v_fma_f64 v[94:95], v[100:101], v[108:109], v[94:95]
	s_set_gpr_idx_on s12, gpr_idx(SRC0)
	v_mov_b32_e32 v101, v34
	s_set_gpr_idx_off
	s_set_gpr_idx_on s13, gpr_idx(SRC0)
	v_mov_b32_e32 v100, v34
	s_set_gpr_idx_off
	s_add_i32 s12, s11, -1
	s_add_i32 s13, s11, -2
	s_add_u32 s6, s6, 8
	v_add_u32_e32 v97, s6, v99
	s_addc_u32 s7, s7, 0
	v_fma_f64 v[94:95], v[100:101], v[110:111], v[94:95]
	s_set_gpr_idx_on s12, gpr_idx(SRC0)
	v_mov_b32_e32 v101, v34
	s_set_gpr_idx_off
	s_set_gpr_idx_on s13, gpr_idx(SRC0)
	v_mov_b32_e32 v100, v34
	s_set_gpr_idx_off
	s_add_i32 s10, s10, 64
	v_cmp_eq_u32_e32 vcc, 17, v97
	s_waitcnt lgkmcnt(0)
	v_fma_f64 v[94:95], v[100:101], v[112:113], v[94:95]
	s_set_gpr_idx_on s11, gpr_idx(SRC0)
	v_mov_b32_e32 v101, v35
	v_mov_b32_e32 v100, v34
	s_set_gpr_idx_off
	s_add_i32 s11, s6, -7
	s_or_b64 s[8:9], vcc, s[8:9]
	v_mov_b32_e32 v97, s11
	v_fma_f64 v[94:95], v[100:101], v[114:115], v[94:95]
	s_andn2_b64 exec, exec, s[8:9]
	s_cbranch_execnz .LBB77_41
; %bb.42:
	s_or_b64 exec, exec, s[8:9]
.LBB77_43:
	s_or_b64 exec, exec, s[0:1]
	v_and_b32_e32 v62, 7, v98
	v_cmp_ne_u32_e32 vcc, 0, v62
	s_and_saveexec_b64 s[6:7], vcc
	s_cbranch_execz .LBB77_47
; %bb.44:
	v_mov_b32_e32 v63, 0x70
	v_lshl_add_u32 v63, v97, 3, v63
	v_mov_b32_e32 v64, 0
	s_mov_b64 s[8:9], 0
.LBB77_45:                              ; =>This Inner Loop Header: Depth=1
	v_cmp_eq_u32_e32 vcc, 1, v97
	v_cndmask_b32_e32 v65, v35, v37, vcc
	v_cmp_eq_u32_e64 s[0:1], 2, v97
	v_cndmask_b32_e64 v65, v65, v39, s[0:1]
	v_cndmask_b32_e32 v100, v34, v36, vcc
	v_cmp_eq_u32_e32 vcc, 3, v97
	v_cndmask_b32_e32 v65, v65, v41, vcc
	v_cndmask_b32_e64 v100, v100, v38, s[0:1]
	v_cmp_eq_u32_e64 s[0:1], 4, v97
	v_cndmask_b32_e64 v65, v65, v43, s[0:1]
	v_cndmask_b32_e32 v100, v100, v40, vcc
	v_cmp_eq_u32_e32 vcc, 5, v97
	v_cndmask_b32_e32 v65, v65, v45, vcc
	v_cndmask_b32_e64 v100, v100, v42, s[0:1]
	;; [unrolled: 6-line block ×4, first 2 shown]
	v_cmp_eq_u32_e64 s[0:1], 10, v97
	ds_read_b64 v[98:99], v63
	v_cndmask_b32_e64 v65, v65, v55, s[0:1]
	v_cndmask_b32_e32 v100, v100, v52, vcc
	v_cmp_eq_u32_e32 vcc, 11, v97
	v_cndmask_b32_e32 v65, v65, v57, vcc
	v_cndmask_b32_e64 v100, v100, v54, s[0:1]
	v_cmp_eq_u32_e64 s[0:1], 12, v97
	v_cndmask_b32_e64 v65, v65, v59, s[0:1]
	v_cndmask_b32_e32 v100, v100, v56, vcc
	v_cmp_eq_u32_e32 vcc, 13, v97
	v_cndmask_b32_e32 v101, v65, v61, vcc
	v_cndmask_b32_e64 v65, v100, v58, s[0:1]
	v_cndmask_b32_e32 v100, v65, v60, vcc
	s_waitcnt lgkmcnt(0)
	v_fma_f64 v[94:95], v[100:101], v[98:99], v[94:95]
	v_add_u32_e32 v62, -1, v62
	v_cmp_eq_u32_e32 vcc, 0, v62
	s_or_b64 s[8:9], vcc, s[8:9]
	v_add_co_u32_e32 v97, vcc, 1, v97
	v_add_u32_e32 v63, 8, v63
	v_addc_co_u32_e32 v64, vcc, 0, v64, vcc
	s_andn2_b64 exec, exec, s[8:9]
	s_cbranch_execnz .LBB77_45
; %bb.46:
	s_or_b64 exec, exec, s[8:9]
.LBB77_47:
	s_or_b64 exec, exec, s[6:7]
.LBB77_48:
	s_or_b64 exec, exec, s[4:5]
	v_mov_b32_e32 v52, 0
	ds_read_b64 v[52:53], v52 offset:72
	s_waitcnt lgkmcnt(0)
	v_mul_f64 v[52:53], v[94:95], v[52:53]
.LBB77_49:
	s_or_b64 exec, exec, s[28:29]
	v_cmp_lt_u32_e64 s[0:1], 8, v0
	ds_write_b64 v96, v[50:51]
	s_waitcnt lgkmcnt(0)
	; wave barrier
	s_and_saveexec_b64 s[28:29], s[0:1]
	s_cbranch_execz .LBB77_65
; %bb.50:
	s_andn2_b64 vcc, exec, s[30:31]
	s_cbranch_vccnz .LBB77_52
; %bb.51:
	v_cmp_eq_u32_e32 vcc, 1, v0
	v_cndmask_b32_e32 v94, v35, v37, vcc
	v_cmp_eq_u32_e64 s[4:5], 2, v0
	v_cndmask_b32_e64 v94, v94, v39, s[4:5]
	v_cmp_eq_u32_e64 s[6:7], 3, v0
	v_cndmask_b32_e64 v94, v94, v41, s[6:7]
	;; [unrolled: 2-line block ×12, first 2 shown]
	v_cndmask_b32_e32 v94, v34, v36, vcc
	v_cndmask_b32_e64 v94, v94, v38, s[4:5]
	v_cndmask_b32_e64 v94, v94, v40, s[6:7]
	;; [unrolled: 1-line block ×8, first 2 shown]
	ds_read_b64 v[97:98], v96
	v_cndmask_b32_e64 v94, v94, v54, s[20:21]
	v_cndmask_b32_e64 v94, v94, v56, s[22:23]
	;; [unrolled: 1-line block ×4, first 2 shown]
	s_waitcnt lgkmcnt(0)
	v_mul_f64 v[94:95], v[94:95], v[97:98]
	s_cbranch_execz .LBB77_53
	s_branch .LBB77_54
.LBB77_52:
                                        ; implicit-def: $vgpr94_vgpr95
.LBB77_53:
	ds_read_b64 v[94:95], v96
.LBB77_54:
	s_and_saveexec_b64 s[4:5], s[2:3]
	s_cbranch_execz .LBB77_64
; %bb.55:
	v_add_u32_e32 v97, -10, v0
	v_add_u32_e32 v98, -9, v0
	v_cmp_lt_u32_e32 vcc, 6, v97
	v_mov_b32_e32 v97, 9
	s_and_saveexec_b64 s[2:3], vcc
	s_cbranch_execz .LBB77_59
; %bb.56:
	v_and_b32_e32 v97, -8, v98
	v_sub_u32_e32 v99, 0, v97
	s_mov_b64 s[6:7], 16
	s_movk_i32 s10, 0xb8
	s_mov_b64 s[8:9], 0
.LBB77_57:                              ; =>This Inner Loop Header: Depth=1
	s_lshl_b32 s11, s6, 1
	s_add_i32 s12, s11, -13
	v_mov_b32_e32 v97, s10
	s_add_i32 s13, s11, -14
	s_set_gpr_idx_on s12, gpr_idx(SRC0)
	v_mov_b32_e32 v105, v34
	s_set_gpr_idx_off
	s_set_gpr_idx_on s13, gpr_idx(SRC0)
	v_mov_b32_e32 v104, v34
	s_set_gpr_idx_off
	ds_read2_b64 v[100:103], v97 offset1:1
	s_add_i32 s12, s11, -11
	s_add_i32 s13, s11, -12
	;; [unrolled: 1-line block ×4, first 2 shown]
	s_waitcnt lgkmcnt(0)
	v_fma_f64 v[94:95], v[104:105], v[100:101], v[94:95]
	s_set_gpr_idx_on s12, gpr_idx(SRC0)
	v_mov_b32_e32 v101, v34
	s_set_gpr_idx_off
	s_set_gpr_idx_on s13, gpr_idx(SRC0)
	v_mov_b32_e32 v100, v34
	s_set_gpr_idx_off
	s_add_i32 s12, s11, -7
	s_add_i32 s13, s11, -8
	v_fma_f64 v[94:95], v[100:101], v[102:103], v[94:95]
	s_set_gpr_idx_on s14, gpr_idx(SRC0)
	v_mov_b32_e32 v105, v34
	s_set_gpr_idx_off
	s_set_gpr_idx_on s15, gpr_idx(SRC0)
	v_mov_b32_e32 v104, v34
	s_set_gpr_idx_off
	ds_read2_b64 v[100:103], v97 offset0:2 offset1:3
	s_add_i32 s14, s11, -5
	s_add_i32 s15, s11, -6
	s_waitcnt lgkmcnt(0)
	v_fma_f64 v[94:95], v[104:105], v[100:101], v[94:95]
	s_set_gpr_idx_on s12, gpr_idx(SRC0)
	v_mov_b32_e32 v101, v34
	s_set_gpr_idx_off
	s_set_gpr_idx_on s13, gpr_idx(SRC0)
	v_mov_b32_e32 v100, v34
	s_set_gpr_idx_off
	s_add_i32 s12, s11, -3
	s_add_i32 s13, s11, -4
	v_fma_f64 v[94:95], v[100:101], v[102:103], v[94:95]
	s_set_gpr_idx_on s14, gpr_idx(SRC0)
	v_mov_b32_e32 v105, v34
	s_set_gpr_idx_off
	s_set_gpr_idx_on s15, gpr_idx(SRC0)
	v_mov_b32_e32 v104, v34
	s_set_gpr_idx_off
	ds_read2_b64 v[100:103], v97 offset0:4 offset1:5
	s_add_i32 s14, s11, -1
	s_add_i32 s15, s11, -2
	s_add_u32 s6, s6, 8
	s_addc_u32 s7, s7, 0
	s_waitcnt lgkmcnt(0)
	v_fma_f64 v[94:95], v[104:105], v[100:101], v[94:95]
	s_set_gpr_idx_on s12, gpr_idx(SRC0)
	v_mov_b32_e32 v101, v34
	s_set_gpr_idx_off
	s_set_gpr_idx_on s13, gpr_idx(SRC0)
	v_mov_b32_e32 v100, v34
	s_set_gpr_idx_off
	s_add_i32 s10, s10, 64
	v_fma_f64 v[94:95], v[100:101], v[102:103], v[94:95]
	s_set_gpr_idx_on s14, gpr_idx(SRC0)
	v_mov_b32_e32 v105, v34
	s_set_gpr_idx_off
	s_set_gpr_idx_on s15, gpr_idx(SRC0)
	v_mov_b32_e32 v104, v34
	s_set_gpr_idx_off
	ds_read2_b64 v[100:103], v97 offset0:6 offset1:7
	v_add_u32_e32 v97, s6, v99
	v_cmp_eq_u32_e32 vcc, 16, v97
	s_waitcnt lgkmcnt(0)
	v_fma_f64 v[94:95], v[104:105], v[100:101], v[94:95]
	s_set_gpr_idx_on s11, gpr_idx(SRC0)
	v_mov_b32_e32 v101, v35
	v_mov_b32_e32 v100, v34
	s_set_gpr_idx_off
	s_add_i32 s11, s6, -7
	s_or_b64 s[8:9], vcc, s[8:9]
	v_mov_b32_e32 v97, s11
	v_fma_f64 v[94:95], v[100:101], v[102:103], v[94:95]
	s_andn2_b64 exec, exec, s[8:9]
	s_cbranch_execnz .LBB77_57
; %bb.58:
	s_or_b64 exec, exec, s[8:9]
.LBB77_59:
	s_or_b64 exec, exec, s[2:3]
	v_and_b32_e32 v62, 7, v98
	v_cmp_ne_u32_e32 vcc, 0, v62
	s_and_saveexec_b64 s[6:7], vcc
	s_cbranch_execz .LBB77_63
; %bb.60:
	v_mov_b32_e32 v63, 0x70
	v_lshl_add_u32 v63, v97, 3, v63
	v_mov_b32_e32 v64, 0
	s_mov_b64 s[8:9], 0
.LBB77_61:                              ; =>This Inner Loop Header: Depth=1
	v_cmp_eq_u32_e32 vcc, 1, v97
	v_cndmask_b32_e32 v65, v35, v37, vcc
	v_cmp_eq_u32_e64 s[2:3], 2, v97
	v_cndmask_b32_e64 v65, v65, v39, s[2:3]
	v_cndmask_b32_e32 v100, v34, v36, vcc
	v_cmp_eq_u32_e32 vcc, 3, v97
	v_cndmask_b32_e32 v65, v65, v41, vcc
	v_cndmask_b32_e64 v100, v100, v38, s[2:3]
	v_cmp_eq_u32_e64 s[2:3], 4, v97
	v_cndmask_b32_e64 v65, v65, v43, s[2:3]
	v_cndmask_b32_e32 v100, v100, v40, vcc
	v_cmp_eq_u32_e32 vcc, 5, v97
	v_cndmask_b32_e32 v65, v65, v45, vcc
	v_cndmask_b32_e64 v100, v100, v42, s[2:3]
	;; [unrolled: 6-line block ×4, first 2 shown]
	v_cmp_eq_u32_e64 s[2:3], 10, v97
	ds_read_b64 v[98:99], v63
	v_cndmask_b32_e64 v65, v65, v55, s[2:3]
	v_cndmask_b32_e32 v100, v100, v52, vcc
	v_cmp_eq_u32_e32 vcc, 11, v97
	v_cndmask_b32_e32 v65, v65, v57, vcc
	v_cndmask_b32_e64 v100, v100, v54, s[2:3]
	v_cmp_eq_u32_e64 s[2:3], 12, v97
	v_cndmask_b32_e64 v65, v65, v59, s[2:3]
	v_cndmask_b32_e32 v100, v100, v56, vcc
	v_cmp_eq_u32_e32 vcc, 13, v97
	v_cndmask_b32_e32 v101, v65, v61, vcc
	v_cndmask_b32_e64 v65, v100, v58, s[2:3]
	v_cndmask_b32_e32 v100, v65, v60, vcc
	s_waitcnt lgkmcnt(0)
	v_fma_f64 v[94:95], v[100:101], v[98:99], v[94:95]
	v_add_u32_e32 v62, -1, v62
	v_cmp_eq_u32_e32 vcc, 0, v62
	s_or_b64 s[8:9], vcc, s[8:9]
	v_add_co_u32_e32 v97, vcc, 1, v97
	v_add_u32_e32 v63, 8, v63
	v_addc_co_u32_e32 v64, vcc, 0, v64, vcc
	s_andn2_b64 exec, exec, s[8:9]
	s_cbranch_execnz .LBB77_61
; %bb.62:
	s_or_b64 exec, exec, s[8:9]
.LBB77_63:
	s_or_b64 exec, exec, s[6:7]
.LBB77_64:
	s_or_b64 exec, exec, s[4:5]
	v_mov_b32_e32 v50, 0
	ds_read_b64 v[50:51], v50 offset:64
	s_waitcnt lgkmcnt(0)
	v_mul_f64 v[50:51], v[94:95], v[50:51]
.LBB77_65:
	s_or_b64 exec, exec, s[28:29]
	v_cmp_lt_u32_e64 s[2:3], 7, v0
	ds_write_b64 v96, v[48:49]
	s_waitcnt lgkmcnt(0)
	; wave barrier
	s_and_saveexec_b64 s[28:29], s[2:3]
	s_cbranch_execz .LBB77_81
; %bb.66:
	s_andn2_b64 vcc, exec, s[30:31]
	s_cbranch_vccnz .LBB77_68
; %bb.67:
	v_cmp_eq_u32_e32 vcc, 1, v0
	v_cndmask_b32_e32 v94, v35, v37, vcc
	v_cmp_eq_u32_e64 s[4:5], 2, v0
	v_cndmask_b32_e64 v94, v94, v39, s[4:5]
	v_cmp_eq_u32_e64 s[6:7], 3, v0
	v_cndmask_b32_e64 v94, v94, v41, s[6:7]
	;; [unrolled: 2-line block ×12, first 2 shown]
	v_cndmask_b32_e32 v94, v34, v36, vcc
	v_cndmask_b32_e64 v94, v94, v38, s[4:5]
	v_cndmask_b32_e64 v94, v94, v40, s[6:7]
	v_cndmask_b32_e64 v94, v94, v42, s[8:9]
	v_cndmask_b32_e64 v94, v94, v44, s[10:11]
	v_cndmask_b32_e64 v94, v94, v46, s[12:13]
	v_cndmask_b32_e64 v94, v94, v48, s[14:15]
	v_cndmask_b32_e64 v94, v94, v50, s[16:17]
	v_cndmask_b32_e64 v94, v94, v52, s[18:19]
	ds_read_b64 v[97:98], v96
	v_cndmask_b32_e64 v94, v94, v54, s[20:21]
	v_cndmask_b32_e64 v94, v94, v56, s[22:23]
	v_cndmask_b32_e64 v94, v94, v58, s[24:25]
	v_cndmask_b32_e64 v94, v94, v60, s[26:27]
	s_waitcnt lgkmcnt(0)
	v_mul_f64 v[94:95], v[94:95], v[97:98]
	s_cbranch_execz .LBB77_69
	s_branch .LBB77_70
.LBB77_68:
                                        ; implicit-def: $vgpr94_vgpr95
.LBB77_69:
	ds_read_b64 v[94:95], v96
.LBB77_70:
	s_and_saveexec_b64 s[4:5], s[0:1]
	s_cbranch_execz .LBB77_80
; %bb.71:
	v_add_u32_e32 v97, -9, v0
	v_cmp_lt_u32_e32 vcc, 6, v97
	v_mov_b32_e32 v97, 8
	s_and_saveexec_b64 s[0:1], vcc
	s_cbranch_execz .LBB77_75
; %bb.72:
	v_and_b32_e32 v97, 8, v0
	v_sub_u32_e32 v98, 0, v97
	s_mov_b64 s[6:7], 15
	s_movk_i32 s10, 0xb0
	s_mov_b64 s[8:9], 0
.LBB77_73:                              ; =>This Inner Loop Header: Depth=1
	s_lshl_b32 s11, s6, 1
	s_add_i32 s12, s11, -13
	v_mov_b32_e32 v97, s10
	s_add_i32 s13, s11, -14
	s_set_gpr_idx_on s12, gpr_idx(SRC0)
	v_mov_b32_e32 v108, v34
	s_set_gpr_idx_off
	s_set_gpr_idx_on s13, gpr_idx(SRC0)
	v_mov_b32_e32 v107, v34
	s_set_gpr_idx_off
	ds_read_b128 v[99:102], v97
	ds_read_b128 v[103:106], v97 offset:16
	s_add_i32 s12, s11, -11
	s_add_i32 s13, s11, -12
	s_waitcnt lgkmcnt(1)
	v_fma_f64 v[94:95], v[107:108], v[99:100], v[94:95]
	ds_read_b128 v[107:110], v97 offset:32
	ds_read_b128 v[111:114], v97 offset:48
	s_set_gpr_idx_on s12, gpr_idx(SRC0)
	v_mov_b32_e32 v100, v34
	s_set_gpr_idx_off
	s_set_gpr_idx_on s13, gpr_idx(SRC0)
	v_mov_b32_e32 v99, v34
	s_set_gpr_idx_off
	s_add_i32 s12, s11, -9
	s_add_i32 s13, s11, -10
	v_fma_f64 v[94:95], v[99:100], v[101:102], v[94:95]
	s_set_gpr_idx_on s12, gpr_idx(SRC0)
	v_mov_b32_e32 v100, v34
	s_set_gpr_idx_off
	s_set_gpr_idx_on s13, gpr_idx(SRC0)
	v_mov_b32_e32 v99, v34
	s_set_gpr_idx_off
	s_add_i32 s12, s11, -7
	s_add_i32 s13, s11, -8
	s_waitcnt lgkmcnt(2)
	v_fma_f64 v[94:95], v[99:100], v[103:104], v[94:95]
	s_set_gpr_idx_on s12, gpr_idx(SRC0)
	v_mov_b32_e32 v100, v34
	s_set_gpr_idx_off
	s_set_gpr_idx_on s13, gpr_idx(SRC0)
	v_mov_b32_e32 v99, v34
	s_set_gpr_idx_off
	s_add_i32 s12, s11, -5
	s_add_i32 s13, s11, -6
	v_fma_f64 v[94:95], v[99:100], v[105:106], v[94:95]
	s_set_gpr_idx_on s12, gpr_idx(SRC0)
	v_mov_b32_e32 v100, v34
	s_set_gpr_idx_off
	s_set_gpr_idx_on s13, gpr_idx(SRC0)
	v_mov_b32_e32 v99, v34
	s_set_gpr_idx_off
	s_add_i32 s12, s11, -3
	s_add_i32 s13, s11, -4
	s_waitcnt lgkmcnt(1)
	v_fma_f64 v[94:95], v[99:100], v[107:108], v[94:95]
	s_set_gpr_idx_on s12, gpr_idx(SRC0)
	v_mov_b32_e32 v100, v34
	s_set_gpr_idx_off
	s_set_gpr_idx_on s13, gpr_idx(SRC0)
	v_mov_b32_e32 v99, v34
	s_set_gpr_idx_off
	s_add_i32 s12, s11, -1
	s_add_i32 s13, s11, -2
	s_add_u32 s6, s6, 8
	v_add_u32_e32 v97, s6, v98
	s_addc_u32 s7, s7, 0
	v_fma_f64 v[94:95], v[99:100], v[109:110], v[94:95]
	s_set_gpr_idx_on s12, gpr_idx(SRC0)
	v_mov_b32_e32 v100, v34
	s_set_gpr_idx_off
	s_set_gpr_idx_on s13, gpr_idx(SRC0)
	v_mov_b32_e32 v99, v34
	s_set_gpr_idx_off
	s_add_i32 s10, s10, 64
	v_cmp_eq_u32_e32 vcc, 7, v97
	s_waitcnt lgkmcnt(0)
	v_fma_f64 v[94:95], v[99:100], v[111:112], v[94:95]
	s_set_gpr_idx_on s11, gpr_idx(SRC0)
	v_mov_b32_e32 v100, v35
	v_mov_b32_e32 v99, v34
	s_set_gpr_idx_off
	s_add_i32 s11, s6, -7
	s_or_b64 s[8:9], vcc, s[8:9]
	v_mov_b32_e32 v97, s11
	v_fma_f64 v[94:95], v[99:100], v[113:114], v[94:95]
	s_andn2_b64 exec, exec, s[8:9]
	s_cbranch_execnz .LBB77_73
; %bb.74:
	s_or_b64 exec, exec, s[8:9]
.LBB77_75:
	s_or_b64 exec, exec, s[0:1]
	v_and_b32_e32 v62, 7, v0
	v_cmp_ne_u32_e32 vcc, 0, v62
	s_and_saveexec_b64 s[6:7], vcc
	s_cbranch_execz .LBB77_79
; %bb.76:
	v_mov_b32_e32 v63, 0x70
	v_lshl_add_u32 v63, v97, 3, v63
	v_mov_b32_e32 v64, 0
	s_mov_b64 s[8:9], 0
.LBB77_77:                              ; =>This Inner Loop Header: Depth=1
	v_cmp_eq_u32_e32 vcc, 1, v97
	v_cndmask_b32_e32 v65, v35, v37, vcc
	v_cmp_eq_u32_e64 s[0:1], 2, v97
	v_cndmask_b32_e64 v65, v65, v39, s[0:1]
	v_cndmask_b32_e32 v100, v34, v36, vcc
	v_cmp_eq_u32_e32 vcc, 3, v97
	v_cndmask_b32_e32 v65, v65, v41, vcc
	v_cndmask_b32_e64 v100, v100, v38, s[0:1]
	v_cmp_eq_u32_e64 s[0:1], 4, v97
	v_cndmask_b32_e64 v65, v65, v43, s[0:1]
	v_cndmask_b32_e32 v100, v100, v40, vcc
	v_cmp_eq_u32_e32 vcc, 5, v97
	v_cndmask_b32_e32 v65, v65, v45, vcc
	v_cndmask_b32_e64 v100, v100, v42, s[0:1]
	;; [unrolled: 6-line block ×4, first 2 shown]
	v_cmp_eq_u32_e64 s[0:1], 10, v97
	ds_read_b64 v[98:99], v63
	v_cndmask_b32_e64 v65, v65, v55, s[0:1]
	v_cndmask_b32_e32 v100, v100, v52, vcc
	v_cmp_eq_u32_e32 vcc, 11, v97
	v_cndmask_b32_e32 v65, v65, v57, vcc
	v_cndmask_b32_e64 v100, v100, v54, s[0:1]
	v_cmp_eq_u32_e64 s[0:1], 12, v97
	v_cndmask_b32_e64 v65, v65, v59, s[0:1]
	v_cndmask_b32_e32 v100, v100, v56, vcc
	v_cmp_eq_u32_e32 vcc, 13, v97
	v_cndmask_b32_e32 v101, v65, v61, vcc
	v_cndmask_b32_e64 v65, v100, v58, s[0:1]
	v_cndmask_b32_e32 v100, v65, v60, vcc
	s_waitcnt lgkmcnt(0)
	v_fma_f64 v[94:95], v[100:101], v[98:99], v[94:95]
	v_add_u32_e32 v62, -1, v62
	v_cmp_eq_u32_e32 vcc, 0, v62
	s_or_b64 s[8:9], vcc, s[8:9]
	v_add_co_u32_e32 v97, vcc, 1, v97
	v_add_u32_e32 v63, 8, v63
	v_addc_co_u32_e32 v64, vcc, 0, v64, vcc
	s_andn2_b64 exec, exec, s[8:9]
	s_cbranch_execnz .LBB77_77
; %bb.78:
	s_or_b64 exec, exec, s[8:9]
.LBB77_79:
	s_or_b64 exec, exec, s[6:7]
.LBB77_80:
	s_or_b64 exec, exec, s[4:5]
	v_mov_b32_e32 v48, 0
	ds_read_b64 v[48:49], v48 offset:56
	s_waitcnt lgkmcnt(0)
	v_mul_f64 v[48:49], v[94:95], v[48:49]
.LBB77_81:
	s_or_b64 exec, exec, s[28:29]
	v_cmp_lt_u32_e64 s[0:1], 6, v0
	ds_write_b64 v96, v[46:47]
	s_waitcnt lgkmcnt(0)
	; wave barrier
	s_and_saveexec_b64 s[28:29], s[0:1]
	s_cbranch_execz .LBB77_97
; %bb.82:
	s_andn2_b64 vcc, exec, s[30:31]
	s_cbranch_vccnz .LBB77_84
; %bb.83:
	v_cmp_eq_u32_e32 vcc, 1, v0
	v_cndmask_b32_e32 v94, v35, v37, vcc
	v_cmp_eq_u32_e64 s[4:5], 2, v0
	v_cndmask_b32_e64 v94, v94, v39, s[4:5]
	v_cmp_eq_u32_e64 s[6:7], 3, v0
	v_cndmask_b32_e64 v94, v94, v41, s[6:7]
	;; [unrolled: 2-line block ×12, first 2 shown]
	v_cndmask_b32_e32 v94, v34, v36, vcc
	v_cndmask_b32_e64 v94, v94, v38, s[4:5]
	v_cndmask_b32_e64 v94, v94, v40, s[6:7]
	;; [unrolled: 1-line block ×8, first 2 shown]
	ds_read_b64 v[97:98], v96
	v_cndmask_b32_e64 v94, v94, v54, s[20:21]
	v_cndmask_b32_e64 v94, v94, v56, s[22:23]
	;; [unrolled: 1-line block ×4, first 2 shown]
	s_waitcnt lgkmcnt(0)
	v_mul_f64 v[94:95], v[94:95], v[97:98]
	s_cbranch_execz .LBB77_85
	s_branch .LBB77_86
.LBB77_84:
                                        ; implicit-def: $vgpr94_vgpr95
.LBB77_85:
	ds_read_b64 v[94:95], v96
.LBB77_86:
	s_and_saveexec_b64 s[4:5], s[2:3]
	s_cbranch_execz .LBB77_96
; %bb.87:
	v_add_u32_e32 v97, -8, v0
	v_add_u32_e32 v98, -7, v0
	v_cmp_lt_u32_e32 vcc, 6, v97
	v_mov_b32_e32 v97, 7
	s_and_saveexec_b64 s[2:3], vcc
	s_cbranch_execz .LBB77_91
; %bb.88:
	v_and_b32_e32 v97, -8, v98
	v_sub_u32_e32 v99, 0, v97
	s_mov_b64 s[6:7], 14
	s_movk_i32 s10, 0xa8
	s_mov_b64 s[8:9], 0
.LBB77_89:                              ; =>This Inner Loop Header: Depth=1
	s_lshl_b32 s11, s6, 1
	s_add_i32 s12, s11, -13
	v_mov_b32_e32 v97, s10
	s_add_i32 s13, s11, -14
	s_set_gpr_idx_on s12, gpr_idx(SRC0)
	v_mov_b32_e32 v105, v34
	s_set_gpr_idx_off
	s_set_gpr_idx_on s13, gpr_idx(SRC0)
	v_mov_b32_e32 v104, v34
	s_set_gpr_idx_off
	ds_read2_b64 v[100:103], v97 offset1:1
	s_add_i32 s12, s11, -11
	s_add_i32 s13, s11, -12
	;; [unrolled: 1-line block ×4, first 2 shown]
	s_waitcnt lgkmcnt(0)
	v_fma_f64 v[94:95], v[104:105], v[100:101], v[94:95]
	s_set_gpr_idx_on s12, gpr_idx(SRC0)
	v_mov_b32_e32 v101, v34
	s_set_gpr_idx_off
	s_set_gpr_idx_on s13, gpr_idx(SRC0)
	v_mov_b32_e32 v100, v34
	s_set_gpr_idx_off
	s_add_i32 s12, s11, -7
	s_add_i32 s13, s11, -8
	v_fma_f64 v[94:95], v[100:101], v[102:103], v[94:95]
	s_set_gpr_idx_on s14, gpr_idx(SRC0)
	v_mov_b32_e32 v105, v34
	s_set_gpr_idx_off
	s_set_gpr_idx_on s15, gpr_idx(SRC0)
	v_mov_b32_e32 v104, v34
	s_set_gpr_idx_off
	ds_read2_b64 v[100:103], v97 offset0:2 offset1:3
	s_add_i32 s14, s11, -5
	s_add_i32 s15, s11, -6
	s_waitcnt lgkmcnt(0)
	v_fma_f64 v[94:95], v[104:105], v[100:101], v[94:95]
	s_set_gpr_idx_on s12, gpr_idx(SRC0)
	v_mov_b32_e32 v101, v34
	s_set_gpr_idx_off
	s_set_gpr_idx_on s13, gpr_idx(SRC0)
	v_mov_b32_e32 v100, v34
	s_set_gpr_idx_off
	s_add_i32 s12, s11, -3
	s_add_i32 s13, s11, -4
	v_fma_f64 v[94:95], v[100:101], v[102:103], v[94:95]
	s_set_gpr_idx_on s14, gpr_idx(SRC0)
	v_mov_b32_e32 v105, v34
	s_set_gpr_idx_off
	s_set_gpr_idx_on s15, gpr_idx(SRC0)
	v_mov_b32_e32 v104, v34
	s_set_gpr_idx_off
	ds_read2_b64 v[100:103], v97 offset0:4 offset1:5
	s_add_i32 s14, s11, -1
	s_add_i32 s15, s11, -2
	s_add_u32 s6, s6, 8
	s_addc_u32 s7, s7, 0
	s_waitcnt lgkmcnt(0)
	v_fma_f64 v[94:95], v[104:105], v[100:101], v[94:95]
	s_set_gpr_idx_on s12, gpr_idx(SRC0)
	v_mov_b32_e32 v101, v34
	s_set_gpr_idx_off
	s_set_gpr_idx_on s13, gpr_idx(SRC0)
	v_mov_b32_e32 v100, v34
	s_set_gpr_idx_off
	s_add_i32 s10, s10, 64
	v_fma_f64 v[94:95], v[100:101], v[102:103], v[94:95]
	s_set_gpr_idx_on s14, gpr_idx(SRC0)
	v_mov_b32_e32 v105, v34
	s_set_gpr_idx_off
	s_set_gpr_idx_on s15, gpr_idx(SRC0)
	v_mov_b32_e32 v104, v34
	s_set_gpr_idx_off
	ds_read2_b64 v[100:103], v97 offset0:6 offset1:7
	v_add_u32_e32 v97, s6, v99
	v_cmp_eq_u32_e32 vcc, 14, v97
	s_waitcnt lgkmcnt(0)
	v_fma_f64 v[94:95], v[104:105], v[100:101], v[94:95]
	s_set_gpr_idx_on s11, gpr_idx(SRC0)
	v_mov_b32_e32 v101, v35
	v_mov_b32_e32 v100, v34
	s_set_gpr_idx_off
	s_add_i32 s11, s6, -7
	s_or_b64 s[8:9], vcc, s[8:9]
	v_mov_b32_e32 v97, s11
	v_fma_f64 v[94:95], v[100:101], v[102:103], v[94:95]
	s_andn2_b64 exec, exec, s[8:9]
	s_cbranch_execnz .LBB77_89
; %bb.90:
	s_or_b64 exec, exec, s[8:9]
.LBB77_91:
	s_or_b64 exec, exec, s[2:3]
	v_and_b32_e32 v62, 7, v98
	v_cmp_ne_u32_e32 vcc, 0, v62
	s_and_saveexec_b64 s[6:7], vcc
	s_cbranch_execz .LBB77_95
; %bb.92:
	v_mov_b32_e32 v63, 0x70
	v_lshl_add_u32 v63, v97, 3, v63
	v_mov_b32_e32 v64, 0
	s_mov_b64 s[8:9], 0
.LBB77_93:                              ; =>This Inner Loop Header: Depth=1
	v_cmp_eq_u32_e32 vcc, 1, v97
	v_cndmask_b32_e32 v65, v35, v37, vcc
	v_cmp_eq_u32_e64 s[2:3], 2, v97
	v_cndmask_b32_e64 v65, v65, v39, s[2:3]
	v_cndmask_b32_e32 v100, v34, v36, vcc
	v_cmp_eq_u32_e32 vcc, 3, v97
	v_cndmask_b32_e32 v65, v65, v41, vcc
	v_cndmask_b32_e64 v100, v100, v38, s[2:3]
	v_cmp_eq_u32_e64 s[2:3], 4, v97
	v_cndmask_b32_e64 v65, v65, v43, s[2:3]
	v_cndmask_b32_e32 v100, v100, v40, vcc
	v_cmp_eq_u32_e32 vcc, 5, v97
	v_cndmask_b32_e32 v65, v65, v45, vcc
	v_cndmask_b32_e64 v100, v100, v42, s[2:3]
	;; [unrolled: 6-line block ×4, first 2 shown]
	v_cmp_eq_u32_e64 s[2:3], 10, v97
	ds_read_b64 v[98:99], v63
	v_cndmask_b32_e64 v65, v65, v55, s[2:3]
	v_cndmask_b32_e32 v100, v100, v52, vcc
	v_cmp_eq_u32_e32 vcc, 11, v97
	v_cndmask_b32_e32 v65, v65, v57, vcc
	v_cndmask_b32_e64 v100, v100, v54, s[2:3]
	v_cmp_eq_u32_e64 s[2:3], 12, v97
	v_cndmask_b32_e64 v65, v65, v59, s[2:3]
	v_cndmask_b32_e32 v100, v100, v56, vcc
	v_cmp_eq_u32_e32 vcc, 13, v97
	v_cndmask_b32_e32 v101, v65, v61, vcc
	v_cndmask_b32_e64 v65, v100, v58, s[2:3]
	v_cndmask_b32_e32 v100, v65, v60, vcc
	s_waitcnt lgkmcnt(0)
	v_fma_f64 v[94:95], v[100:101], v[98:99], v[94:95]
	v_add_u32_e32 v62, -1, v62
	v_cmp_eq_u32_e32 vcc, 0, v62
	s_or_b64 s[8:9], vcc, s[8:9]
	v_add_co_u32_e32 v97, vcc, 1, v97
	v_add_u32_e32 v63, 8, v63
	v_addc_co_u32_e32 v64, vcc, 0, v64, vcc
	s_andn2_b64 exec, exec, s[8:9]
	s_cbranch_execnz .LBB77_93
; %bb.94:
	s_or_b64 exec, exec, s[8:9]
.LBB77_95:
	s_or_b64 exec, exec, s[6:7]
.LBB77_96:
	s_or_b64 exec, exec, s[4:5]
	v_mov_b32_e32 v46, 0
	ds_read_b64 v[46:47], v46 offset:48
	s_waitcnt lgkmcnt(0)
	v_mul_f64 v[46:47], v[94:95], v[46:47]
.LBB77_97:
	s_or_b64 exec, exec, s[28:29]
	v_cmp_lt_u32_e64 s[2:3], 5, v0
	ds_write_b64 v96, v[44:45]
	s_waitcnt lgkmcnt(0)
	; wave barrier
	s_and_saveexec_b64 s[28:29], s[2:3]
	s_cbranch_execz .LBB77_113
; %bb.98:
	s_andn2_b64 vcc, exec, s[30:31]
	s_cbranch_vccnz .LBB77_100
; %bb.99:
	v_cmp_eq_u32_e32 vcc, 1, v0
	v_cndmask_b32_e32 v94, v35, v37, vcc
	v_cmp_eq_u32_e64 s[4:5], 2, v0
	v_cndmask_b32_e64 v94, v94, v39, s[4:5]
	v_cmp_eq_u32_e64 s[6:7], 3, v0
	v_cndmask_b32_e64 v94, v94, v41, s[6:7]
	;; [unrolled: 2-line block ×12, first 2 shown]
	v_cndmask_b32_e32 v94, v34, v36, vcc
	v_cndmask_b32_e64 v94, v94, v38, s[4:5]
	v_cndmask_b32_e64 v94, v94, v40, s[6:7]
	;; [unrolled: 1-line block ×8, first 2 shown]
	ds_read_b64 v[97:98], v96
	v_cndmask_b32_e64 v94, v94, v54, s[20:21]
	v_cndmask_b32_e64 v94, v94, v56, s[22:23]
	;; [unrolled: 1-line block ×4, first 2 shown]
	s_waitcnt lgkmcnt(0)
	v_mul_f64 v[94:95], v[94:95], v[97:98]
	s_cbranch_execz .LBB77_101
	s_branch .LBB77_102
.LBB77_100:
                                        ; implicit-def: $vgpr94_vgpr95
.LBB77_101:
	ds_read_b64 v[94:95], v96
.LBB77_102:
	s_and_saveexec_b64 s[4:5], s[0:1]
	s_cbranch_execz .LBB77_112
; %bb.103:
	v_add_u32_e32 v99, -7, v0
	v_add_u32_e32 v98, -6, v0
	v_mov_b32_e32 v97, 6
	v_cmp_lt_u32_e32 vcc, 6, v99
	s_and_saveexec_b64 s[0:1], vcc
	s_cbranch_execz .LBB77_107
; %bb.104:
	v_and_b32_e32 v97, -8, v98
	v_sub_u32_e32 v99, 0, v97
	s_mov_b64 s[6:7], 13
	s_movk_i32 s10, 0xa0
	s_mov_b64 s[8:9], 0
.LBB77_105:                             ; =>This Inner Loop Header: Depth=1
	s_lshl_b32 s11, s6, 1
	s_add_i32 s12, s11, -13
	v_mov_b32_e32 v97, s10
	s_add_i32 s13, s11, -14
	s_set_gpr_idx_on s12, gpr_idx(SRC0)
	v_mov_b32_e32 v109, v34
	s_set_gpr_idx_off
	s_set_gpr_idx_on s13, gpr_idx(SRC0)
	v_mov_b32_e32 v108, v34
	s_set_gpr_idx_off
	ds_read_b128 v[100:103], v97
	ds_read_b128 v[104:107], v97 offset:16
	s_add_i32 s12, s11, -11
	s_add_i32 s13, s11, -12
	s_waitcnt lgkmcnt(1)
	v_fma_f64 v[94:95], v[108:109], v[100:101], v[94:95]
	ds_read_b128 v[108:111], v97 offset:32
	ds_read_b128 v[112:115], v97 offset:48
	s_set_gpr_idx_on s12, gpr_idx(SRC0)
	v_mov_b32_e32 v101, v34
	s_set_gpr_idx_off
	s_set_gpr_idx_on s13, gpr_idx(SRC0)
	v_mov_b32_e32 v100, v34
	s_set_gpr_idx_off
	s_add_i32 s12, s11, -9
	s_add_i32 s13, s11, -10
	v_fma_f64 v[94:95], v[100:101], v[102:103], v[94:95]
	s_set_gpr_idx_on s12, gpr_idx(SRC0)
	v_mov_b32_e32 v101, v34
	s_set_gpr_idx_off
	s_set_gpr_idx_on s13, gpr_idx(SRC0)
	v_mov_b32_e32 v100, v34
	s_set_gpr_idx_off
	s_add_i32 s12, s11, -7
	s_add_i32 s13, s11, -8
	s_waitcnt lgkmcnt(2)
	v_fma_f64 v[94:95], v[100:101], v[104:105], v[94:95]
	s_set_gpr_idx_on s12, gpr_idx(SRC0)
	v_mov_b32_e32 v101, v34
	s_set_gpr_idx_off
	s_set_gpr_idx_on s13, gpr_idx(SRC0)
	v_mov_b32_e32 v100, v34
	s_set_gpr_idx_off
	s_add_i32 s12, s11, -5
	s_add_i32 s13, s11, -6
	v_fma_f64 v[94:95], v[100:101], v[106:107], v[94:95]
	s_set_gpr_idx_on s12, gpr_idx(SRC0)
	v_mov_b32_e32 v101, v34
	s_set_gpr_idx_off
	s_set_gpr_idx_on s13, gpr_idx(SRC0)
	v_mov_b32_e32 v100, v34
	s_set_gpr_idx_off
	s_add_i32 s12, s11, -3
	s_add_i32 s13, s11, -4
	s_waitcnt lgkmcnt(1)
	v_fma_f64 v[94:95], v[100:101], v[108:109], v[94:95]
	s_set_gpr_idx_on s12, gpr_idx(SRC0)
	v_mov_b32_e32 v101, v34
	s_set_gpr_idx_off
	s_set_gpr_idx_on s13, gpr_idx(SRC0)
	v_mov_b32_e32 v100, v34
	s_set_gpr_idx_off
	s_add_i32 s12, s11, -1
	s_add_i32 s13, s11, -2
	s_add_u32 s6, s6, 8
	v_add_u32_e32 v97, s6, v99
	s_addc_u32 s7, s7, 0
	v_fma_f64 v[94:95], v[100:101], v[110:111], v[94:95]
	s_set_gpr_idx_on s12, gpr_idx(SRC0)
	v_mov_b32_e32 v101, v34
	s_set_gpr_idx_off
	s_set_gpr_idx_on s13, gpr_idx(SRC0)
	v_mov_b32_e32 v100, v34
	s_set_gpr_idx_off
	s_add_i32 s10, s10, 64
	v_cmp_eq_u32_e32 vcc, 13, v97
	s_waitcnt lgkmcnt(0)
	v_fma_f64 v[94:95], v[100:101], v[112:113], v[94:95]
	s_set_gpr_idx_on s11, gpr_idx(SRC0)
	v_mov_b32_e32 v101, v35
	v_mov_b32_e32 v100, v34
	s_set_gpr_idx_off
	s_add_i32 s11, s6, -7
	s_or_b64 s[8:9], vcc, s[8:9]
	v_mov_b32_e32 v97, s11
	v_fma_f64 v[94:95], v[100:101], v[114:115], v[94:95]
	s_andn2_b64 exec, exec, s[8:9]
	s_cbranch_execnz .LBB77_105
; %bb.106:
	s_or_b64 exec, exec, s[8:9]
.LBB77_107:
	s_or_b64 exec, exec, s[0:1]
	v_and_b32_e32 v62, 7, v98
	v_cmp_ne_u32_e32 vcc, 0, v62
	s_and_saveexec_b64 s[6:7], vcc
	s_cbranch_execz .LBB77_111
; %bb.108:
	v_mov_b32_e32 v63, 0x70
	v_lshl_add_u32 v63, v97, 3, v63
	v_mov_b32_e32 v64, 0
	s_mov_b64 s[8:9], 0
.LBB77_109:                             ; =>This Inner Loop Header: Depth=1
	v_cmp_eq_u32_e32 vcc, 1, v97
	v_cndmask_b32_e32 v65, v35, v37, vcc
	v_cmp_eq_u32_e64 s[0:1], 2, v97
	v_cndmask_b32_e64 v65, v65, v39, s[0:1]
	v_cndmask_b32_e32 v100, v34, v36, vcc
	v_cmp_eq_u32_e32 vcc, 3, v97
	v_cndmask_b32_e32 v65, v65, v41, vcc
	v_cndmask_b32_e64 v100, v100, v38, s[0:1]
	v_cmp_eq_u32_e64 s[0:1], 4, v97
	v_cndmask_b32_e64 v65, v65, v43, s[0:1]
	v_cndmask_b32_e32 v100, v100, v40, vcc
	v_cmp_eq_u32_e32 vcc, 5, v97
	v_cndmask_b32_e32 v65, v65, v45, vcc
	v_cndmask_b32_e64 v100, v100, v42, s[0:1]
	;; [unrolled: 6-line block ×4, first 2 shown]
	v_cmp_eq_u32_e64 s[0:1], 10, v97
	ds_read_b64 v[98:99], v63
	v_cndmask_b32_e64 v65, v65, v55, s[0:1]
	v_cndmask_b32_e32 v100, v100, v52, vcc
	v_cmp_eq_u32_e32 vcc, 11, v97
	v_cndmask_b32_e32 v65, v65, v57, vcc
	v_cndmask_b32_e64 v100, v100, v54, s[0:1]
	v_cmp_eq_u32_e64 s[0:1], 12, v97
	v_cndmask_b32_e64 v65, v65, v59, s[0:1]
	v_cndmask_b32_e32 v100, v100, v56, vcc
	v_cmp_eq_u32_e32 vcc, 13, v97
	v_cndmask_b32_e32 v101, v65, v61, vcc
	v_cndmask_b32_e64 v65, v100, v58, s[0:1]
	v_cndmask_b32_e32 v100, v65, v60, vcc
	s_waitcnt lgkmcnt(0)
	v_fma_f64 v[94:95], v[100:101], v[98:99], v[94:95]
	v_add_u32_e32 v62, -1, v62
	v_cmp_eq_u32_e32 vcc, 0, v62
	s_or_b64 s[8:9], vcc, s[8:9]
	v_add_co_u32_e32 v97, vcc, 1, v97
	v_add_u32_e32 v63, 8, v63
	v_addc_co_u32_e32 v64, vcc, 0, v64, vcc
	s_andn2_b64 exec, exec, s[8:9]
	s_cbranch_execnz .LBB77_109
; %bb.110:
	s_or_b64 exec, exec, s[8:9]
.LBB77_111:
	s_or_b64 exec, exec, s[6:7]
.LBB77_112:
	s_or_b64 exec, exec, s[4:5]
	v_mov_b32_e32 v44, 0
	ds_read_b64 v[44:45], v44 offset:40
	s_waitcnt lgkmcnt(0)
	v_mul_f64 v[44:45], v[94:95], v[44:45]
.LBB77_113:
	s_or_b64 exec, exec, s[28:29]
	v_cmp_lt_u32_e64 s[0:1], 4, v0
	ds_write_b64 v96, v[42:43]
	s_waitcnt lgkmcnt(0)
	; wave barrier
	s_and_saveexec_b64 s[28:29], s[0:1]
	s_cbranch_execz .LBB77_129
; %bb.114:
	s_andn2_b64 vcc, exec, s[30:31]
	s_cbranch_vccnz .LBB77_116
; %bb.115:
	v_cmp_eq_u32_e32 vcc, 1, v0
	v_cndmask_b32_e32 v94, v35, v37, vcc
	v_cmp_eq_u32_e64 s[4:5], 2, v0
	v_cndmask_b32_e64 v94, v94, v39, s[4:5]
	v_cmp_eq_u32_e64 s[6:7], 3, v0
	v_cndmask_b32_e64 v94, v94, v41, s[6:7]
	;; [unrolled: 2-line block ×12, first 2 shown]
	v_cndmask_b32_e32 v94, v34, v36, vcc
	v_cndmask_b32_e64 v94, v94, v38, s[4:5]
	v_cndmask_b32_e64 v94, v94, v40, s[6:7]
	;; [unrolled: 1-line block ×8, first 2 shown]
	ds_read_b64 v[97:98], v96
	v_cndmask_b32_e64 v94, v94, v54, s[20:21]
	v_cndmask_b32_e64 v94, v94, v56, s[22:23]
	;; [unrolled: 1-line block ×4, first 2 shown]
	s_waitcnt lgkmcnt(0)
	v_mul_f64 v[94:95], v[94:95], v[97:98]
	s_cbranch_execz .LBB77_117
	s_branch .LBB77_118
.LBB77_116:
                                        ; implicit-def: $vgpr94_vgpr95
.LBB77_117:
	ds_read_b64 v[94:95], v96
.LBB77_118:
	s_and_saveexec_b64 s[4:5], s[2:3]
	s_cbranch_execz .LBB77_128
; %bb.119:
	v_add_u32_e32 v97, -6, v0
	v_add_u32_e32 v98, -5, v0
	v_cmp_lt_u32_e32 vcc, 6, v97
	v_mov_b32_e32 v97, 5
	s_and_saveexec_b64 s[2:3], vcc
	s_cbranch_execz .LBB77_123
; %bb.120:
	v_and_b32_e32 v97, -8, v98
	v_sub_u32_e32 v99, 0, v97
	s_mov_b64 s[6:7], 12
	s_movk_i32 s10, 0x98
	s_mov_b64 s[8:9], 0
.LBB77_121:                             ; =>This Inner Loop Header: Depth=1
	s_lshl_b32 s11, s6, 1
	s_add_i32 s12, s11, -13
	v_mov_b32_e32 v97, s10
	s_add_i32 s13, s11, -14
	s_set_gpr_idx_on s12, gpr_idx(SRC0)
	v_mov_b32_e32 v105, v34
	s_set_gpr_idx_off
	s_set_gpr_idx_on s13, gpr_idx(SRC0)
	v_mov_b32_e32 v104, v34
	s_set_gpr_idx_off
	ds_read2_b64 v[100:103], v97 offset1:1
	s_add_i32 s12, s11, -11
	s_add_i32 s13, s11, -12
	;; [unrolled: 1-line block ×4, first 2 shown]
	s_waitcnt lgkmcnt(0)
	v_fma_f64 v[94:95], v[104:105], v[100:101], v[94:95]
	s_set_gpr_idx_on s12, gpr_idx(SRC0)
	v_mov_b32_e32 v101, v34
	s_set_gpr_idx_off
	s_set_gpr_idx_on s13, gpr_idx(SRC0)
	v_mov_b32_e32 v100, v34
	s_set_gpr_idx_off
	s_add_i32 s12, s11, -7
	s_add_i32 s13, s11, -8
	v_fma_f64 v[94:95], v[100:101], v[102:103], v[94:95]
	s_set_gpr_idx_on s14, gpr_idx(SRC0)
	v_mov_b32_e32 v105, v34
	s_set_gpr_idx_off
	s_set_gpr_idx_on s15, gpr_idx(SRC0)
	v_mov_b32_e32 v104, v34
	s_set_gpr_idx_off
	ds_read2_b64 v[100:103], v97 offset0:2 offset1:3
	s_add_i32 s14, s11, -5
	s_add_i32 s15, s11, -6
	s_waitcnt lgkmcnt(0)
	v_fma_f64 v[94:95], v[104:105], v[100:101], v[94:95]
	s_set_gpr_idx_on s12, gpr_idx(SRC0)
	v_mov_b32_e32 v101, v34
	s_set_gpr_idx_off
	s_set_gpr_idx_on s13, gpr_idx(SRC0)
	v_mov_b32_e32 v100, v34
	s_set_gpr_idx_off
	s_add_i32 s12, s11, -3
	s_add_i32 s13, s11, -4
	v_fma_f64 v[94:95], v[100:101], v[102:103], v[94:95]
	s_set_gpr_idx_on s14, gpr_idx(SRC0)
	v_mov_b32_e32 v105, v34
	s_set_gpr_idx_off
	s_set_gpr_idx_on s15, gpr_idx(SRC0)
	v_mov_b32_e32 v104, v34
	s_set_gpr_idx_off
	ds_read2_b64 v[100:103], v97 offset0:4 offset1:5
	s_add_i32 s14, s11, -1
	s_add_i32 s15, s11, -2
	s_add_u32 s6, s6, 8
	s_addc_u32 s7, s7, 0
	s_waitcnt lgkmcnt(0)
	v_fma_f64 v[94:95], v[104:105], v[100:101], v[94:95]
	s_set_gpr_idx_on s12, gpr_idx(SRC0)
	v_mov_b32_e32 v101, v34
	s_set_gpr_idx_off
	s_set_gpr_idx_on s13, gpr_idx(SRC0)
	v_mov_b32_e32 v100, v34
	s_set_gpr_idx_off
	s_add_i32 s10, s10, 64
	v_fma_f64 v[94:95], v[100:101], v[102:103], v[94:95]
	s_set_gpr_idx_on s14, gpr_idx(SRC0)
	v_mov_b32_e32 v105, v34
	s_set_gpr_idx_off
	s_set_gpr_idx_on s15, gpr_idx(SRC0)
	v_mov_b32_e32 v104, v34
	s_set_gpr_idx_off
	ds_read2_b64 v[100:103], v97 offset0:6 offset1:7
	v_add_u32_e32 v97, s6, v99
	v_cmp_eq_u32_e32 vcc, 12, v97
	s_waitcnt lgkmcnt(0)
	v_fma_f64 v[94:95], v[104:105], v[100:101], v[94:95]
	s_set_gpr_idx_on s11, gpr_idx(SRC0)
	v_mov_b32_e32 v101, v35
	v_mov_b32_e32 v100, v34
	s_set_gpr_idx_off
	s_add_i32 s11, s6, -7
	s_or_b64 s[8:9], vcc, s[8:9]
	v_mov_b32_e32 v97, s11
	v_fma_f64 v[94:95], v[100:101], v[102:103], v[94:95]
	s_andn2_b64 exec, exec, s[8:9]
	s_cbranch_execnz .LBB77_121
; %bb.122:
	s_or_b64 exec, exec, s[8:9]
.LBB77_123:
	s_or_b64 exec, exec, s[2:3]
	v_and_b32_e32 v62, 7, v98
	v_cmp_ne_u32_e32 vcc, 0, v62
	s_and_saveexec_b64 s[6:7], vcc
	s_cbranch_execz .LBB77_127
; %bb.124:
	v_mov_b32_e32 v63, 0x70
	v_lshl_add_u32 v63, v97, 3, v63
	v_mov_b32_e32 v64, 0
	s_mov_b64 s[8:9], 0
.LBB77_125:                             ; =>This Inner Loop Header: Depth=1
	v_cmp_eq_u32_e32 vcc, 1, v97
	v_cndmask_b32_e32 v65, v35, v37, vcc
	v_cmp_eq_u32_e64 s[2:3], 2, v97
	v_cndmask_b32_e64 v65, v65, v39, s[2:3]
	v_cndmask_b32_e32 v100, v34, v36, vcc
	v_cmp_eq_u32_e32 vcc, 3, v97
	v_cndmask_b32_e32 v65, v65, v41, vcc
	v_cndmask_b32_e64 v100, v100, v38, s[2:3]
	v_cmp_eq_u32_e64 s[2:3], 4, v97
	v_cndmask_b32_e64 v65, v65, v43, s[2:3]
	v_cndmask_b32_e32 v100, v100, v40, vcc
	v_cmp_eq_u32_e32 vcc, 5, v97
	v_cndmask_b32_e32 v65, v65, v45, vcc
	v_cndmask_b32_e64 v100, v100, v42, s[2:3]
	;; [unrolled: 6-line block ×4, first 2 shown]
	v_cmp_eq_u32_e64 s[2:3], 10, v97
	ds_read_b64 v[98:99], v63
	v_cndmask_b32_e64 v65, v65, v55, s[2:3]
	v_cndmask_b32_e32 v100, v100, v52, vcc
	v_cmp_eq_u32_e32 vcc, 11, v97
	v_cndmask_b32_e32 v65, v65, v57, vcc
	v_cndmask_b32_e64 v100, v100, v54, s[2:3]
	v_cmp_eq_u32_e64 s[2:3], 12, v97
	v_cndmask_b32_e64 v65, v65, v59, s[2:3]
	v_cndmask_b32_e32 v100, v100, v56, vcc
	v_cmp_eq_u32_e32 vcc, 13, v97
	v_cndmask_b32_e32 v101, v65, v61, vcc
	v_cndmask_b32_e64 v65, v100, v58, s[2:3]
	v_cndmask_b32_e32 v100, v65, v60, vcc
	s_waitcnt lgkmcnt(0)
	v_fma_f64 v[94:95], v[100:101], v[98:99], v[94:95]
	v_add_u32_e32 v62, -1, v62
	v_cmp_eq_u32_e32 vcc, 0, v62
	s_or_b64 s[8:9], vcc, s[8:9]
	v_add_co_u32_e32 v97, vcc, 1, v97
	v_add_u32_e32 v63, 8, v63
	v_addc_co_u32_e32 v64, vcc, 0, v64, vcc
	s_andn2_b64 exec, exec, s[8:9]
	s_cbranch_execnz .LBB77_125
; %bb.126:
	s_or_b64 exec, exec, s[8:9]
.LBB77_127:
	s_or_b64 exec, exec, s[6:7]
.LBB77_128:
	s_or_b64 exec, exec, s[4:5]
	v_mov_b32_e32 v42, 0
	ds_read_b64 v[42:43], v42 offset:32
	s_waitcnt lgkmcnt(0)
	v_mul_f64 v[42:43], v[94:95], v[42:43]
.LBB77_129:
	s_or_b64 exec, exec, s[28:29]
	v_cmp_lt_u32_e64 s[2:3], 3, v0
	ds_write_b64 v96, v[40:41]
	s_waitcnt lgkmcnt(0)
	; wave barrier
	s_and_saveexec_b64 s[28:29], s[2:3]
	s_cbranch_execz .LBB77_145
; %bb.130:
	s_andn2_b64 vcc, exec, s[30:31]
	s_cbranch_vccnz .LBB77_132
; %bb.131:
	v_cmp_eq_u32_e32 vcc, 1, v0
	v_cndmask_b32_e32 v94, v35, v37, vcc
	v_cmp_eq_u32_e64 s[4:5], 2, v0
	v_cndmask_b32_e64 v94, v94, v39, s[4:5]
	v_cmp_eq_u32_e64 s[6:7], 3, v0
	v_cndmask_b32_e64 v94, v94, v41, s[6:7]
	;; [unrolled: 2-line block ×12, first 2 shown]
	v_cndmask_b32_e32 v94, v34, v36, vcc
	v_cndmask_b32_e64 v94, v94, v38, s[4:5]
	v_cndmask_b32_e64 v94, v94, v40, s[6:7]
	;; [unrolled: 1-line block ×8, first 2 shown]
	ds_read_b64 v[97:98], v96
	v_cndmask_b32_e64 v94, v94, v54, s[20:21]
	v_cndmask_b32_e64 v94, v94, v56, s[22:23]
	;; [unrolled: 1-line block ×4, first 2 shown]
	s_waitcnt lgkmcnt(0)
	v_mul_f64 v[94:95], v[94:95], v[97:98]
	s_cbranch_execz .LBB77_133
	s_branch .LBB77_134
.LBB77_132:
                                        ; implicit-def: $vgpr94_vgpr95
.LBB77_133:
	ds_read_b64 v[94:95], v96
.LBB77_134:
	s_and_saveexec_b64 s[4:5], s[0:1]
	s_cbranch_execz .LBB77_144
; %bb.135:
	v_add_u32_e32 v97, -5, v0
	v_add_u32_e32 v98, -4, v0
	v_cmp_lt_u32_e32 vcc, 6, v97
	v_mov_b32_e32 v97, 4
	s_and_saveexec_b64 s[0:1], vcc
	s_cbranch_execz .LBB77_139
; %bb.136:
	v_and_b32_e32 v97, -8, v98
	v_sub_u32_e32 v99, 0, v97
	s_mov_b64 s[6:7], 5
	s_movk_i32 s10, 0x90
	s_mov_b64 s[8:9], 0
.LBB77_137:                             ; =>This Inner Loop Header: Depth=1
	s_lshl_b32 s11, s6, 1
	s_add_i32 s12, s11, -1
	v_mov_b32_e32 v97, s10
	s_add_i32 s13, s11, -2
	s_set_gpr_idx_on s12, gpr_idx(SRC0)
	v_mov_b32_e32 v109, v34
	s_set_gpr_idx_off
	s_set_gpr_idx_on s13, gpr_idx(SRC0)
	v_mov_b32_e32 v108, v34
	s_set_gpr_idx_off
	ds_read_b128 v[100:103], v97
	ds_read_b128 v[104:107], v97 offset:16
	s_add_i32 s12, s11, 3
	s_add_i32 s13, s11, 2
	s_waitcnt lgkmcnt(1)
	v_fma_f64 v[94:95], v[108:109], v[100:101], v[94:95]
	ds_read_b128 v[108:111], v97 offset:32
	ds_read_b128 v[112:115], v97 offset:48
	s_set_gpr_idx_on s11, gpr_idx(SRC0)
	v_mov_b32_e32 v101, v35
	v_mov_b32_e32 v100, v34
	s_set_gpr_idx_off
	v_fma_f64 v[94:95], v[100:101], v[102:103], v[94:95]
	s_set_gpr_idx_on s12, gpr_idx(SRC0)
	v_mov_b32_e32 v101, v34
	s_set_gpr_idx_off
	s_set_gpr_idx_on s13, gpr_idx(SRC0)
	v_mov_b32_e32 v100, v34
	s_set_gpr_idx_off
	s_add_i32 s12, s11, 5
	s_add_i32 s13, s11, 4
	s_waitcnt lgkmcnt(2)
	v_fma_f64 v[94:95], v[100:101], v[104:105], v[94:95]
	s_set_gpr_idx_on s12, gpr_idx(SRC0)
	v_mov_b32_e32 v101, v34
	s_set_gpr_idx_off
	s_set_gpr_idx_on s13, gpr_idx(SRC0)
	v_mov_b32_e32 v100, v34
	s_set_gpr_idx_off
	s_add_i32 s12, s11, 7
	s_add_i32 s13, s11, 6
	v_fma_f64 v[94:95], v[100:101], v[106:107], v[94:95]
	s_set_gpr_idx_on s12, gpr_idx(SRC0)
	v_mov_b32_e32 v101, v34
	s_set_gpr_idx_off
	s_set_gpr_idx_on s13, gpr_idx(SRC0)
	v_mov_b32_e32 v100, v34
	s_set_gpr_idx_off
	s_add_i32 s12, s11, 9
	s_add_i32 s13, s11, 8
	s_waitcnt lgkmcnt(1)
	v_fma_f64 v[94:95], v[100:101], v[108:109], v[94:95]
	s_set_gpr_idx_on s12, gpr_idx(SRC0)
	v_mov_b32_e32 v101, v34
	s_set_gpr_idx_off
	s_set_gpr_idx_on s13, gpr_idx(SRC0)
	v_mov_b32_e32 v100, v34
	s_set_gpr_idx_off
	s_add_i32 s12, s11, 11
	s_add_i32 s13, s11, 10
	v_fma_f64 v[94:95], v[100:101], v[110:111], v[94:95]
	s_set_gpr_idx_on s12, gpr_idx(SRC0)
	v_mov_b32_e32 v101, v34
	s_set_gpr_idx_off
	s_set_gpr_idx_on s13, gpr_idx(SRC0)
	v_mov_b32_e32 v100, v34
	s_set_gpr_idx_off
	s_add_i32 s12, s11, 13
	s_add_i32 s11, s11, 12
	s_add_u32 s6, s6, 8
	v_add_u32_e32 v97, s6, v99
	s_addc_u32 s7, s7, 0
	s_waitcnt lgkmcnt(0)
	v_fma_f64 v[94:95], v[100:101], v[112:113], v[94:95]
	s_set_gpr_idx_on s12, gpr_idx(SRC0)
	v_mov_b32_e32 v101, v34
	s_set_gpr_idx_off
	s_set_gpr_idx_on s11, gpr_idx(SRC0)
	v_mov_b32_e32 v100, v34
	s_set_gpr_idx_off
	s_add_i32 s10, s10, 64
	s_add_i32 s11, s6, -1
	v_cmp_eq_u32_e32 vcc, 5, v97
	s_or_b64 s[8:9], vcc, s[8:9]
	v_mov_b32_e32 v97, s11
	v_fma_f64 v[94:95], v[100:101], v[114:115], v[94:95]
	s_andn2_b64 exec, exec, s[8:9]
	s_cbranch_execnz .LBB77_137
; %bb.138:
	s_or_b64 exec, exec, s[8:9]
.LBB77_139:
	s_or_b64 exec, exec, s[0:1]
	v_and_b32_e32 v62, 7, v98
	v_cmp_ne_u32_e32 vcc, 0, v62
	s_and_saveexec_b64 s[6:7], vcc
	s_cbranch_execz .LBB77_143
; %bb.140:
	v_mov_b32_e32 v63, 0x70
	v_lshl_add_u32 v63, v97, 3, v63
	v_mov_b32_e32 v64, 0
	s_mov_b64 s[8:9], 0
.LBB77_141:                             ; =>This Inner Loop Header: Depth=1
	v_cmp_eq_u32_e32 vcc, 1, v97
	v_cndmask_b32_e32 v65, v35, v37, vcc
	v_cmp_eq_u32_e64 s[0:1], 2, v97
	v_cndmask_b32_e64 v65, v65, v39, s[0:1]
	v_cndmask_b32_e32 v100, v34, v36, vcc
	v_cmp_eq_u32_e32 vcc, 3, v97
	v_cndmask_b32_e32 v65, v65, v41, vcc
	v_cndmask_b32_e64 v100, v100, v38, s[0:1]
	v_cmp_eq_u32_e64 s[0:1], 4, v97
	v_cndmask_b32_e64 v65, v65, v43, s[0:1]
	v_cndmask_b32_e32 v100, v100, v40, vcc
	v_cmp_eq_u32_e32 vcc, 5, v97
	v_cndmask_b32_e32 v65, v65, v45, vcc
	v_cndmask_b32_e64 v100, v100, v42, s[0:1]
	;; [unrolled: 6-line block ×4, first 2 shown]
	v_cmp_eq_u32_e64 s[0:1], 10, v97
	ds_read_b64 v[98:99], v63
	v_cndmask_b32_e64 v65, v65, v55, s[0:1]
	v_cndmask_b32_e32 v100, v100, v52, vcc
	v_cmp_eq_u32_e32 vcc, 11, v97
	v_cndmask_b32_e32 v65, v65, v57, vcc
	v_cndmask_b32_e64 v100, v100, v54, s[0:1]
	v_cmp_eq_u32_e64 s[0:1], 12, v97
	v_cndmask_b32_e64 v65, v65, v59, s[0:1]
	v_cndmask_b32_e32 v100, v100, v56, vcc
	v_cmp_eq_u32_e32 vcc, 13, v97
	v_cndmask_b32_e32 v101, v65, v61, vcc
	v_cndmask_b32_e64 v65, v100, v58, s[0:1]
	v_cndmask_b32_e32 v100, v65, v60, vcc
	s_waitcnt lgkmcnt(0)
	v_fma_f64 v[94:95], v[100:101], v[98:99], v[94:95]
	v_add_u32_e32 v62, -1, v62
	v_cmp_eq_u32_e32 vcc, 0, v62
	s_or_b64 s[8:9], vcc, s[8:9]
	v_add_co_u32_e32 v97, vcc, 1, v97
	v_add_u32_e32 v63, 8, v63
	v_addc_co_u32_e32 v64, vcc, 0, v64, vcc
	s_andn2_b64 exec, exec, s[8:9]
	s_cbranch_execnz .LBB77_141
; %bb.142:
	s_or_b64 exec, exec, s[8:9]
.LBB77_143:
	s_or_b64 exec, exec, s[6:7]
.LBB77_144:
	s_or_b64 exec, exec, s[4:5]
	v_mov_b32_e32 v40, 0
	ds_read_b64 v[40:41], v40 offset:24
	s_waitcnt lgkmcnt(0)
	v_mul_f64 v[40:41], v[94:95], v[40:41]
.LBB77_145:
	s_or_b64 exec, exec, s[28:29]
	v_cmp_lt_u32_e64 s[0:1], 2, v0
	ds_write_b64 v96, v[38:39]
	s_waitcnt lgkmcnt(0)
	; wave barrier
	s_and_saveexec_b64 s[28:29], s[0:1]
	s_cbranch_execz .LBB77_161
; %bb.146:
	s_andn2_b64 vcc, exec, s[30:31]
	s_cbranch_vccnz .LBB77_148
; %bb.147:
	v_cmp_eq_u32_e32 vcc, 1, v0
	v_cndmask_b32_e32 v94, v35, v37, vcc
	v_cmp_eq_u32_e64 s[4:5], 2, v0
	v_cndmask_b32_e64 v94, v94, v39, s[4:5]
	v_cmp_eq_u32_e64 s[6:7], 3, v0
	v_cndmask_b32_e64 v94, v94, v41, s[6:7]
	;; [unrolled: 2-line block ×12, first 2 shown]
	v_cndmask_b32_e32 v94, v34, v36, vcc
	v_cndmask_b32_e64 v94, v94, v38, s[4:5]
	v_cndmask_b32_e64 v94, v94, v40, s[6:7]
	;; [unrolled: 1-line block ×8, first 2 shown]
	ds_read_b64 v[97:98], v96
	v_cndmask_b32_e64 v94, v94, v54, s[20:21]
	v_cndmask_b32_e64 v94, v94, v56, s[22:23]
	;; [unrolled: 1-line block ×4, first 2 shown]
	s_waitcnt lgkmcnt(0)
	v_mul_f64 v[94:95], v[94:95], v[97:98]
	s_cbranch_execz .LBB77_149
	s_branch .LBB77_150
.LBB77_148:
                                        ; implicit-def: $vgpr94_vgpr95
.LBB77_149:
	ds_read_b64 v[94:95], v96
.LBB77_150:
	s_and_saveexec_b64 s[4:5], s[2:3]
	s_cbranch_execz .LBB77_160
; %bb.151:
	v_add_u32_e32 v97, -4, v0
	v_add_u32_e32 v98, -3, v0
	v_cmp_lt_u32_e32 vcc, 6, v97
	v_mov_b32_e32 v97, 3
	s_and_saveexec_b64 s[2:3], vcc
	s_cbranch_execz .LBB77_155
; %bb.152:
	v_and_b32_e32 v97, -8, v98
	v_sub_u32_e32 v99, 0, v97
	s_mov_b64 s[6:7], 10
	s_movk_i32 s10, 0x88
	s_mov_b64 s[8:9], 0
.LBB77_153:                             ; =>This Inner Loop Header: Depth=1
	s_lshl_b32 s11, s6, 1
	s_add_i32 s12, s11, -13
	v_mov_b32_e32 v97, s10
	s_add_i32 s13, s11, -14
	s_set_gpr_idx_on s12, gpr_idx(SRC0)
	v_mov_b32_e32 v105, v34
	s_set_gpr_idx_off
	s_set_gpr_idx_on s13, gpr_idx(SRC0)
	v_mov_b32_e32 v104, v34
	s_set_gpr_idx_off
	ds_read2_b64 v[100:103], v97 offset1:1
	s_add_i32 s12, s11, -11
	s_add_i32 s13, s11, -12
	s_add_i32 s14, s11, -9
	s_add_i32 s15, s11, -10
	s_waitcnt lgkmcnt(0)
	v_fma_f64 v[94:95], v[104:105], v[100:101], v[94:95]
	s_set_gpr_idx_on s12, gpr_idx(SRC0)
	v_mov_b32_e32 v101, v34
	s_set_gpr_idx_off
	s_set_gpr_idx_on s13, gpr_idx(SRC0)
	v_mov_b32_e32 v100, v34
	s_set_gpr_idx_off
	s_add_i32 s12, s11, -7
	s_add_i32 s13, s11, -8
	v_fma_f64 v[94:95], v[100:101], v[102:103], v[94:95]
	s_set_gpr_idx_on s14, gpr_idx(SRC0)
	v_mov_b32_e32 v105, v34
	s_set_gpr_idx_off
	s_set_gpr_idx_on s15, gpr_idx(SRC0)
	v_mov_b32_e32 v104, v34
	s_set_gpr_idx_off
	ds_read2_b64 v[100:103], v97 offset0:2 offset1:3
	s_add_i32 s14, s11, -5
	s_add_i32 s15, s11, -6
	s_waitcnt lgkmcnt(0)
	v_fma_f64 v[94:95], v[104:105], v[100:101], v[94:95]
	s_set_gpr_idx_on s12, gpr_idx(SRC0)
	v_mov_b32_e32 v101, v34
	s_set_gpr_idx_off
	s_set_gpr_idx_on s13, gpr_idx(SRC0)
	v_mov_b32_e32 v100, v34
	s_set_gpr_idx_off
	s_add_i32 s12, s11, -3
	s_add_i32 s13, s11, -4
	v_fma_f64 v[94:95], v[100:101], v[102:103], v[94:95]
	s_set_gpr_idx_on s14, gpr_idx(SRC0)
	v_mov_b32_e32 v105, v34
	s_set_gpr_idx_off
	s_set_gpr_idx_on s15, gpr_idx(SRC0)
	v_mov_b32_e32 v104, v34
	s_set_gpr_idx_off
	ds_read2_b64 v[100:103], v97 offset0:4 offset1:5
	s_add_i32 s14, s11, -1
	s_add_i32 s15, s11, -2
	s_add_u32 s6, s6, 8
	s_addc_u32 s7, s7, 0
	s_waitcnt lgkmcnt(0)
	v_fma_f64 v[94:95], v[104:105], v[100:101], v[94:95]
	s_set_gpr_idx_on s12, gpr_idx(SRC0)
	v_mov_b32_e32 v101, v34
	s_set_gpr_idx_off
	s_set_gpr_idx_on s13, gpr_idx(SRC0)
	v_mov_b32_e32 v100, v34
	s_set_gpr_idx_off
	s_add_i32 s10, s10, 64
	v_fma_f64 v[94:95], v[100:101], v[102:103], v[94:95]
	s_set_gpr_idx_on s14, gpr_idx(SRC0)
	v_mov_b32_e32 v105, v34
	s_set_gpr_idx_off
	s_set_gpr_idx_on s15, gpr_idx(SRC0)
	v_mov_b32_e32 v104, v34
	s_set_gpr_idx_off
	ds_read2_b64 v[100:103], v97 offset0:6 offset1:7
	v_add_u32_e32 v97, s6, v99
	v_cmp_eq_u32_e32 vcc, 10, v97
	s_waitcnt lgkmcnt(0)
	v_fma_f64 v[94:95], v[104:105], v[100:101], v[94:95]
	s_set_gpr_idx_on s11, gpr_idx(SRC0)
	v_mov_b32_e32 v101, v35
	v_mov_b32_e32 v100, v34
	s_set_gpr_idx_off
	s_add_i32 s11, s6, -7
	s_or_b64 s[8:9], vcc, s[8:9]
	v_mov_b32_e32 v97, s11
	v_fma_f64 v[94:95], v[100:101], v[102:103], v[94:95]
	s_andn2_b64 exec, exec, s[8:9]
	s_cbranch_execnz .LBB77_153
; %bb.154:
	s_or_b64 exec, exec, s[8:9]
.LBB77_155:
	s_or_b64 exec, exec, s[2:3]
	v_and_b32_e32 v62, 7, v98
	v_cmp_ne_u32_e32 vcc, 0, v62
	s_and_saveexec_b64 s[6:7], vcc
	s_cbranch_execz .LBB77_159
; %bb.156:
	v_mov_b32_e32 v63, 0x70
	v_lshl_add_u32 v63, v97, 3, v63
	v_mov_b32_e32 v64, 0
	s_mov_b64 s[8:9], 0
.LBB77_157:                             ; =>This Inner Loop Header: Depth=1
	v_cmp_eq_u32_e32 vcc, 1, v97
	v_cndmask_b32_e32 v65, v35, v37, vcc
	v_cmp_eq_u32_e64 s[2:3], 2, v97
	v_cndmask_b32_e64 v65, v65, v39, s[2:3]
	v_cndmask_b32_e32 v100, v34, v36, vcc
	v_cmp_eq_u32_e32 vcc, 3, v97
	v_cndmask_b32_e32 v65, v65, v41, vcc
	v_cndmask_b32_e64 v100, v100, v38, s[2:3]
	v_cmp_eq_u32_e64 s[2:3], 4, v97
	v_cndmask_b32_e64 v65, v65, v43, s[2:3]
	v_cndmask_b32_e32 v100, v100, v40, vcc
	v_cmp_eq_u32_e32 vcc, 5, v97
	v_cndmask_b32_e32 v65, v65, v45, vcc
	v_cndmask_b32_e64 v100, v100, v42, s[2:3]
	v_cmp_eq_u32_e64 s[2:3], 6, v97
	v_cndmask_b32_e64 v65, v65, v47, s[2:3]
	v_cndmask_b32_e32 v100, v100, v44, vcc
	v_cmp_eq_u32_e32 vcc, 7, v97
	v_cndmask_b32_e32 v65, v65, v49, vcc
	v_cndmask_b32_e64 v100, v100, v46, s[2:3]
	v_cmp_eq_u32_e64 s[2:3], 8, v97
	v_cndmask_b32_e64 v65, v65, v51, s[2:3]
	v_cndmask_b32_e32 v100, v100, v48, vcc
	v_cmp_eq_u32_e32 vcc, 9, v97
	v_cndmask_b32_e32 v65, v65, v53, vcc
	v_cndmask_b32_e64 v100, v100, v50, s[2:3]
	v_cmp_eq_u32_e64 s[2:3], 10, v97
	ds_read_b64 v[98:99], v63
	v_cndmask_b32_e64 v65, v65, v55, s[2:3]
	v_cndmask_b32_e32 v100, v100, v52, vcc
	v_cmp_eq_u32_e32 vcc, 11, v97
	v_cndmask_b32_e32 v65, v65, v57, vcc
	v_cndmask_b32_e64 v100, v100, v54, s[2:3]
	v_cmp_eq_u32_e64 s[2:3], 12, v97
	v_cndmask_b32_e64 v65, v65, v59, s[2:3]
	v_cndmask_b32_e32 v100, v100, v56, vcc
	v_cmp_eq_u32_e32 vcc, 13, v97
	v_cndmask_b32_e32 v101, v65, v61, vcc
	v_cndmask_b32_e64 v65, v100, v58, s[2:3]
	v_cndmask_b32_e32 v100, v65, v60, vcc
	s_waitcnt lgkmcnt(0)
	v_fma_f64 v[94:95], v[100:101], v[98:99], v[94:95]
	v_add_u32_e32 v62, -1, v62
	v_cmp_eq_u32_e32 vcc, 0, v62
	s_or_b64 s[8:9], vcc, s[8:9]
	v_add_co_u32_e32 v97, vcc, 1, v97
	v_add_u32_e32 v63, 8, v63
	v_addc_co_u32_e32 v64, vcc, 0, v64, vcc
	s_andn2_b64 exec, exec, s[8:9]
	s_cbranch_execnz .LBB77_157
; %bb.158:
	s_or_b64 exec, exec, s[8:9]
.LBB77_159:
	s_or_b64 exec, exec, s[6:7]
.LBB77_160:
	s_or_b64 exec, exec, s[4:5]
	v_mov_b32_e32 v38, 0
	ds_read_b64 v[38:39], v38 offset:16
	s_waitcnt lgkmcnt(0)
	v_mul_f64 v[38:39], v[94:95], v[38:39]
.LBB77_161:
	s_or_b64 exec, exec, s[28:29]
	v_cmp_lt_u32_e64 s[2:3], 1, v0
	ds_write_b64 v96, v[36:37]
	s_waitcnt lgkmcnt(0)
	; wave barrier
	s_and_saveexec_b64 s[28:29], s[2:3]
	s_cbranch_execz .LBB77_177
; %bb.162:
	s_andn2_b64 vcc, exec, s[30:31]
	s_cbranch_vccnz .LBB77_164
; %bb.163:
	v_cmp_eq_u32_e32 vcc, 1, v0
	v_cndmask_b32_e32 v94, v35, v37, vcc
	v_cmp_eq_u32_e64 s[4:5], 2, v0
	v_cndmask_b32_e64 v94, v94, v39, s[4:5]
	v_cmp_eq_u32_e64 s[6:7], 3, v0
	v_cndmask_b32_e64 v94, v94, v41, s[6:7]
	;; [unrolled: 2-line block ×12, first 2 shown]
	v_cndmask_b32_e32 v94, v34, v36, vcc
	v_cndmask_b32_e64 v94, v94, v38, s[4:5]
	v_cndmask_b32_e64 v94, v94, v40, s[6:7]
	;; [unrolled: 1-line block ×8, first 2 shown]
	ds_read_b64 v[97:98], v96
	v_cndmask_b32_e64 v94, v94, v54, s[20:21]
	v_cndmask_b32_e64 v94, v94, v56, s[22:23]
	;; [unrolled: 1-line block ×4, first 2 shown]
	s_waitcnt lgkmcnt(0)
	v_mul_f64 v[94:95], v[94:95], v[97:98]
	s_cbranch_execz .LBB77_165
	s_branch .LBB77_166
.LBB77_164:
                                        ; implicit-def: $vgpr94_vgpr95
.LBB77_165:
	ds_read_b64 v[94:95], v96
.LBB77_166:
	s_and_saveexec_b64 s[4:5], s[0:1]
	s_cbranch_execz .LBB77_176
; %bb.167:
	v_add_u32_e32 v97, -3, v0
	v_add_u32_e32 v98, -2, v0
	v_cmp_lt_u32_e32 vcc, 6, v97
	v_mov_b32_e32 v97, 2
	s_and_saveexec_b64 s[0:1], vcc
	s_cbranch_execz .LBB77_171
; %bb.168:
	v_and_b32_e32 v97, -8, v98
	v_sub_u32_e32 v99, 0, v97
	s_mov_b64 s[6:7], 9
	s_movk_i32 s10, 0x80
	s_mov_b64 s[8:9], 0
.LBB77_169:                             ; =>This Inner Loop Header: Depth=1
	s_lshl_b32 s11, s6, 1
	s_add_i32 s12, s11, -13
	v_mov_b32_e32 v97, s10
	s_add_i32 s13, s11, -14
	s_set_gpr_idx_on s12, gpr_idx(SRC0)
	v_mov_b32_e32 v109, v34
	s_set_gpr_idx_off
	s_set_gpr_idx_on s13, gpr_idx(SRC0)
	v_mov_b32_e32 v108, v34
	s_set_gpr_idx_off
	ds_read_b128 v[100:103], v97
	ds_read_b128 v[104:107], v97 offset:16
	s_add_i32 s12, s11, -11
	s_add_i32 s13, s11, -12
	s_waitcnt lgkmcnt(1)
	v_fma_f64 v[94:95], v[108:109], v[100:101], v[94:95]
	ds_read_b128 v[108:111], v97 offset:32
	ds_read_b128 v[112:115], v97 offset:48
	s_set_gpr_idx_on s12, gpr_idx(SRC0)
	v_mov_b32_e32 v101, v34
	s_set_gpr_idx_off
	s_set_gpr_idx_on s13, gpr_idx(SRC0)
	v_mov_b32_e32 v100, v34
	s_set_gpr_idx_off
	s_add_i32 s12, s11, -9
	s_add_i32 s13, s11, -10
	v_fma_f64 v[94:95], v[100:101], v[102:103], v[94:95]
	s_set_gpr_idx_on s12, gpr_idx(SRC0)
	v_mov_b32_e32 v101, v34
	s_set_gpr_idx_off
	s_set_gpr_idx_on s13, gpr_idx(SRC0)
	v_mov_b32_e32 v100, v34
	s_set_gpr_idx_off
	s_add_i32 s12, s11, -7
	s_add_i32 s13, s11, -8
	s_waitcnt lgkmcnt(2)
	v_fma_f64 v[94:95], v[100:101], v[104:105], v[94:95]
	s_set_gpr_idx_on s12, gpr_idx(SRC0)
	v_mov_b32_e32 v101, v34
	s_set_gpr_idx_off
	s_set_gpr_idx_on s13, gpr_idx(SRC0)
	v_mov_b32_e32 v100, v34
	s_set_gpr_idx_off
	s_add_i32 s12, s11, -5
	s_add_i32 s13, s11, -6
	v_fma_f64 v[94:95], v[100:101], v[106:107], v[94:95]
	s_set_gpr_idx_on s12, gpr_idx(SRC0)
	v_mov_b32_e32 v101, v34
	s_set_gpr_idx_off
	s_set_gpr_idx_on s13, gpr_idx(SRC0)
	v_mov_b32_e32 v100, v34
	s_set_gpr_idx_off
	s_add_i32 s12, s11, -3
	s_add_i32 s13, s11, -4
	s_waitcnt lgkmcnt(1)
	v_fma_f64 v[94:95], v[100:101], v[108:109], v[94:95]
	s_set_gpr_idx_on s12, gpr_idx(SRC0)
	v_mov_b32_e32 v101, v34
	s_set_gpr_idx_off
	s_set_gpr_idx_on s13, gpr_idx(SRC0)
	v_mov_b32_e32 v100, v34
	s_set_gpr_idx_off
	s_add_i32 s12, s11, -1
	s_add_i32 s13, s11, -2
	s_add_u32 s6, s6, 8
	v_add_u32_e32 v97, s6, v99
	s_addc_u32 s7, s7, 0
	v_fma_f64 v[94:95], v[100:101], v[110:111], v[94:95]
	s_set_gpr_idx_on s12, gpr_idx(SRC0)
	v_mov_b32_e32 v101, v34
	s_set_gpr_idx_off
	s_set_gpr_idx_on s13, gpr_idx(SRC0)
	v_mov_b32_e32 v100, v34
	s_set_gpr_idx_off
	s_add_i32 s10, s10, 64
	v_cmp_eq_u32_e32 vcc, 9, v97
	s_waitcnt lgkmcnt(0)
	v_fma_f64 v[94:95], v[100:101], v[112:113], v[94:95]
	s_set_gpr_idx_on s11, gpr_idx(SRC0)
	v_mov_b32_e32 v101, v35
	v_mov_b32_e32 v100, v34
	s_set_gpr_idx_off
	s_add_i32 s11, s6, -7
	s_or_b64 s[8:9], vcc, s[8:9]
	v_mov_b32_e32 v97, s11
	v_fma_f64 v[94:95], v[100:101], v[114:115], v[94:95]
	s_andn2_b64 exec, exec, s[8:9]
	s_cbranch_execnz .LBB77_169
; %bb.170:
	s_or_b64 exec, exec, s[8:9]
.LBB77_171:
	s_or_b64 exec, exec, s[0:1]
	v_and_b32_e32 v62, 7, v98
	v_cmp_ne_u32_e32 vcc, 0, v62
	s_and_saveexec_b64 s[6:7], vcc
	s_cbranch_execz .LBB77_175
; %bb.172:
	v_mov_b32_e32 v63, 0x70
	v_lshl_add_u32 v63, v97, 3, v63
	v_mov_b32_e32 v64, 0
	s_mov_b64 s[8:9], 0
.LBB77_173:                             ; =>This Inner Loop Header: Depth=1
	v_cmp_eq_u32_e32 vcc, 1, v97
	v_cndmask_b32_e32 v65, v35, v37, vcc
	v_cmp_eq_u32_e64 s[0:1], 2, v97
	v_cndmask_b32_e64 v65, v65, v39, s[0:1]
	v_cndmask_b32_e32 v100, v34, v36, vcc
	v_cmp_eq_u32_e32 vcc, 3, v97
	v_cndmask_b32_e32 v65, v65, v41, vcc
	v_cndmask_b32_e64 v100, v100, v38, s[0:1]
	v_cmp_eq_u32_e64 s[0:1], 4, v97
	v_cndmask_b32_e64 v65, v65, v43, s[0:1]
	v_cndmask_b32_e32 v100, v100, v40, vcc
	v_cmp_eq_u32_e32 vcc, 5, v97
	v_cndmask_b32_e32 v65, v65, v45, vcc
	v_cndmask_b32_e64 v100, v100, v42, s[0:1]
	;; [unrolled: 6-line block ×4, first 2 shown]
	v_cmp_eq_u32_e64 s[0:1], 10, v97
	ds_read_b64 v[98:99], v63
	v_cndmask_b32_e64 v65, v65, v55, s[0:1]
	v_cndmask_b32_e32 v100, v100, v52, vcc
	v_cmp_eq_u32_e32 vcc, 11, v97
	v_cndmask_b32_e32 v65, v65, v57, vcc
	v_cndmask_b32_e64 v100, v100, v54, s[0:1]
	v_cmp_eq_u32_e64 s[0:1], 12, v97
	v_cndmask_b32_e64 v65, v65, v59, s[0:1]
	v_cndmask_b32_e32 v100, v100, v56, vcc
	v_cmp_eq_u32_e32 vcc, 13, v97
	v_cndmask_b32_e32 v101, v65, v61, vcc
	v_cndmask_b32_e64 v65, v100, v58, s[0:1]
	v_cndmask_b32_e32 v100, v65, v60, vcc
	s_waitcnt lgkmcnt(0)
	v_fma_f64 v[94:95], v[100:101], v[98:99], v[94:95]
	v_add_u32_e32 v62, -1, v62
	v_cmp_eq_u32_e32 vcc, 0, v62
	s_or_b64 s[8:9], vcc, s[8:9]
	v_add_co_u32_e32 v97, vcc, 1, v97
	v_add_u32_e32 v63, 8, v63
	v_addc_co_u32_e32 v64, vcc, 0, v64, vcc
	s_andn2_b64 exec, exec, s[8:9]
	s_cbranch_execnz .LBB77_173
; %bb.174:
	s_or_b64 exec, exec, s[8:9]
.LBB77_175:
	s_or_b64 exec, exec, s[6:7]
.LBB77_176:
	s_or_b64 exec, exec, s[4:5]
	v_mov_b32_e32 v36, 0
	ds_read_b64 v[36:37], v36 offset:8
	s_waitcnt lgkmcnt(0)
	v_mul_f64 v[36:37], v[94:95], v[36:37]
.LBB77_177:
	s_or_b64 exec, exec, s[28:29]
	v_cmp_ne_u32_e32 vcc, 0, v0
	ds_write_b64 v96, v[34:35]
	s_waitcnt lgkmcnt(0)
	; wave barrier
	s_and_saveexec_b64 s[26:27], vcc
	s_cbranch_execz .LBB77_193
; %bb.178:
	s_andn2_b64 vcc, exec, s[30:31]
	s_cbranch_vccnz .LBB77_180
; %bb.179:
	v_cmp_eq_u32_e32 vcc, 1, v0
	v_cndmask_b32_e32 v94, v35, v37, vcc
	v_cmp_eq_u32_e64 s[0:1], 2, v0
	v_cndmask_b32_e64 v94, v94, v39, s[0:1]
	v_cmp_eq_u32_e64 s[4:5], 3, v0
	v_cndmask_b32_e64 v94, v94, v41, s[4:5]
	;; [unrolled: 2-line block ×12, first 2 shown]
	v_cndmask_b32_e32 v94, v34, v36, vcc
	v_cndmask_b32_e64 v94, v94, v38, s[0:1]
	v_cndmask_b32_e64 v94, v94, v40, s[4:5]
	;; [unrolled: 1-line block ×8, first 2 shown]
	ds_read_b64 v[97:98], v96
	v_cndmask_b32_e64 v94, v94, v54, s[18:19]
	v_cndmask_b32_e64 v94, v94, v56, s[20:21]
	;; [unrolled: 1-line block ×4, first 2 shown]
	s_waitcnt lgkmcnt(0)
	v_mul_f64 v[94:95], v[94:95], v[97:98]
	s_cbranch_execz .LBB77_181
	s_branch .LBB77_182
.LBB77_180:
                                        ; implicit-def: $vgpr94_vgpr95
.LBB77_181:
	ds_read_b64 v[94:95], v96
.LBB77_182:
	s_and_saveexec_b64 s[4:5], s[2:3]
	s_cbranch_execz .LBB77_192
; %bb.183:
	v_add_u32_e32 v97, -2, v0
	v_add_u32_e32 v98, -1, v0
	v_cmp_lt_u32_e32 vcc, 6, v97
	v_mov_b32_e32 v97, 1
	s_and_saveexec_b64 s[0:1], vcc
	s_cbranch_execz .LBB77_187
; %bb.184:
	v_and_b32_e32 v97, -8, v98
	v_sub_u32_e32 v99, 0, v97
	s_mov_b64 s[2:3], 8
	s_movk_i32 s8, 0x78
	s_mov_b64 s[6:7], 0
.LBB77_185:                             ; =>This Inner Loop Header: Depth=1
	s_lshl_b32 s9, s2, 1
	s_add_i32 s10, s9, -13
	v_mov_b32_e32 v97, s8
	s_add_i32 s11, s9, -14
	s_set_gpr_idx_on s10, gpr_idx(SRC0)
	v_mov_b32_e32 v105, v34
	s_set_gpr_idx_off
	s_set_gpr_idx_on s11, gpr_idx(SRC0)
	v_mov_b32_e32 v104, v34
	s_set_gpr_idx_off
	ds_read2_b64 v[100:103], v97 offset1:1
	s_add_i32 s10, s9, -11
	s_add_i32 s11, s9, -12
	;; [unrolled: 1-line block ×4, first 2 shown]
	s_waitcnt lgkmcnt(0)
	v_fma_f64 v[94:95], v[104:105], v[100:101], v[94:95]
	s_set_gpr_idx_on s10, gpr_idx(SRC0)
	v_mov_b32_e32 v101, v34
	s_set_gpr_idx_off
	s_set_gpr_idx_on s11, gpr_idx(SRC0)
	v_mov_b32_e32 v100, v34
	s_set_gpr_idx_off
	s_add_i32 s10, s9, -7
	s_add_i32 s11, s9, -8
	v_fma_f64 v[94:95], v[100:101], v[102:103], v[94:95]
	s_set_gpr_idx_on s12, gpr_idx(SRC0)
	v_mov_b32_e32 v105, v34
	s_set_gpr_idx_off
	s_set_gpr_idx_on s13, gpr_idx(SRC0)
	v_mov_b32_e32 v104, v34
	s_set_gpr_idx_off
	ds_read2_b64 v[100:103], v97 offset0:2 offset1:3
	s_add_i32 s12, s9, -5
	s_add_i32 s13, s9, -6
	s_waitcnt lgkmcnt(0)
	v_fma_f64 v[94:95], v[104:105], v[100:101], v[94:95]
	s_set_gpr_idx_on s10, gpr_idx(SRC0)
	v_mov_b32_e32 v101, v34
	s_set_gpr_idx_off
	s_set_gpr_idx_on s11, gpr_idx(SRC0)
	v_mov_b32_e32 v100, v34
	s_set_gpr_idx_off
	s_add_i32 s10, s9, -3
	s_add_i32 s11, s9, -4
	v_fma_f64 v[94:95], v[100:101], v[102:103], v[94:95]
	s_set_gpr_idx_on s12, gpr_idx(SRC0)
	v_mov_b32_e32 v105, v34
	s_set_gpr_idx_off
	s_set_gpr_idx_on s13, gpr_idx(SRC0)
	v_mov_b32_e32 v104, v34
	s_set_gpr_idx_off
	ds_read2_b64 v[100:103], v97 offset0:4 offset1:5
	s_add_i32 s12, s9, -1
	s_add_i32 s13, s9, -2
	s_add_u32 s2, s2, 8
	s_addc_u32 s3, s3, 0
	s_waitcnt lgkmcnt(0)
	v_fma_f64 v[94:95], v[104:105], v[100:101], v[94:95]
	s_set_gpr_idx_on s10, gpr_idx(SRC0)
	v_mov_b32_e32 v101, v34
	s_set_gpr_idx_off
	s_set_gpr_idx_on s11, gpr_idx(SRC0)
	v_mov_b32_e32 v100, v34
	s_set_gpr_idx_off
	s_add_i32 s8, s8, 64
	v_fma_f64 v[94:95], v[100:101], v[102:103], v[94:95]
	s_set_gpr_idx_on s12, gpr_idx(SRC0)
	v_mov_b32_e32 v105, v34
	s_set_gpr_idx_off
	s_set_gpr_idx_on s13, gpr_idx(SRC0)
	v_mov_b32_e32 v104, v34
	s_set_gpr_idx_off
	ds_read2_b64 v[100:103], v97 offset0:6 offset1:7
	v_add_u32_e32 v97, s2, v99
	v_cmp_eq_u32_e32 vcc, 8, v97
	s_waitcnt lgkmcnt(0)
	v_fma_f64 v[94:95], v[104:105], v[100:101], v[94:95]
	s_set_gpr_idx_on s9, gpr_idx(SRC0)
	v_mov_b32_e32 v101, v35
	v_mov_b32_e32 v100, v34
	s_set_gpr_idx_off
	s_add_i32 s9, s2, -7
	s_or_b64 s[6:7], vcc, s[6:7]
	v_mov_b32_e32 v97, s9
	v_fma_f64 v[94:95], v[100:101], v[102:103], v[94:95]
	s_andn2_b64 exec, exec, s[6:7]
	s_cbranch_execnz .LBB77_185
; %bb.186:
	s_or_b64 exec, exec, s[6:7]
.LBB77_187:
	s_or_b64 exec, exec, s[0:1]
	v_and_b32_e32 v62, 7, v98
	v_cmp_ne_u32_e32 vcc, 0, v62
	s_and_saveexec_b64 s[2:3], vcc
	s_cbranch_execz .LBB77_191
; %bb.188:
	v_mov_b32_e32 v63, 0x70
	v_lshl_add_u32 v63, v97, 3, v63
	v_mov_b32_e32 v64, 0
	s_mov_b64 s[6:7], 0
.LBB77_189:                             ; =>This Inner Loop Header: Depth=1
	v_cmp_eq_u32_e32 vcc, 1, v97
	v_cndmask_b32_e32 v65, v35, v37, vcc
	v_cmp_eq_u32_e64 s[0:1], 2, v97
	v_cndmask_b32_e64 v65, v65, v39, s[0:1]
	v_cndmask_b32_e32 v100, v34, v36, vcc
	v_cmp_eq_u32_e32 vcc, 3, v97
	v_cndmask_b32_e32 v65, v65, v41, vcc
	v_cndmask_b32_e64 v100, v100, v38, s[0:1]
	v_cmp_eq_u32_e64 s[0:1], 4, v97
	v_cndmask_b32_e64 v65, v65, v43, s[0:1]
	v_cndmask_b32_e32 v100, v100, v40, vcc
	v_cmp_eq_u32_e32 vcc, 5, v97
	v_cndmask_b32_e32 v65, v65, v45, vcc
	v_cndmask_b32_e64 v100, v100, v42, s[0:1]
	;; [unrolled: 6-line block ×4, first 2 shown]
	v_cmp_eq_u32_e64 s[0:1], 10, v97
	ds_read_b64 v[98:99], v63
	v_cndmask_b32_e64 v65, v65, v55, s[0:1]
	v_cndmask_b32_e32 v100, v100, v52, vcc
	v_cmp_eq_u32_e32 vcc, 11, v97
	v_cndmask_b32_e32 v65, v65, v57, vcc
	v_cndmask_b32_e64 v100, v100, v54, s[0:1]
	v_cmp_eq_u32_e64 s[0:1], 12, v97
	v_cndmask_b32_e64 v65, v65, v59, s[0:1]
	v_cndmask_b32_e32 v100, v100, v56, vcc
	v_cmp_eq_u32_e32 vcc, 13, v97
	v_cndmask_b32_e32 v101, v65, v61, vcc
	v_cndmask_b32_e64 v65, v100, v58, s[0:1]
	v_cndmask_b32_e32 v100, v65, v60, vcc
	s_waitcnt lgkmcnt(0)
	v_fma_f64 v[94:95], v[100:101], v[98:99], v[94:95]
	v_add_u32_e32 v62, -1, v62
	v_cmp_eq_u32_e32 vcc, 0, v62
	s_or_b64 s[6:7], vcc, s[6:7]
	v_add_co_u32_e32 v97, vcc, 1, v97
	v_add_u32_e32 v63, 8, v63
	v_addc_co_u32_e32 v64, vcc, 0, v64, vcc
	s_andn2_b64 exec, exec, s[6:7]
	s_cbranch_execnz .LBB77_189
; %bb.190:
	s_or_b64 exec, exec, s[6:7]
.LBB77_191:
	s_or_b64 exec, exec, s[2:3]
.LBB77_192:
	s_or_b64 exec, exec, s[4:5]
	v_mov_b32_e32 v34, 0
	ds_read_b64 v[34:35], v34
	s_waitcnt lgkmcnt(0)
	v_mul_f64 v[34:35], v[94:95], v[34:35]
.LBB77_193:
	s_or_b64 exec, exec, s[26:27]
	s_branch .LBB77_327
.LBB77_194:
	v_cmp_eq_u32_e64 s[2:3], 0, v0
	s_waitcnt vmcnt(0) lgkmcnt(0)
	ds_write_b64 v96, v[4:5]
	s_waitcnt lgkmcnt(0)
	; wave barrier
	s_and_saveexec_b64 s[26:27], s[2:3]
	s_cbranch_execz .LBB77_200
; %bb.195:
	s_and_b64 vcc, exec, s[30:31]
	s_cbranch_vccz .LBB77_197
; %bb.196:
	v_cmp_eq_u32_e32 vcc, 1, v0
	v_cndmask_b32_e32 v5, v3, v5, vcc
	v_cmp_eq_u32_e64 s[0:1], 2, v0
	v_cndmask_b32_e32 v4, v2, v4, vcc
	v_cndmask_b32_e64 v5, v5, v7, s[0:1]
	v_cmp_eq_u32_e64 s[4:5], 3, v0
	v_cndmask_b32_e64 v4, v4, v6, s[0:1]
	v_cndmask_b32_e64 v5, v5, v9, s[4:5]
	v_cmp_eq_u32_e64 s[6:7], 4, v0
	v_cndmask_b32_e64 v4, v4, v8, s[4:5]
	;; [unrolled: 3-line block ×8, first 2 shown]
	ds_read_b64 v[30:31], v96
	v_cndmask_b32_e64 v5, v5, v23, s[18:19]
	v_cmp_eq_u32_e64 s[20:21], 11, v0
	v_cndmask_b32_e64 v4, v4, v22, s[18:19]
	v_cndmask_b32_e64 v5, v5, v25, s[20:21]
	v_cmp_eq_u32_e64 s[22:23], 12, v0
	v_cndmask_b32_e64 v4, v4, v24, s[20:21]
	;; [unrolled: 3-line block ×3, first 2 shown]
	v_cndmask_b32_e64 v5, v5, v29, s[24:25]
	v_cndmask_b32_e64 v4, v4, v28, s[24:25]
	s_waitcnt lgkmcnt(0)
	v_mul_f64 v[4:5], v[4:5], v[30:31]
	s_cbranch_execz .LBB77_198
	s_branch .LBB77_199
.LBB77_197:
                                        ; implicit-def: $vgpr4_vgpr5
.LBB77_198:
	ds_read_b64 v[4:5], v96
.LBB77_199:
	v_mov_b32_e32 v30, 0
	ds_read_b64 v[30:31], v30 offset:8
	s_waitcnt lgkmcnt(0)
	v_mul_f64 v[4:5], v[4:5], v[30:31]
.LBB77_200:
	s_or_b64 exec, exec, s[26:27]
	v_cndmask_b32_e64 v34, 0, 1, s[30:31]
	v_cmp_gt_u32_e32 vcc, 2, v0
	v_cmp_ne_u32_e64 s[0:1], 1, v34
	ds_write_b64 v96, v[6:7]
	s_waitcnt lgkmcnt(0)
	; wave barrier
	s_and_saveexec_b64 s[28:29], vcc
	s_cbranch_execz .LBB77_206
; %bb.201:
	s_and_b64 vcc, exec, s[0:1]
	s_cbranch_vccnz .LBB77_203
; %bb.202:
	v_cmp_eq_u32_e32 vcc, 1, v0
	v_cndmask_b32_e32 v30, v3, v5, vcc
	v_cmp_eq_u32_e64 s[4:5], 2, v0
	v_cndmask_b32_e64 v7, v30, v7, s[4:5]
	v_cndmask_b32_e32 v30, v2, v4, vcc
	v_cmp_eq_u32_e64 s[6:7], 3, v0
	v_cndmask_b32_e64 v6, v30, v6, s[4:5]
	v_cndmask_b32_e64 v7, v7, v9, s[6:7]
	v_cmp_eq_u32_e64 s[8:9], 4, v0
	v_cndmask_b32_e64 v6, v6, v8, s[6:7]
	v_cndmask_b32_e64 v7, v7, v11, s[8:9]
	;; [unrolled: 3-line block ×7, first 2 shown]
	v_cmp_eq_u32_e64 s[20:21], 10, v0
	v_cndmask_b32_e64 v6, v6, v20, s[18:19]
	ds_read_b64 v[30:31], v96
	v_cndmask_b32_e64 v7, v7, v23, s[20:21]
	v_cmp_eq_u32_e64 s[22:23], 11, v0
	v_cndmask_b32_e64 v6, v6, v22, s[20:21]
	v_cndmask_b32_e64 v7, v7, v25, s[22:23]
	v_cmp_eq_u32_e64 s[24:25], 12, v0
	v_cndmask_b32_e64 v6, v6, v24, s[22:23]
	;; [unrolled: 3-line block ×3, first 2 shown]
	v_cndmask_b32_e64 v7, v7, v29, s[26:27]
	v_cndmask_b32_e64 v6, v6, v28, s[26:27]
	s_waitcnt lgkmcnt(0)
	v_mul_f64 v[6:7], v[6:7], v[30:31]
	s_cbranch_execz .LBB77_204
	s_branch .LBB77_205
.LBB77_203:
                                        ; implicit-def: $vgpr6_vgpr7
.LBB77_204:
	ds_read_b64 v[6:7], v96
.LBB77_205:
	v_mov_b32_e32 v30, 0
	ds_read2_b64 v[30:33], v30 offset0:2 offset1:15
	s_waitcnt lgkmcnt(0)
	v_fma_f64 v[32:33], v[4:5], v[32:33], v[6:7]
	v_cndmask_b32_e64 v7, v7, v33, s[2:3]
	v_cndmask_b32_e64 v6, v6, v32, s[2:3]
	v_mul_f64 v[6:7], v[6:7], v[30:31]
.LBB77_206:
	s_or_b64 exec, exec, s[28:29]
	v_add_u32_e32 v34, 1, v0
	v_cmp_gt_u32_e64 s[4:5], 3, v0
	ds_write_b64 v96, v[8:9]
	s_waitcnt lgkmcnt(0)
	; wave barrier
	s_and_saveexec_b64 s[30:31], s[4:5]
	s_cbranch_execz .LBB77_214
; %bb.207:
	s_and_b64 vcc, exec, s[0:1]
	s_cbranch_vccnz .LBB77_209
; %bb.208:
	v_cmp_eq_u32_e32 vcc, 1, v0
	v_cndmask_b32_e32 v30, v3, v5, vcc
	v_cmp_eq_u32_e64 s[6:7], 2, v0
	v_cndmask_b32_e64 v30, v30, v7, s[6:7]
	v_cmp_eq_u32_e64 s[8:9], 3, v0
	v_cndmask_b32_e64 v30, v30, v9, s[8:9]
	;; [unrolled: 2-line block ×12, first 2 shown]
	v_cndmask_b32_e32 v30, v2, v4, vcc
	v_cndmask_b32_e64 v30, v30, v6, s[6:7]
	v_cndmask_b32_e64 v30, v30, v8, s[8:9]
	;; [unrolled: 1-line block ×8, first 2 shown]
	ds_read_b64 v[32:33], v96
	v_cndmask_b32_e64 v30, v30, v22, s[22:23]
	v_cndmask_b32_e64 v30, v30, v24, s[24:25]
	;; [unrolled: 1-line block ×4, first 2 shown]
	s_waitcnt lgkmcnt(0)
	v_mul_f64 v[30:31], v[30:31], v[32:33]
	s_cbranch_execz .LBB77_210
	s_branch .LBB77_211
.LBB77_209:
                                        ; implicit-def: $vgpr30_vgpr31
.LBB77_210:
	ds_read_b64 v[30:31], v96
.LBB77_211:
	v_cmp_ne_u32_e32 vcc, 2, v0
	s_and_saveexec_b64 s[34:35], vcc
	s_cbranch_execz .LBB77_213
; %bb.212:
	v_cmp_eq_u32_e32 vcc, 1, v34
	v_cndmask_b32_e32 v32, v3, v5, vcc
	v_cmp_eq_u32_e64 s[6:7], 2, v34
	v_cndmask_b32_e64 v32, v32, v7, s[6:7]
	v_cmp_eq_u32_e64 s[8:9], 3, v34
	v_cndmask_b32_e64 v9, v32, v9, s[8:9]
	v_cndmask_b32_e32 v32, v2, v4, vcc
	v_cndmask_b32_e64 v32, v32, v6, s[6:7]
	v_cmp_eq_u32_e64 s[10:11], 4, v34
	v_cndmask_b32_e64 v8, v32, v8, s[8:9]
	v_cndmask_b32_e64 v9, v9, v11, s[10:11]
	v_cmp_eq_u32_e64 s[12:13], 5, v34
	v_cndmask_b32_e64 v8, v8, v10, s[10:11]
	;; [unrolled: 3-line block ×7, first 2 shown]
	ds_read_b64 v[32:33], v96 offset:8
	v_cndmask_b32_e64 v9, v9, v23, s[22:23]
	v_cmp_eq_u32_e64 s[24:25], 11, v34
	v_cndmask_b32_e64 v8, v8, v22, s[22:23]
	v_cndmask_b32_e64 v9, v9, v25, s[24:25]
	v_cmp_eq_u32_e64 s[26:27], 12, v34
	v_cndmask_b32_e64 v8, v8, v24, s[24:25]
	;; [unrolled: 3-line block ×3, first 2 shown]
	v_cndmask_b32_e64 v9, v9, v29, s[28:29]
	v_cndmask_b32_e64 v8, v8, v28, s[28:29]
	v_mov_b32_e32 v35, 0
	ds_read_b64 v[35:36], v35 offset:128
	s_waitcnt lgkmcnt(1)
	v_fma_f64 v[8:9], v[8:9], v[32:33], v[30:31]
	s_waitcnt lgkmcnt(0)
	v_fma_f64 v[30:31], v[6:7], v[35:36], v[8:9]
	v_cndmask_b32_e64 v31, v9, v31, s[2:3]
	v_cndmask_b32_e64 v30, v8, v30, s[2:3]
.LBB77_213:
	s_or_b64 exec, exec, s[34:35]
	v_mov_b32_e32 v8, 0
	ds_read_b64 v[8:9], v8 offset:24
	s_waitcnt lgkmcnt(0)
	v_mul_f64 v[8:9], v[30:31], v[8:9]
.LBB77_214:
	s_or_b64 exec, exec, s[30:31]
	v_cmp_gt_u32_e32 vcc, 4, v0
	ds_write_b64 v96, v[10:11]
	s_waitcnt lgkmcnt(0)
	; wave barrier
	s_and_saveexec_b64 s[30:31], vcc
	s_cbranch_execz .LBB77_224
; %bb.215:
	s_and_b64 vcc, exec, s[0:1]
	s_cbranch_vccnz .LBB77_217
; %bb.216:
	v_cmp_eq_u32_e32 vcc, 1, v0
	v_cndmask_b32_e32 v30, v3, v5, vcc
	v_cmp_eq_u32_e64 s[6:7], 2, v0
	v_cndmask_b32_e64 v30, v30, v7, s[6:7]
	v_cmp_eq_u32_e64 s[8:9], 3, v0
	v_cndmask_b32_e64 v30, v30, v9, s[8:9]
	;; [unrolled: 2-line block ×12, first 2 shown]
	v_cndmask_b32_e32 v30, v2, v4, vcc
	v_cndmask_b32_e64 v30, v30, v6, s[6:7]
	v_cndmask_b32_e64 v30, v30, v8, s[8:9]
	;; [unrolled: 1-line block ×8, first 2 shown]
	ds_read_b64 v[32:33], v96
	v_cndmask_b32_e64 v30, v30, v22, s[22:23]
	v_cndmask_b32_e64 v30, v30, v24, s[24:25]
	v_cndmask_b32_e64 v30, v30, v26, s[26:27]
	v_cndmask_b32_e64 v30, v30, v28, s[28:29]
	s_waitcnt lgkmcnt(0)
	v_mul_f64 v[30:31], v[30:31], v[32:33]
	s_cbranch_execz .LBB77_218
	s_branch .LBB77_219
.LBB77_217:
                                        ; implicit-def: $vgpr30_vgpr31
.LBB77_218:
	ds_read_b64 v[30:31], v96
.LBB77_219:
	v_cmp_ne_u32_e32 vcc, 3, v0
	s_and_saveexec_b64 s[8:9], vcc
	s_cbranch_execz .LBB77_223
; %bb.220:
	v_mov_b32_e32 v32, 0x78
	v_lshl_add_u32 v35, v0, 3, v32
	v_mov_b32_e32 v33, v1
	s_mov_b64 s[10:11], 0
	v_mov_b32_e32 v32, v0
.LBB77_221:                             ; =>This Inner Loop Header: Depth=1
	v_add_co_u32_e32 v32, vcc, 1, v32
	v_addc_co_u32_e32 v33, vcc, 0, v33, vcc
	v_cmp_eq_u32_e32 vcc, 1, v32
	v_cndmask_b32_e32 v38, v3, v5, vcc
	v_cmp_eq_u32_e64 s[6:7], 2, v32
	v_cndmask_b32_e64 v38, v38, v7, s[6:7]
	v_cndmask_b32_e32 v39, v2, v4, vcc
	v_cmp_eq_u32_e32 vcc, 3, v32
	v_cndmask_b32_e32 v38, v38, v9, vcc
	v_cndmask_b32_e64 v39, v39, v6, s[6:7]
	v_cmp_eq_u32_e64 s[6:7], 4, v32
	v_cndmask_b32_e64 v38, v38, v11, s[6:7]
	v_cndmask_b32_e32 v39, v39, v8, vcc
	v_cmp_eq_u32_e32 vcc, 5, v32
	v_cndmask_b32_e32 v38, v38, v13, vcc
	v_cndmask_b32_e64 v39, v39, v10, s[6:7]
	;; [unrolled: 6-line block ×4, first 2 shown]
	v_cmp_eq_u32_e64 s[6:7], 10, v32
	ds_read_b64 v[36:37], v35
	v_cndmask_b32_e64 v38, v38, v23, s[6:7]
	v_cndmask_b32_e32 v39, v39, v20, vcc
	v_cmp_eq_u32_e32 vcc, 11, v32
	v_cndmask_b32_e32 v38, v38, v25, vcc
	v_cndmask_b32_e64 v39, v39, v22, s[6:7]
	v_cmp_eq_u32_e64 s[6:7], 12, v32
	v_cndmask_b32_e64 v38, v38, v27, s[6:7]
	v_cndmask_b32_e32 v40, v39, v24, vcc
	v_cmp_eq_u32_e32 vcc, 13, v32
	v_cndmask_b32_e32 v39, v38, v29, vcc
	v_cndmask_b32_e64 v38, v40, v26, s[6:7]
	v_cndmask_b32_e32 v38, v38, v28, vcc
	s_waitcnt lgkmcnt(0)
	v_fma_f64 v[30:31], v[38:39], v[36:37], v[30:31]
	v_cmp_lt_u32_e32 vcc, 2, v32
	s_or_b64 s[10:11], vcc, s[10:11]
	v_add_u32_e32 v35, 8, v35
	s_andn2_b64 exec, exec, s[10:11]
	s_cbranch_execnz .LBB77_221
; %bb.222:
	s_or_b64 exec, exec, s[10:11]
.LBB77_223:
	s_or_b64 exec, exec, s[8:9]
	v_mov_b32_e32 v10, 0
	ds_read_b64 v[10:11], v10 offset:32
	s_waitcnt lgkmcnt(0)
	v_mul_f64 v[10:11], v[30:31], v[10:11]
.LBB77_224:
	s_or_b64 exec, exec, s[30:31]
	v_cmp_gt_u32_e64 s[6:7], 5, v0
	ds_write_b64 v96, v[12:13]
	s_waitcnt lgkmcnt(0)
	; wave barrier
	s_and_saveexec_b64 s[34:35], s[6:7]
	s_cbranch_execz .LBB77_234
; %bb.225:
	s_and_b64 vcc, exec, s[0:1]
	s_cbranch_vccnz .LBB77_227
; %bb.226:
	v_cmp_eq_u32_e32 vcc, 1, v0
	v_cndmask_b32_e32 v30, v3, v5, vcc
	v_cmp_eq_u32_e64 s[8:9], 2, v0
	v_cndmask_b32_e64 v30, v30, v7, s[8:9]
	v_cmp_eq_u32_e64 s[10:11], 3, v0
	v_cndmask_b32_e64 v30, v30, v9, s[10:11]
	v_cmp_eq_u32_e64 s[12:13], 4, v0
	v_cndmask_b32_e64 v30, v30, v11, s[12:13]
	v_cmp_eq_u32_e64 s[14:15], 5, v0
	v_cndmask_b32_e64 v30, v30, v13, s[14:15]
	v_cmp_eq_u32_e64 s[16:17], 6, v0
	v_cndmask_b32_e64 v30, v30, v15, s[16:17]
	v_cmp_eq_u32_e64 s[18:19], 7, v0
	v_cndmask_b32_e64 v30, v30, v17, s[18:19]
	v_cmp_eq_u32_e64 s[20:21], 8, v0
	v_cndmask_b32_e64 v30, v30, v19, s[20:21]
	v_cmp_eq_u32_e64 s[22:23], 9, v0
	v_cndmask_b32_e64 v30, v30, v21, s[22:23]
	v_cmp_eq_u32_e64 s[24:25], 10, v0
	v_cndmask_b32_e64 v30, v30, v23, s[24:25]
	v_cmp_eq_u32_e64 s[26:27], 11, v0
	v_cndmask_b32_e64 v30, v30, v25, s[26:27]
	v_cmp_eq_u32_e64 s[28:29], 12, v0
	v_cndmask_b32_e64 v30, v30, v27, s[28:29]
	v_cmp_eq_u32_e64 s[30:31], 13, v0
	v_cndmask_b32_e64 v31, v30, v29, s[30:31]
	v_cndmask_b32_e32 v30, v2, v4, vcc
	v_cndmask_b32_e64 v30, v30, v6, s[8:9]
	v_cndmask_b32_e64 v30, v30, v8, s[10:11]
	v_cndmask_b32_e64 v30, v30, v10, s[12:13]
	v_cndmask_b32_e64 v30, v30, v12, s[14:15]
	v_cndmask_b32_e64 v30, v30, v14, s[16:17]
	v_cndmask_b32_e64 v30, v30, v16, s[18:19]
	v_cndmask_b32_e64 v30, v30, v18, s[20:21]
	v_cndmask_b32_e64 v30, v30, v20, s[22:23]
	ds_read_b64 v[32:33], v96
	v_cndmask_b32_e64 v30, v30, v22, s[24:25]
	v_cndmask_b32_e64 v30, v30, v24, s[26:27]
	v_cndmask_b32_e64 v30, v30, v26, s[28:29]
	v_cndmask_b32_e64 v30, v30, v28, s[30:31]
	s_waitcnt lgkmcnt(0)
	v_mul_f64 v[30:31], v[30:31], v[32:33]
	s_cbranch_execz .LBB77_228
	s_branch .LBB77_229
.LBB77_227:
                                        ; implicit-def: $vgpr30_vgpr31
.LBB77_228:
	ds_read_b64 v[30:31], v96
.LBB77_229:
	v_cmp_ne_u32_e32 vcc, 4, v0
	s_and_saveexec_b64 s[10:11], vcc
	s_cbranch_execz .LBB77_233
; %bb.230:
	v_mov_b32_e32 v32, 0x78
	v_lshl_add_u32 v35, v0, 3, v32
	v_mov_b32_e32 v33, v1
	s_mov_b64 s[12:13], 0
	v_mov_b32_e32 v32, v0
.LBB77_231:                             ; =>This Inner Loop Header: Depth=1
	v_add_co_u32_e32 v32, vcc, 1, v32
	v_addc_co_u32_e32 v33, vcc, 0, v33, vcc
	v_cmp_eq_u32_e32 vcc, 1, v32
	v_cndmask_b32_e32 v38, v3, v5, vcc
	v_cmp_eq_u32_e64 s[8:9], 2, v32
	v_cndmask_b32_e64 v38, v38, v7, s[8:9]
	v_cndmask_b32_e32 v39, v2, v4, vcc
	v_cmp_eq_u32_e32 vcc, 3, v32
	v_cndmask_b32_e32 v38, v38, v9, vcc
	v_cndmask_b32_e64 v39, v39, v6, s[8:9]
	v_cmp_eq_u32_e64 s[8:9], 4, v32
	v_cndmask_b32_e64 v38, v38, v11, s[8:9]
	v_cndmask_b32_e32 v39, v39, v8, vcc
	v_cmp_eq_u32_e32 vcc, 5, v32
	v_cndmask_b32_e32 v38, v38, v13, vcc
	v_cndmask_b32_e64 v39, v39, v10, s[8:9]
	;; [unrolled: 6-line block ×4, first 2 shown]
	v_cmp_eq_u32_e64 s[8:9], 10, v32
	ds_read_b64 v[36:37], v35
	v_cndmask_b32_e64 v38, v38, v23, s[8:9]
	v_cndmask_b32_e32 v39, v39, v20, vcc
	v_cmp_eq_u32_e32 vcc, 11, v32
	v_cndmask_b32_e32 v38, v38, v25, vcc
	v_cndmask_b32_e64 v39, v39, v22, s[8:9]
	v_cmp_eq_u32_e64 s[8:9], 12, v32
	v_cndmask_b32_e64 v38, v38, v27, s[8:9]
	v_cndmask_b32_e32 v40, v39, v24, vcc
	v_cmp_eq_u32_e32 vcc, 13, v32
	v_cndmask_b32_e32 v39, v38, v29, vcc
	v_cndmask_b32_e64 v38, v40, v26, s[8:9]
	v_cndmask_b32_e32 v38, v38, v28, vcc
	s_waitcnt lgkmcnt(0)
	v_fma_f64 v[30:31], v[38:39], v[36:37], v[30:31]
	v_cmp_lt_u32_e32 vcc, 3, v32
	s_or_b64 s[12:13], vcc, s[12:13]
	v_add_u32_e32 v35, 8, v35
	s_andn2_b64 exec, exec, s[12:13]
	s_cbranch_execnz .LBB77_231
; %bb.232:
	s_or_b64 exec, exec, s[12:13]
.LBB77_233:
	s_or_b64 exec, exec, s[10:11]
	v_mov_b32_e32 v12, 0
	ds_read_b64 v[12:13], v12 offset:40
	s_waitcnt lgkmcnt(0)
	v_mul_f64 v[12:13], v[30:31], v[12:13]
.LBB77_234:
	s_or_b64 exec, exec, s[34:35]
	v_cmp_gt_u32_e32 vcc, 6, v0
	ds_write_b64 v96, v[14:15]
	s_waitcnt lgkmcnt(0)
	; wave barrier
	s_and_saveexec_b64 s[34:35], vcc
	s_cbranch_execz .LBB77_244
; %bb.235:
	s_and_b64 vcc, exec, s[0:1]
	s_cbranch_vccnz .LBB77_237
; %bb.236:
	v_cmp_eq_u32_e32 vcc, 1, v0
	v_cndmask_b32_e32 v30, v3, v5, vcc
	v_cmp_eq_u32_e64 s[8:9], 2, v0
	v_cndmask_b32_e64 v30, v30, v7, s[8:9]
	v_cmp_eq_u32_e64 s[10:11], 3, v0
	v_cndmask_b32_e64 v30, v30, v9, s[10:11]
	;; [unrolled: 2-line block ×12, first 2 shown]
	v_cndmask_b32_e32 v30, v2, v4, vcc
	v_cndmask_b32_e64 v30, v30, v6, s[8:9]
	v_cndmask_b32_e64 v30, v30, v8, s[10:11]
	;; [unrolled: 1-line block ×8, first 2 shown]
	ds_read_b64 v[32:33], v96
	v_cndmask_b32_e64 v30, v30, v22, s[24:25]
	v_cndmask_b32_e64 v30, v30, v24, s[26:27]
	;; [unrolled: 1-line block ×4, first 2 shown]
	s_waitcnt lgkmcnt(0)
	v_mul_f64 v[30:31], v[30:31], v[32:33]
	s_cbranch_execz .LBB77_238
	s_branch .LBB77_239
.LBB77_237:
                                        ; implicit-def: $vgpr30_vgpr31
.LBB77_238:
	ds_read_b64 v[30:31], v96
.LBB77_239:
	v_cmp_ne_u32_e32 vcc, 5, v0
	s_and_saveexec_b64 s[10:11], vcc
	s_cbranch_execz .LBB77_243
; %bb.240:
	v_mov_b32_e32 v32, 0x78
	v_lshl_add_u32 v35, v0, 3, v32
	v_mov_b32_e32 v33, v1
	s_mov_b64 s[12:13], 0
	v_mov_b32_e32 v32, v0
.LBB77_241:                             ; =>This Inner Loop Header: Depth=1
	v_add_co_u32_e32 v32, vcc, 1, v32
	v_addc_co_u32_e32 v33, vcc, 0, v33, vcc
	v_cmp_eq_u32_e32 vcc, 1, v32
	v_cndmask_b32_e32 v38, v3, v5, vcc
	v_cmp_eq_u32_e64 s[8:9], 2, v32
	v_cndmask_b32_e64 v38, v38, v7, s[8:9]
	v_cndmask_b32_e32 v39, v2, v4, vcc
	v_cmp_eq_u32_e32 vcc, 3, v32
	v_cndmask_b32_e32 v38, v38, v9, vcc
	v_cndmask_b32_e64 v39, v39, v6, s[8:9]
	v_cmp_eq_u32_e64 s[8:9], 4, v32
	v_cndmask_b32_e64 v38, v38, v11, s[8:9]
	v_cndmask_b32_e32 v39, v39, v8, vcc
	v_cmp_eq_u32_e32 vcc, 5, v32
	v_cndmask_b32_e32 v38, v38, v13, vcc
	v_cndmask_b32_e64 v39, v39, v10, s[8:9]
	;; [unrolled: 6-line block ×4, first 2 shown]
	v_cmp_eq_u32_e64 s[8:9], 10, v32
	ds_read_b64 v[36:37], v35
	v_cndmask_b32_e64 v38, v38, v23, s[8:9]
	v_cndmask_b32_e32 v39, v39, v20, vcc
	v_cmp_eq_u32_e32 vcc, 11, v32
	v_cndmask_b32_e32 v38, v38, v25, vcc
	v_cndmask_b32_e64 v39, v39, v22, s[8:9]
	v_cmp_eq_u32_e64 s[8:9], 12, v32
	v_cndmask_b32_e64 v38, v38, v27, s[8:9]
	v_cndmask_b32_e32 v40, v39, v24, vcc
	v_cmp_eq_u32_e32 vcc, 13, v32
	v_cndmask_b32_e32 v39, v38, v29, vcc
	v_cndmask_b32_e64 v38, v40, v26, s[8:9]
	v_cndmask_b32_e32 v38, v38, v28, vcc
	s_waitcnt lgkmcnt(0)
	v_fma_f64 v[30:31], v[38:39], v[36:37], v[30:31]
	v_cmp_lt_u32_e32 vcc, 4, v32
	s_or_b64 s[12:13], vcc, s[12:13]
	v_add_u32_e32 v35, 8, v35
	s_andn2_b64 exec, exec, s[12:13]
	s_cbranch_execnz .LBB77_241
; %bb.242:
	s_or_b64 exec, exec, s[12:13]
.LBB77_243:
	s_or_b64 exec, exec, s[10:11]
	v_mov_b32_e32 v14, 0
	ds_read_b64 v[14:15], v14 offset:48
	s_waitcnt lgkmcnt(0)
	v_mul_f64 v[14:15], v[30:31], v[14:15]
.LBB77_244:
	s_or_b64 exec, exec, s[34:35]
	v_cmp_gt_u32_e64 s[8:9], 7, v0
	ds_write_b64 v96, v[16:17]
	s_waitcnt lgkmcnt(0)
	; wave barrier
	s_and_saveexec_b64 s[36:37], s[8:9]
	s_cbranch_execz .LBB77_254
; %bb.245:
	s_and_b64 vcc, exec, s[0:1]
	s_cbranch_vccnz .LBB77_247
; %bb.246:
	v_cmp_eq_u32_e32 vcc, 1, v0
	v_cndmask_b32_e32 v30, v3, v5, vcc
	v_cmp_eq_u32_e64 s[10:11], 2, v0
	v_cndmask_b32_e64 v30, v30, v7, s[10:11]
	v_cmp_eq_u32_e64 s[12:13], 3, v0
	v_cndmask_b32_e64 v30, v30, v9, s[12:13]
	;; [unrolled: 2-line block ×12, first 2 shown]
	v_cndmask_b32_e32 v30, v2, v4, vcc
	v_cndmask_b32_e64 v30, v30, v6, s[10:11]
	v_cndmask_b32_e64 v30, v30, v8, s[12:13]
	;; [unrolled: 1-line block ×8, first 2 shown]
	ds_read_b64 v[32:33], v96
	v_cndmask_b32_e64 v30, v30, v22, s[26:27]
	v_cndmask_b32_e64 v30, v30, v24, s[28:29]
	v_cndmask_b32_e64 v30, v30, v26, s[30:31]
	v_cndmask_b32_e64 v30, v30, v28, s[34:35]
	s_waitcnt lgkmcnt(0)
	v_mul_f64 v[30:31], v[30:31], v[32:33]
	s_cbranch_execz .LBB77_248
	s_branch .LBB77_249
.LBB77_247:
                                        ; implicit-def: $vgpr30_vgpr31
.LBB77_248:
	ds_read_b64 v[30:31], v96
.LBB77_249:
	v_cmp_ne_u32_e32 vcc, 6, v0
	s_and_saveexec_b64 s[12:13], vcc
	s_cbranch_execz .LBB77_253
; %bb.250:
	v_mov_b32_e32 v32, 0x78
	v_lshl_add_u32 v35, v0, 3, v32
	v_mov_b32_e32 v33, v1
	s_mov_b64 s[14:15], 0
	v_mov_b32_e32 v32, v0
.LBB77_251:                             ; =>This Inner Loop Header: Depth=1
	v_add_co_u32_e32 v32, vcc, 1, v32
	v_addc_co_u32_e32 v33, vcc, 0, v33, vcc
	v_cmp_eq_u32_e32 vcc, 1, v32
	v_cndmask_b32_e32 v38, v3, v5, vcc
	v_cmp_eq_u32_e64 s[10:11], 2, v32
	v_cndmask_b32_e64 v38, v38, v7, s[10:11]
	v_cndmask_b32_e32 v39, v2, v4, vcc
	v_cmp_eq_u32_e32 vcc, 3, v32
	v_cndmask_b32_e32 v38, v38, v9, vcc
	v_cndmask_b32_e64 v39, v39, v6, s[10:11]
	v_cmp_eq_u32_e64 s[10:11], 4, v32
	v_cndmask_b32_e64 v38, v38, v11, s[10:11]
	v_cndmask_b32_e32 v39, v39, v8, vcc
	v_cmp_eq_u32_e32 vcc, 5, v32
	v_cndmask_b32_e32 v38, v38, v13, vcc
	v_cndmask_b32_e64 v39, v39, v10, s[10:11]
	v_cmp_eq_u32_e64 s[10:11], 6, v32
	v_cndmask_b32_e64 v38, v38, v15, s[10:11]
	v_cndmask_b32_e32 v39, v39, v12, vcc
	v_cmp_eq_u32_e32 vcc, 7, v32
	v_cndmask_b32_e32 v38, v38, v17, vcc
	v_cndmask_b32_e64 v39, v39, v14, s[10:11]
	v_cmp_eq_u32_e64 s[10:11], 8, v32
	v_cndmask_b32_e64 v38, v38, v19, s[10:11]
	v_cndmask_b32_e32 v39, v39, v16, vcc
	v_cmp_eq_u32_e32 vcc, 9, v32
	v_cndmask_b32_e32 v38, v38, v21, vcc
	v_cndmask_b32_e64 v39, v39, v18, s[10:11]
	v_cmp_eq_u32_e64 s[10:11], 10, v32
	ds_read_b64 v[36:37], v35
	v_cndmask_b32_e64 v38, v38, v23, s[10:11]
	v_cndmask_b32_e32 v39, v39, v20, vcc
	v_cmp_eq_u32_e32 vcc, 11, v32
	v_cndmask_b32_e32 v38, v38, v25, vcc
	v_cndmask_b32_e64 v39, v39, v22, s[10:11]
	v_cmp_eq_u32_e64 s[10:11], 12, v32
	v_cndmask_b32_e64 v38, v38, v27, s[10:11]
	v_cndmask_b32_e32 v40, v39, v24, vcc
	v_cmp_eq_u32_e32 vcc, 13, v32
	v_cndmask_b32_e32 v39, v38, v29, vcc
	v_cndmask_b32_e64 v38, v40, v26, s[10:11]
	v_cndmask_b32_e32 v38, v38, v28, vcc
	s_waitcnt lgkmcnt(0)
	v_fma_f64 v[30:31], v[38:39], v[36:37], v[30:31]
	v_cmp_lt_u32_e32 vcc, 5, v32
	s_or_b64 s[14:15], vcc, s[14:15]
	v_add_u32_e32 v35, 8, v35
	s_andn2_b64 exec, exec, s[14:15]
	s_cbranch_execnz .LBB77_251
; %bb.252:
	s_or_b64 exec, exec, s[14:15]
.LBB77_253:
	s_or_b64 exec, exec, s[12:13]
	v_mov_b32_e32 v16, 0
	ds_read_b64 v[16:17], v16 offset:56
	s_waitcnt lgkmcnt(0)
	v_mul_f64 v[16:17], v[30:31], v[16:17]
.LBB77_254:
	s_or_b64 exec, exec, s[36:37]
	v_cmp_gt_u32_e32 vcc, 8, v0
	ds_write_b64 v96, v[18:19]
	s_waitcnt lgkmcnt(0)
	; wave barrier
	s_and_saveexec_b64 s[36:37], vcc
	s_cbranch_execz .LBB77_264
; %bb.255:
	s_and_b64 vcc, exec, s[0:1]
	s_cbranch_vccnz .LBB77_257
; %bb.256:
	v_cmp_eq_u32_e32 vcc, 1, v0
	v_cndmask_b32_e32 v30, v3, v5, vcc
	v_cmp_eq_u32_e64 s[10:11], 2, v0
	v_cndmask_b32_e64 v30, v30, v7, s[10:11]
	v_cmp_eq_u32_e64 s[12:13], 3, v0
	v_cndmask_b32_e64 v30, v30, v9, s[12:13]
	;; [unrolled: 2-line block ×12, first 2 shown]
	v_cndmask_b32_e32 v30, v2, v4, vcc
	v_cndmask_b32_e64 v30, v30, v6, s[10:11]
	v_cndmask_b32_e64 v30, v30, v8, s[12:13]
	;; [unrolled: 1-line block ×8, first 2 shown]
	ds_read_b64 v[32:33], v96
	v_cndmask_b32_e64 v30, v30, v22, s[26:27]
	v_cndmask_b32_e64 v30, v30, v24, s[28:29]
	;; [unrolled: 1-line block ×4, first 2 shown]
	s_waitcnt lgkmcnt(0)
	v_mul_f64 v[30:31], v[30:31], v[32:33]
	s_cbranch_execz .LBB77_258
	s_branch .LBB77_259
.LBB77_257:
                                        ; implicit-def: $vgpr30_vgpr31
.LBB77_258:
	ds_read_b64 v[30:31], v96
.LBB77_259:
	v_cmp_ne_u32_e32 vcc, 7, v0
	s_and_saveexec_b64 s[12:13], vcc
	s_cbranch_execz .LBB77_263
; %bb.260:
	v_mov_b32_e32 v32, 0x78
	v_lshl_add_u32 v35, v0, 3, v32
	v_mov_b32_e32 v33, v1
	s_mov_b64 s[14:15], 0
	v_mov_b32_e32 v32, v0
.LBB77_261:                             ; =>This Inner Loop Header: Depth=1
	v_add_co_u32_e32 v32, vcc, 1, v32
	v_addc_co_u32_e32 v33, vcc, 0, v33, vcc
	v_cmp_eq_u32_e32 vcc, 1, v32
	v_cndmask_b32_e32 v38, v3, v5, vcc
	v_cmp_eq_u32_e64 s[10:11], 2, v32
	v_cndmask_b32_e64 v38, v38, v7, s[10:11]
	v_cndmask_b32_e32 v39, v2, v4, vcc
	v_cmp_eq_u32_e32 vcc, 3, v32
	v_cndmask_b32_e32 v38, v38, v9, vcc
	v_cndmask_b32_e64 v39, v39, v6, s[10:11]
	v_cmp_eq_u32_e64 s[10:11], 4, v32
	v_cndmask_b32_e64 v38, v38, v11, s[10:11]
	v_cndmask_b32_e32 v39, v39, v8, vcc
	v_cmp_eq_u32_e32 vcc, 5, v32
	v_cndmask_b32_e32 v38, v38, v13, vcc
	v_cndmask_b32_e64 v39, v39, v10, s[10:11]
	;; [unrolled: 6-line block ×4, first 2 shown]
	v_cmp_eq_u32_e64 s[10:11], 10, v32
	ds_read_b64 v[36:37], v35
	v_cndmask_b32_e64 v38, v38, v23, s[10:11]
	v_cndmask_b32_e32 v39, v39, v20, vcc
	v_cmp_eq_u32_e32 vcc, 11, v32
	v_cndmask_b32_e32 v38, v38, v25, vcc
	v_cndmask_b32_e64 v39, v39, v22, s[10:11]
	v_cmp_eq_u32_e64 s[10:11], 12, v32
	v_cndmask_b32_e64 v38, v38, v27, s[10:11]
	v_cndmask_b32_e32 v40, v39, v24, vcc
	v_cmp_eq_u32_e32 vcc, 13, v32
	v_cndmask_b32_e32 v39, v38, v29, vcc
	v_cndmask_b32_e64 v38, v40, v26, s[10:11]
	v_cndmask_b32_e32 v38, v38, v28, vcc
	s_waitcnt lgkmcnt(0)
	v_fma_f64 v[30:31], v[38:39], v[36:37], v[30:31]
	v_cmp_lt_u32_e32 vcc, 6, v32
	s_or_b64 s[14:15], vcc, s[14:15]
	v_add_u32_e32 v35, 8, v35
	s_andn2_b64 exec, exec, s[14:15]
	s_cbranch_execnz .LBB77_261
; %bb.262:
	s_or_b64 exec, exec, s[14:15]
.LBB77_263:
	s_or_b64 exec, exec, s[12:13]
	v_mov_b32_e32 v18, 0
	ds_read_b64 v[18:19], v18 offset:64
	s_waitcnt lgkmcnt(0)
	v_mul_f64 v[18:19], v[30:31], v[18:19]
.LBB77_264:
	s_or_b64 exec, exec, s[36:37]
	v_cmp_gt_u32_e32 vcc, 9, v0
	ds_write_b64 v96, v[20:21]
	s_waitcnt lgkmcnt(0)
	; wave barrier
	s_and_saveexec_b64 s[36:37], vcc
	s_cbranch_execz .LBB77_286
; %bb.265:
	s_and_b64 vcc, exec, s[0:1]
	s_cbranch_vccnz .LBB77_267
; %bb.266:
	v_cmp_eq_u32_e32 vcc, 1, v0
	v_cndmask_b32_e32 v30, v3, v5, vcc
	v_cmp_eq_u32_e64 s[10:11], 2, v0
	v_cndmask_b32_e64 v30, v30, v7, s[10:11]
	v_cmp_eq_u32_e64 s[12:13], 3, v0
	v_cndmask_b32_e64 v30, v30, v9, s[12:13]
	;; [unrolled: 2-line block ×12, first 2 shown]
	v_cndmask_b32_e32 v30, v2, v4, vcc
	v_cndmask_b32_e64 v30, v30, v6, s[10:11]
	v_cndmask_b32_e64 v30, v30, v8, s[12:13]
	;; [unrolled: 1-line block ×8, first 2 shown]
	ds_read_b64 v[32:33], v96
	v_cndmask_b32_e64 v30, v30, v22, s[26:27]
	v_cndmask_b32_e64 v30, v30, v24, s[28:29]
	;; [unrolled: 1-line block ×4, first 2 shown]
	s_waitcnt lgkmcnt(0)
	v_mul_f64 v[30:31], v[30:31], v[32:33]
	s_cbranch_execz .LBB77_268
	s_branch .LBB77_269
.LBB77_267:
                                        ; implicit-def: $vgpr30_vgpr31
.LBB77_268:
	ds_read_b64 v[30:31], v96
.LBB77_269:
	v_cmp_ne_u32_e32 vcc, 8, v0
	s_and_saveexec_b64 s[38:39], vcc
	s_cbranch_execz .LBB77_285
; %bb.270:
	v_cmp_eq_u32_e32 vcc, 1, v34
	v_cndmask_b32_e32 v32, v3, v5, vcc
	v_cmp_eq_u32_e64 s[10:11], 2, v34
	v_cndmask_b32_e64 v32, v32, v7, s[10:11]
	v_cmp_eq_u32_e64 s[12:13], 3, v34
	v_cndmask_b32_e64 v32, v32, v9, s[12:13]
	;; [unrolled: 2-line block ×12, first 2 shown]
	v_cndmask_b32_e32 v32, v2, v4, vcc
	v_cndmask_b32_e64 v32, v32, v6, s[10:11]
	v_cndmask_b32_e64 v32, v32, v8, s[12:13]
	;; [unrolled: 1-line block ×8, first 2 shown]
	ds_read_b64 v[34:35], v96 offset:8
	v_cndmask_b32_e64 v32, v32, v22, s[26:27]
	v_cndmask_b32_e64 v32, v32, v24, s[28:29]
	;; [unrolled: 1-line block ×4, first 2 shown]
	s_waitcnt lgkmcnt(0)
	v_fma_f64 v[30:31], v[32:33], v[34:35], v[30:31]
	s_and_saveexec_b64 s[34:35], s[8:9]
	s_cbranch_execz .LBB77_284
; %bb.271:
	v_add_u32_e32 v32, 2, v0
	v_cmp_eq_u32_e32 vcc, 1, v32
	v_cndmask_b32_e32 v33, v3, v5, vcc
	v_cmp_eq_u32_e64 s[8:9], 2, v32
	v_cmp_eq_u32_e64 s[10:11], 3, v32
	v_cmp_eq_u32_e64 s[12:13], 4, v32
	v_cmp_eq_u32_e64 s[14:15], 5, v32
	v_cmp_eq_u32_e64 s[16:17], 6, v32
	v_cmp_eq_u32_e64 s[18:19], 7, v32
	v_cmp_eq_u32_e64 s[20:21], 8, v32
	v_cmp_eq_u32_e64 s[22:23], 9, v32
	v_cmp_eq_u32_e64 s[24:25], 10, v32
	v_cmp_eq_u32_e64 s[26:27], 11, v32
	v_cmp_eq_u32_e64 s[28:29], 12, v32
	v_cmp_eq_u32_e64 s[30:31], 13, v32
	v_cndmask_b32_e32 v32, v2, v4, vcc
	v_cndmask_b32_e64 v33, v33, v7, s[8:9]
	v_cndmask_b32_e64 v32, v32, v6, s[8:9]
	;; [unrolled: 1-line block ×16, first 2 shown]
	ds_read_b64 v[34:35], v96 offset:16
	v_cndmask_b32_e64 v33, v33, v23, s[24:25]
	v_cndmask_b32_e64 v32, v32, v22, s[24:25]
	;; [unrolled: 1-line block ×8, first 2 shown]
	s_waitcnt lgkmcnt(0)
	v_fma_f64 v[30:31], v[32:33], v[34:35], v[30:31]
	v_cmp_ne_u32_e32 vcc, 6, v0
	s_and_saveexec_b64 s[40:41], vcc
	s_cbranch_execz .LBB77_283
; %bb.272:
	v_add_u32_e32 v32, 3, v0
	v_cmp_eq_u32_e32 vcc, 1, v32
	v_cndmask_b32_e32 v33, v3, v5, vcc
	v_cmp_eq_u32_e64 s[8:9], 2, v32
	v_cmp_eq_u32_e64 s[10:11], 3, v32
	;; [unrolled: 1-line block ×12, first 2 shown]
	v_cndmask_b32_e32 v32, v2, v4, vcc
	v_cndmask_b32_e64 v33, v33, v7, s[8:9]
	v_cndmask_b32_e64 v32, v32, v6, s[8:9]
	;; [unrolled: 1-line block ×16, first 2 shown]
	ds_read_b64 v[34:35], v96 offset:24
	v_cndmask_b32_e64 v33, v33, v23, s[24:25]
	v_cndmask_b32_e64 v32, v32, v22, s[24:25]
	;; [unrolled: 1-line block ×8, first 2 shown]
	s_waitcnt lgkmcnt(0)
	v_fma_f64 v[30:31], v[32:33], v[34:35], v[30:31]
	s_and_saveexec_b64 s[30:31], s[6:7]
	s_cbranch_execz .LBB77_282
; %bb.273:
	v_add_u32_e32 v32, 4, v0
	v_cmp_eq_u32_e32 vcc, 1, v32
	v_cndmask_b32_e32 v33, v3, v5, vcc
	v_cmp_eq_u32_e64 s[6:7], 2, v32
	v_cmp_eq_u32_e64 s[8:9], 3, v32
	;; [unrolled: 1-line block ×12, first 2 shown]
	v_cndmask_b32_e32 v32, v2, v4, vcc
	v_cndmask_b32_e64 v33, v33, v7, s[6:7]
	v_cndmask_b32_e64 v32, v32, v6, s[6:7]
	v_cndmask_b32_e64 v33, v33, v9, s[8:9]
	v_cndmask_b32_e64 v32, v32, v8, s[8:9]
	v_cndmask_b32_e64 v33, v33, v11, s[10:11]
	v_cndmask_b32_e64 v32, v32, v10, s[10:11]
	v_cndmask_b32_e64 v33, v33, v13, s[12:13]
	v_cndmask_b32_e64 v32, v32, v12, s[12:13]
	v_cndmask_b32_e64 v33, v33, v15, s[14:15]
	v_cndmask_b32_e64 v32, v32, v14, s[14:15]
	v_cndmask_b32_e64 v33, v33, v17, s[16:17]
	v_cndmask_b32_e64 v32, v32, v16, s[16:17]
	v_cndmask_b32_e64 v33, v33, v19, s[18:19]
	v_cndmask_b32_e64 v32, v32, v18, s[18:19]
	v_cndmask_b32_e64 v33, v33, v21, s[20:21]
	v_cndmask_b32_e64 v32, v32, v20, s[20:21]
	ds_read_b64 v[34:35], v96 offset:32
	v_cndmask_b32_e64 v33, v33, v23, s[22:23]
	v_cndmask_b32_e64 v32, v32, v22, s[22:23]
	;; [unrolled: 1-line block ×8, first 2 shown]
	s_waitcnt lgkmcnt(0)
	v_fma_f64 v[30:31], v[32:33], v[34:35], v[30:31]
	v_cmp_ne_u32_e32 vcc, 4, v0
	s_and_saveexec_b64 s[42:43], vcc
	s_cbranch_execz .LBB77_281
; %bb.274:
	v_add_u32_e32 v32, 5, v0
	v_cmp_eq_u32_e32 vcc, 1, v32
	v_cndmask_b32_e32 v33, v3, v5, vcc
	v_cmp_eq_u32_e64 s[6:7], 2, v32
	v_cmp_eq_u32_e64 s[8:9], 3, v32
	;; [unrolled: 1-line block ×12, first 2 shown]
	v_cndmask_b32_e32 v32, v2, v4, vcc
	v_cndmask_b32_e64 v33, v33, v7, s[6:7]
	v_cndmask_b32_e64 v32, v32, v6, s[6:7]
	;; [unrolled: 1-line block ×16, first 2 shown]
	ds_read_b64 v[34:35], v96 offset:40
	v_cndmask_b32_e64 v33, v33, v23, s[22:23]
	v_cndmask_b32_e64 v32, v32, v22, s[22:23]
	;; [unrolled: 1-line block ×8, first 2 shown]
	s_waitcnt lgkmcnt(0)
	v_fma_f64 v[30:31], v[32:33], v[34:35], v[30:31]
	s_and_saveexec_b64 s[28:29], s[4:5]
	s_cbranch_execz .LBB77_280
; %bb.275:
	v_add_u32_e32 v32, 6, v0
	v_cmp_eq_u32_e32 vcc, 1, v32
	v_cndmask_b32_e32 v33, v3, v5, vcc
	v_cmp_eq_u32_e64 s[4:5], 2, v32
	v_cmp_eq_u32_e64 s[6:7], 3, v32
	;; [unrolled: 1-line block ×12, first 2 shown]
	v_cndmask_b32_e32 v32, v2, v4, vcc
	v_cndmask_b32_e64 v33, v33, v7, s[4:5]
	v_cndmask_b32_e64 v32, v32, v6, s[4:5]
	;; [unrolled: 1-line block ×16, first 2 shown]
	ds_read_b64 v[34:35], v96 offset:48
	v_cndmask_b32_e64 v33, v33, v23, s[20:21]
	v_cndmask_b32_e64 v32, v32, v22, s[20:21]
	;; [unrolled: 1-line block ×8, first 2 shown]
	s_waitcnt lgkmcnt(0)
	v_fma_f64 v[30:31], v[32:33], v[34:35], v[30:31]
	v_cmp_ne_u32_e32 vcc, 2, v0
	s_and_saveexec_b64 s[44:45], vcc
	s_cbranch_execz .LBB77_279
; %bb.276:
	v_add_u32_e32 v32, 7, v0
	v_cmp_eq_u32_e32 vcc, 1, v32
	v_cndmask_b32_e32 v33, v3, v5, vcc
	v_cmp_eq_u32_e64 s[4:5], 2, v32
	v_cmp_eq_u32_e64 s[6:7], 3, v32
	;; [unrolled: 1-line block ×12, first 2 shown]
	v_cndmask_b32_e32 v32, v2, v4, vcc
	v_cndmask_b32_e64 v33, v33, v7, s[4:5]
	v_cndmask_b32_e64 v32, v32, v6, s[4:5]
	;; [unrolled: 1-line block ×16, first 2 shown]
	ds_read_b64 v[32:33], v96 offset:56
	v_cndmask_b32_e64 v21, v21, v23, s[20:21]
	v_cndmask_b32_e64 v20, v20, v22, s[20:21]
	;; [unrolled: 1-line block ×8, first 2 shown]
	s_waitcnt lgkmcnt(0)
	v_fma_f64 v[30:31], v[20:21], v[32:33], v[30:31]
	s_and_saveexec_b64 s[4:5], s[2:3]
	s_cbranch_execz .LBB77_278
; %bb.277:
	ds_read_b64 v[20:21], v96 offset:64
	s_waitcnt lgkmcnt(0)
	v_fma_f64 v[30:31], v[18:19], v[20:21], v[30:31]
.LBB77_278:
	s_or_b64 exec, exec, s[4:5]
.LBB77_279:
	s_or_b64 exec, exec, s[44:45]
.LBB77_280:
	s_or_b64 exec, exec, s[28:29]
.LBB77_281:
	s_or_b64 exec, exec, s[42:43]
.LBB77_282:
	s_or_b64 exec, exec, s[30:31]
.LBB77_283:
	s_or_b64 exec, exec, s[40:41]
.LBB77_284:
	s_or_b64 exec, exec, s[34:35]
.LBB77_285:
	s_or_b64 exec, exec, s[38:39]
	v_mov_b32_e32 v20, 0
	ds_read_b64 v[20:21], v20 offset:72
	s_waitcnt lgkmcnt(0)
	v_mul_f64 v[20:21], v[30:31], v[20:21]
.LBB77_286:
	s_or_b64 exec, exec, s[36:37]
	v_cmp_gt_u32_e32 vcc, 10, v0
	ds_write_b64 v96, v[22:23]
	s_waitcnt lgkmcnt(0)
	; wave barrier
	s_and_saveexec_b64 s[26:27], vcc
	s_cbranch_execz .LBB77_296
; %bb.287:
	s_and_b64 vcc, exec, s[0:1]
	s_cbranch_vccnz .LBB77_289
; %bb.288:
	v_cmp_eq_u32_e32 vcc, 1, v0
	v_cndmask_b32_e32 v30, v3, v5, vcc
	v_cmp_eq_u32_e64 s[2:3], 2, v0
	v_cndmask_b32_e64 v30, v30, v7, s[2:3]
	v_cmp_eq_u32_e64 s[4:5], 3, v0
	v_cndmask_b32_e64 v30, v30, v9, s[4:5]
	;; [unrolled: 2-line block ×12, first 2 shown]
	v_cndmask_b32_e32 v30, v2, v4, vcc
	v_cndmask_b32_e64 v30, v30, v6, s[2:3]
	v_cndmask_b32_e64 v30, v30, v8, s[4:5]
	;; [unrolled: 1-line block ×8, first 2 shown]
	ds_read_b64 v[32:33], v96
	v_cndmask_b32_e64 v30, v30, v22, s[18:19]
	v_cndmask_b32_e64 v30, v30, v24, s[20:21]
	;; [unrolled: 1-line block ×4, first 2 shown]
	s_waitcnt lgkmcnt(0)
	v_mul_f64 v[30:31], v[30:31], v[32:33]
	s_cbranch_execz .LBB77_290
	s_branch .LBB77_291
.LBB77_289:
                                        ; implicit-def: $vgpr30_vgpr31
.LBB77_290:
	ds_read_b64 v[30:31], v96
.LBB77_291:
	v_cmp_ne_u32_e32 vcc, 9, v0
	s_and_saveexec_b64 s[4:5], vcc
	s_cbranch_execz .LBB77_295
; %bb.292:
	v_mov_b32_e32 v32, 0x78
	v_lshl_add_u32 v34, v0, 3, v32
	v_mov_b32_e32 v33, v1
	s_mov_b64 s[6:7], 0
	v_mov_b32_e32 v32, v0
.LBB77_293:                             ; =>This Inner Loop Header: Depth=1
	v_add_co_u32_e32 v32, vcc, 1, v32
	v_addc_co_u32_e32 v33, vcc, 0, v33, vcc
	v_cmp_eq_u32_e32 vcc, 1, v32
	v_cndmask_b32_e32 v37, v3, v5, vcc
	v_cmp_eq_u32_e64 s[2:3], 2, v32
	v_cndmask_b32_e64 v37, v37, v7, s[2:3]
	v_cndmask_b32_e32 v38, v2, v4, vcc
	v_cmp_eq_u32_e32 vcc, 3, v32
	v_cndmask_b32_e32 v37, v37, v9, vcc
	v_cndmask_b32_e64 v38, v38, v6, s[2:3]
	v_cmp_eq_u32_e64 s[2:3], 4, v32
	v_cndmask_b32_e64 v37, v37, v11, s[2:3]
	v_cndmask_b32_e32 v38, v38, v8, vcc
	v_cmp_eq_u32_e32 vcc, 5, v32
	v_cndmask_b32_e32 v37, v37, v13, vcc
	v_cndmask_b32_e64 v38, v38, v10, s[2:3]
	;; [unrolled: 6-line block ×4, first 2 shown]
	v_cmp_eq_u32_e64 s[2:3], 10, v32
	ds_read_b64 v[35:36], v34
	v_cndmask_b32_e64 v37, v37, v23, s[2:3]
	v_cndmask_b32_e32 v38, v38, v20, vcc
	v_cmp_eq_u32_e32 vcc, 11, v32
	v_cndmask_b32_e32 v37, v37, v25, vcc
	v_cndmask_b32_e64 v38, v38, v22, s[2:3]
	v_cmp_eq_u32_e64 s[2:3], 12, v32
	v_cndmask_b32_e64 v37, v37, v27, s[2:3]
	v_cndmask_b32_e32 v39, v38, v24, vcc
	v_cmp_eq_u32_e32 vcc, 13, v32
	v_cndmask_b32_e32 v38, v37, v29, vcc
	v_cndmask_b32_e64 v37, v39, v26, s[2:3]
	v_cndmask_b32_e32 v37, v37, v28, vcc
	s_waitcnt lgkmcnt(0)
	v_fma_f64 v[30:31], v[37:38], v[35:36], v[30:31]
	v_cmp_lt_u32_e32 vcc, 8, v32
	s_or_b64 s[6:7], vcc, s[6:7]
	v_add_u32_e32 v34, 8, v34
	s_andn2_b64 exec, exec, s[6:7]
	s_cbranch_execnz .LBB77_293
; %bb.294:
	s_or_b64 exec, exec, s[6:7]
.LBB77_295:
	s_or_b64 exec, exec, s[4:5]
	v_mov_b32_e32 v22, 0
	ds_read_b64 v[22:23], v22 offset:80
	s_waitcnt lgkmcnt(0)
	v_mul_f64 v[22:23], v[30:31], v[22:23]
.LBB77_296:
	s_or_b64 exec, exec, s[26:27]
	v_cmp_gt_u32_e32 vcc, 11, v0
	ds_write_b64 v96, v[24:25]
	s_waitcnt lgkmcnt(0)
	; wave barrier
	s_and_saveexec_b64 s[26:27], vcc
	s_cbranch_execz .LBB77_306
; %bb.297:
	s_and_b64 vcc, exec, s[0:1]
	s_cbranch_vccnz .LBB77_299
; %bb.298:
	v_cmp_eq_u32_e32 vcc, 1, v0
	v_cndmask_b32_e32 v30, v3, v5, vcc
	v_cmp_eq_u32_e64 s[2:3], 2, v0
	v_cndmask_b32_e64 v30, v30, v7, s[2:3]
	v_cmp_eq_u32_e64 s[4:5], 3, v0
	v_cndmask_b32_e64 v30, v30, v9, s[4:5]
	;; [unrolled: 2-line block ×12, first 2 shown]
	v_cndmask_b32_e32 v30, v2, v4, vcc
	v_cndmask_b32_e64 v30, v30, v6, s[2:3]
	v_cndmask_b32_e64 v30, v30, v8, s[4:5]
	;; [unrolled: 1-line block ×8, first 2 shown]
	ds_read_b64 v[32:33], v96
	v_cndmask_b32_e64 v30, v30, v22, s[18:19]
	v_cndmask_b32_e64 v30, v30, v24, s[20:21]
	;; [unrolled: 1-line block ×4, first 2 shown]
	s_waitcnt lgkmcnt(0)
	v_mul_f64 v[30:31], v[30:31], v[32:33]
	s_cbranch_execz .LBB77_300
	s_branch .LBB77_301
.LBB77_299:
                                        ; implicit-def: $vgpr30_vgpr31
.LBB77_300:
	ds_read_b64 v[30:31], v96
.LBB77_301:
	v_cmp_ne_u32_e32 vcc, 10, v0
	s_and_saveexec_b64 s[4:5], vcc
	s_cbranch_execz .LBB77_305
; %bb.302:
	v_mov_b32_e32 v32, 0x78
	v_lshl_add_u32 v34, v0, 3, v32
	v_mov_b32_e32 v33, v1
	s_mov_b64 s[6:7], 0
	v_mov_b32_e32 v32, v0
.LBB77_303:                             ; =>This Inner Loop Header: Depth=1
	v_add_co_u32_e32 v32, vcc, 1, v32
	v_addc_co_u32_e32 v33, vcc, 0, v33, vcc
	v_cmp_eq_u32_e32 vcc, 1, v32
	v_cndmask_b32_e32 v37, v3, v5, vcc
	v_cmp_eq_u32_e64 s[2:3], 2, v32
	v_cndmask_b32_e64 v37, v37, v7, s[2:3]
	v_cndmask_b32_e32 v38, v2, v4, vcc
	v_cmp_eq_u32_e32 vcc, 3, v32
	v_cndmask_b32_e32 v37, v37, v9, vcc
	v_cndmask_b32_e64 v38, v38, v6, s[2:3]
	v_cmp_eq_u32_e64 s[2:3], 4, v32
	v_cndmask_b32_e64 v37, v37, v11, s[2:3]
	v_cndmask_b32_e32 v38, v38, v8, vcc
	v_cmp_eq_u32_e32 vcc, 5, v32
	v_cndmask_b32_e32 v37, v37, v13, vcc
	v_cndmask_b32_e64 v38, v38, v10, s[2:3]
	;; [unrolled: 6-line block ×4, first 2 shown]
	v_cmp_eq_u32_e64 s[2:3], 10, v32
	ds_read_b64 v[35:36], v34
	v_cndmask_b32_e64 v37, v37, v23, s[2:3]
	v_cndmask_b32_e32 v38, v38, v20, vcc
	v_cmp_eq_u32_e32 vcc, 11, v32
	v_cndmask_b32_e32 v37, v37, v25, vcc
	v_cndmask_b32_e64 v38, v38, v22, s[2:3]
	v_cmp_eq_u32_e64 s[2:3], 12, v32
	v_cndmask_b32_e64 v37, v37, v27, s[2:3]
	v_cndmask_b32_e32 v39, v38, v24, vcc
	v_cmp_eq_u32_e32 vcc, 13, v32
	v_cndmask_b32_e32 v38, v37, v29, vcc
	v_cndmask_b32_e64 v37, v39, v26, s[2:3]
	v_cndmask_b32_e32 v37, v37, v28, vcc
	s_waitcnt lgkmcnt(0)
	v_fma_f64 v[30:31], v[37:38], v[35:36], v[30:31]
	v_cmp_lt_u32_e32 vcc, 9, v32
	s_or_b64 s[6:7], vcc, s[6:7]
	v_add_u32_e32 v34, 8, v34
	s_andn2_b64 exec, exec, s[6:7]
	s_cbranch_execnz .LBB77_303
; %bb.304:
	s_or_b64 exec, exec, s[6:7]
.LBB77_305:
	s_or_b64 exec, exec, s[4:5]
	v_mov_b32_e32 v24, 0
	ds_read_b64 v[24:25], v24 offset:88
	s_waitcnt lgkmcnt(0)
	v_mul_f64 v[24:25], v[30:31], v[24:25]
.LBB77_306:
	s_or_b64 exec, exec, s[26:27]
	v_cmp_gt_u32_e64 s[2:3], 12, v0
	ds_write_b64 v96, v[26:27]
	s_waitcnt lgkmcnt(0)
	; wave barrier
	s_and_saveexec_b64 s[28:29], s[2:3]
	s_cbranch_execz .LBB77_316
; %bb.307:
	s_and_b64 vcc, exec, s[0:1]
	s_cbranch_vccnz .LBB77_309
; %bb.308:
	v_cmp_eq_u32_e32 vcc, 1, v0
	v_cndmask_b32_e32 v30, v3, v5, vcc
	v_cmp_eq_u32_e64 s[4:5], 2, v0
	v_cndmask_b32_e64 v30, v30, v7, s[4:5]
	v_cmp_eq_u32_e64 s[6:7], 3, v0
	v_cndmask_b32_e64 v30, v30, v9, s[6:7]
	;; [unrolled: 2-line block ×12, first 2 shown]
	v_cndmask_b32_e32 v30, v2, v4, vcc
	v_cndmask_b32_e64 v30, v30, v6, s[4:5]
	v_cndmask_b32_e64 v30, v30, v8, s[6:7]
	;; [unrolled: 1-line block ×8, first 2 shown]
	ds_read_b64 v[32:33], v96
	v_cndmask_b32_e64 v30, v30, v22, s[20:21]
	v_cndmask_b32_e64 v30, v30, v24, s[22:23]
	;; [unrolled: 1-line block ×4, first 2 shown]
	s_waitcnt lgkmcnt(0)
	v_mul_f64 v[30:31], v[30:31], v[32:33]
	s_cbranch_execz .LBB77_310
	s_branch .LBB77_311
.LBB77_309:
                                        ; implicit-def: $vgpr30_vgpr31
.LBB77_310:
	ds_read_b64 v[30:31], v96
.LBB77_311:
	v_cmp_ne_u32_e32 vcc, 11, v0
	s_and_saveexec_b64 s[6:7], vcc
	s_cbranch_execz .LBB77_315
; %bb.312:
	v_mov_b32_e32 v32, 0x78
	v_lshl_add_u32 v34, v0, 3, v32
	v_mov_b32_e32 v33, v1
	s_mov_b64 s[8:9], 0
	v_mov_b32_e32 v32, v0
.LBB77_313:                             ; =>This Inner Loop Header: Depth=1
	v_add_co_u32_e32 v32, vcc, 1, v32
	v_addc_co_u32_e32 v33, vcc, 0, v33, vcc
	v_cmp_eq_u32_e32 vcc, 1, v32
	v_cndmask_b32_e32 v37, v3, v5, vcc
	v_cmp_eq_u32_e64 s[4:5], 2, v32
	v_cndmask_b32_e64 v37, v37, v7, s[4:5]
	v_cndmask_b32_e32 v38, v2, v4, vcc
	v_cmp_eq_u32_e32 vcc, 3, v32
	v_cndmask_b32_e32 v37, v37, v9, vcc
	v_cndmask_b32_e64 v38, v38, v6, s[4:5]
	v_cmp_eq_u32_e64 s[4:5], 4, v32
	v_cndmask_b32_e64 v37, v37, v11, s[4:5]
	v_cndmask_b32_e32 v38, v38, v8, vcc
	v_cmp_eq_u32_e32 vcc, 5, v32
	v_cndmask_b32_e32 v37, v37, v13, vcc
	v_cndmask_b32_e64 v38, v38, v10, s[4:5]
	;; [unrolled: 6-line block ×4, first 2 shown]
	v_cmp_eq_u32_e64 s[4:5], 10, v32
	ds_read_b64 v[35:36], v34
	v_cndmask_b32_e64 v37, v37, v23, s[4:5]
	v_cndmask_b32_e32 v38, v38, v20, vcc
	v_cmp_eq_u32_e32 vcc, 11, v32
	v_cndmask_b32_e32 v37, v37, v25, vcc
	v_cndmask_b32_e64 v38, v38, v22, s[4:5]
	v_cmp_eq_u32_e64 s[4:5], 12, v32
	v_cndmask_b32_e64 v37, v37, v27, s[4:5]
	v_cndmask_b32_e32 v39, v38, v24, vcc
	v_cmp_eq_u32_e32 vcc, 13, v32
	v_cndmask_b32_e32 v38, v37, v29, vcc
	v_cndmask_b32_e64 v37, v39, v26, s[4:5]
	v_cndmask_b32_e32 v37, v37, v28, vcc
	s_waitcnt lgkmcnt(0)
	v_fma_f64 v[30:31], v[37:38], v[35:36], v[30:31]
	v_cmp_lt_u32_e32 vcc, 10, v32
	s_or_b64 s[8:9], vcc, s[8:9]
	v_add_u32_e32 v34, 8, v34
	s_andn2_b64 exec, exec, s[8:9]
	s_cbranch_execnz .LBB77_313
; %bb.314:
	s_or_b64 exec, exec, s[8:9]
.LBB77_315:
	s_or_b64 exec, exec, s[6:7]
	v_mov_b32_e32 v26, 0
	ds_read_b64 v[26:27], v26 offset:96
	s_waitcnt lgkmcnt(0)
	v_mul_f64 v[26:27], v[30:31], v[26:27]
.LBB77_316:
	s_or_b64 exec, exec, s[28:29]
	v_cmp_ne_u32_e32 vcc, 13, v0
	ds_write_b64 v96, v[28:29]
	s_waitcnt lgkmcnt(0)
	; wave barrier
	s_and_saveexec_b64 s[26:27], vcc
	s_cbranch_execz .LBB77_326
; %bb.317:
	s_and_b64 vcc, exec, s[0:1]
	s_cbranch_vccnz .LBB77_319
; %bb.318:
	v_cmp_eq_u32_e32 vcc, 1, v0
	v_cndmask_b32_e32 v30, v3, v5, vcc
	v_cmp_eq_u32_e64 s[0:1], 2, v0
	v_cndmask_b32_e64 v30, v30, v7, s[0:1]
	v_cmp_eq_u32_e64 s[4:5], 3, v0
	v_cndmask_b32_e64 v30, v30, v9, s[4:5]
	;; [unrolled: 2-line block ×12, first 2 shown]
	v_cndmask_b32_e32 v30, v2, v4, vcc
	v_cndmask_b32_e64 v30, v30, v6, s[0:1]
	v_cndmask_b32_e64 v30, v30, v8, s[4:5]
	;; [unrolled: 1-line block ×8, first 2 shown]
	ds_read_b64 v[32:33], v96
	v_cndmask_b32_e64 v30, v30, v22, s[18:19]
	v_cndmask_b32_e64 v30, v30, v24, s[20:21]
	;; [unrolled: 1-line block ×4, first 2 shown]
	s_waitcnt lgkmcnt(0)
	v_mul_f64 v[30:31], v[30:31], v[32:33]
	s_cbranch_execz .LBB77_320
	s_branch .LBB77_321
.LBB77_319:
                                        ; implicit-def: $vgpr30_vgpr31
.LBB77_320:
	ds_read_b64 v[30:31], v96
.LBB77_321:
	s_and_saveexec_b64 s[4:5], s[2:3]
	s_cbranch_execz .LBB77_325
; %bb.322:
	v_mov_b32_e32 v32, 0x78
	v_lshl_add_u32 v32, v0, 3, v32
	s_mov_b64 s[2:3], 0
.LBB77_323:                             ; =>This Inner Loop Header: Depth=1
	v_add_co_u32_e32 v0, vcc, 1, v0
	v_addc_co_u32_e32 v1, vcc, 0, v1, vcc
	v_cmp_eq_u32_e32 vcc, 1, v0
	v_cndmask_b32_e32 v35, v3, v5, vcc
	v_cmp_eq_u32_e64 s[0:1], 2, v0
	v_cndmask_b32_e64 v35, v35, v7, s[0:1]
	v_cndmask_b32_e32 v36, v2, v4, vcc
	v_cmp_eq_u32_e32 vcc, 3, v0
	v_cndmask_b32_e32 v35, v35, v9, vcc
	v_cndmask_b32_e64 v36, v36, v6, s[0:1]
	v_cmp_eq_u32_e64 s[0:1], 4, v0
	v_cndmask_b32_e64 v35, v35, v11, s[0:1]
	v_cndmask_b32_e32 v36, v36, v8, vcc
	v_cmp_eq_u32_e32 vcc, 5, v0
	v_cndmask_b32_e32 v35, v35, v13, vcc
	v_cndmask_b32_e64 v36, v36, v10, s[0:1]
	v_cmp_eq_u32_e64 s[0:1], 6, v0
	v_cndmask_b32_e64 v35, v35, v15, s[0:1]
	v_cndmask_b32_e32 v36, v36, v12, vcc
	v_cmp_eq_u32_e32 vcc, 7, v0
	v_cndmask_b32_e32 v35, v35, v17, vcc
	v_cndmask_b32_e64 v36, v36, v14, s[0:1]
	v_cmp_eq_u32_e64 s[0:1], 8, v0
	v_cndmask_b32_e64 v35, v35, v19, s[0:1]
	v_cndmask_b32_e32 v36, v36, v16, vcc
	v_cmp_eq_u32_e32 vcc, 9, v0
	v_cndmask_b32_e32 v35, v35, v21, vcc
	v_cndmask_b32_e64 v36, v36, v18, s[0:1]
	v_cmp_eq_u32_e64 s[0:1], 10, v0
	ds_read_b64 v[33:34], v32
	v_cndmask_b32_e64 v35, v35, v23, s[0:1]
	v_cndmask_b32_e32 v36, v36, v20, vcc
	v_cmp_eq_u32_e32 vcc, 11, v0
	v_cndmask_b32_e32 v35, v35, v25, vcc
	v_cndmask_b32_e64 v36, v36, v22, s[0:1]
	v_cmp_eq_u32_e64 s[0:1], 12, v0
	v_cndmask_b32_e64 v35, v35, v27, s[0:1]
	v_cndmask_b32_e32 v37, v36, v24, vcc
	v_cmp_eq_u32_e32 vcc, 13, v0
	v_cndmask_b32_e32 v36, v35, v29, vcc
	v_cndmask_b32_e64 v35, v37, v26, s[0:1]
	v_cndmask_b32_e32 v35, v35, v28, vcc
	s_waitcnt lgkmcnt(0)
	v_fma_f64 v[30:31], v[35:36], v[33:34], v[30:31]
	v_cmp_lt_u32_e32 vcc, 11, v0
	s_or_b64 s[2:3], vcc, s[2:3]
	v_add_u32_e32 v32, 8, v32
	s_andn2_b64 exec, exec, s[2:3]
	s_cbranch_execnz .LBB77_323
; %bb.324:
	s_or_b64 exec, exec, s[2:3]
.LBB77_325:
	s_or_b64 exec, exec, s[4:5]
	v_mov_b32_e32 v0, 0
	ds_read_b64 v[0:1], v0 offset:104
	s_waitcnt lgkmcnt(0)
	v_mul_f64 v[28:29], v[30:31], v[0:1]
.LBB77_326:
	s_or_b64 exec, exec, s[26:27]
	v_mov_b32_e32 v65, v33
	v_mov_b32_e32 v64, v32
	;; [unrolled: 1-line block ×32, first 2 shown]
.LBB77_327:
	flat_store_dwordx2 v[90:91], v[34:35]
	flat_store_dwordx2 v[92:93], v[36:37]
	;; [unrolled: 1-line block ×14, first 2 shown]
.LBB77_328:
	s_endpgm
	.section	.rodata,"a",@progbits
	.p2align	6, 0x0
	.amdhsa_kernel _ZN9rocsolver6v33100L18trti2_kernel_smallILi14EdPKPdEEv13rocblas_fill_17rocblas_diagonal_T1_iil
		.amdhsa_group_segment_fixed_size 224
		.amdhsa_private_segment_fixed_size 0
		.amdhsa_kernarg_size 32
		.amdhsa_user_sgpr_count 6
		.amdhsa_user_sgpr_private_segment_buffer 1
		.amdhsa_user_sgpr_dispatch_ptr 0
		.amdhsa_user_sgpr_queue_ptr 0
		.amdhsa_user_sgpr_kernarg_segment_ptr 1
		.amdhsa_user_sgpr_dispatch_id 0
		.amdhsa_user_sgpr_flat_scratch_init 0
		.amdhsa_user_sgpr_private_segment_size 0
		.amdhsa_uses_dynamic_stack 0
		.amdhsa_system_sgpr_private_segment_wavefront_offset 0
		.amdhsa_system_sgpr_workgroup_id_x 1
		.amdhsa_system_sgpr_workgroup_id_y 0
		.amdhsa_system_sgpr_workgroup_id_z 0
		.amdhsa_system_sgpr_workgroup_info 0
		.amdhsa_system_vgpr_workitem_id 0
		.amdhsa_next_free_vgpr 116
		.amdhsa_next_free_sgpr 46
		.amdhsa_reserve_vcc 1
		.amdhsa_reserve_flat_scratch 0
		.amdhsa_float_round_mode_32 0
		.amdhsa_float_round_mode_16_64 0
		.amdhsa_float_denorm_mode_32 3
		.amdhsa_float_denorm_mode_16_64 3
		.amdhsa_dx10_clamp 1
		.amdhsa_ieee_mode 1
		.amdhsa_fp16_overflow 0
		.amdhsa_exception_fp_ieee_invalid_op 0
		.amdhsa_exception_fp_denorm_src 0
		.amdhsa_exception_fp_ieee_div_zero 0
		.amdhsa_exception_fp_ieee_overflow 0
		.amdhsa_exception_fp_ieee_underflow 0
		.amdhsa_exception_fp_ieee_inexact 0
		.amdhsa_exception_int_div_zero 0
	.end_amdhsa_kernel
	.section	.text._ZN9rocsolver6v33100L18trti2_kernel_smallILi14EdPKPdEEv13rocblas_fill_17rocblas_diagonal_T1_iil,"axG",@progbits,_ZN9rocsolver6v33100L18trti2_kernel_smallILi14EdPKPdEEv13rocblas_fill_17rocblas_diagonal_T1_iil,comdat
.Lfunc_end77:
	.size	_ZN9rocsolver6v33100L18trti2_kernel_smallILi14EdPKPdEEv13rocblas_fill_17rocblas_diagonal_T1_iil, .Lfunc_end77-_ZN9rocsolver6v33100L18trti2_kernel_smallILi14EdPKPdEEv13rocblas_fill_17rocblas_diagonal_T1_iil
                                        ; -- End function
	.set _ZN9rocsolver6v33100L18trti2_kernel_smallILi14EdPKPdEEv13rocblas_fill_17rocblas_diagonal_T1_iil.num_vgpr, 116
	.set _ZN9rocsolver6v33100L18trti2_kernel_smallILi14EdPKPdEEv13rocblas_fill_17rocblas_diagonal_T1_iil.num_agpr, 0
	.set _ZN9rocsolver6v33100L18trti2_kernel_smallILi14EdPKPdEEv13rocblas_fill_17rocblas_diagonal_T1_iil.numbered_sgpr, 46
	.set _ZN9rocsolver6v33100L18trti2_kernel_smallILi14EdPKPdEEv13rocblas_fill_17rocblas_diagonal_T1_iil.num_named_barrier, 0
	.set _ZN9rocsolver6v33100L18trti2_kernel_smallILi14EdPKPdEEv13rocblas_fill_17rocblas_diagonal_T1_iil.private_seg_size, 0
	.set _ZN9rocsolver6v33100L18trti2_kernel_smallILi14EdPKPdEEv13rocblas_fill_17rocblas_diagonal_T1_iil.uses_vcc, 1
	.set _ZN9rocsolver6v33100L18trti2_kernel_smallILi14EdPKPdEEv13rocblas_fill_17rocblas_diagonal_T1_iil.uses_flat_scratch, 0
	.set _ZN9rocsolver6v33100L18trti2_kernel_smallILi14EdPKPdEEv13rocblas_fill_17rocblas_diagonal_T1_iil.has_dyn_sized_stack, 0
	.set _ZN9rocsolver6v33100L18trti2_kernel_smallILi14EdPKPdEEv13rocblas_fill_17rocblas_diagonal_T1_iil.has_recursion, 0
	.set _ZN9rocsolver6v33100L18trti2_kernel_smallILi14EdPKPdEEv13rocblas_fill_17rocblas_diagonal_T1_iil.has_indirect_call, 0
	.section	.AMDGPU.csdata,"",@progbits
; Kernel info:
; codeLenInByte = 26528
; TotalNumSgprs: 50
; NumVgprs: 116
; ScratchSize: 0
; MemoryBound: 0
; FloatMode: 240
; IeeeMode: 1
; LDSByteSize: 224 bytes/workgroup (compile time only)
; SGPRBlocks: 6
; VGPRBlocks: 28
; NumSGPRsForWavesPerEU: 50
; NumVGPRsForWavesPerEU: 116
; Occupancy: 2
; WaveLimiterHint : 1
; COMPUTE_PGM_RSRC2:SCRATCH_EN: 0
; COMPUTE_PGM_RSRC2:USER_SGPR: 6
; COMPUTE_PGM_RSRC2:TRAP_HANDLER: 0
; COMPUTE_PGM_RSRC2:TGID_X_EN: 1
; COMPUTE_PGM_RSRC2:TGID_Y_EN: 0
; COMPUTE_PGM_RSRC2:TGID_Z_EN: 0
; COMPUTE_PGM_RSRC2:TIDIG_COMP_CNT: 0
	.section	.text._ZN9rocsolver6v33100L18trti2_kernel_smallILi15EdPKPdEEv13rocblas_fill_17rocblas_diagonal_T1_iil,"axG",@progbits,_ZN9rocsolver6v33100L18trti2_kernel_smallILi15EdPKPdEEv13rocblas_fill_17rocblas_diagonal_T1_iil,comdat
	.globl	_ZN9rocsolver6v33100L18trti2_kernel_smallILi15EdPKPdEEv13rocblas_fill_17rocblas_diagonal_T1_iil ; -- Begin function _ZN9rocsolver6v33100L18trti2_kernel_smallILi15EdPKPdEEv13rocblas_fill_17rocblas_diagonal_T1_iil
	.p2align	8
	.type	_ZN9rocsolver6v33100L18trti2_kernel_smallILi15EdPKPdEEv13rocblas_fill_17rocblas_diagonal_T1_iil,@function
_ZN9rocsolver6v33100L18trti2_kernel_smallILi15EdPKPdEEv13rocblas_fill_17rocblas_diagonal_T1_iil: ; @_ZN9rocsolver6v33100L18trti2_kernel_smallILi15EdPKPdEEv13rocblas_fill_17rocblas_diagonal_T1_iil
; %bb.0:
	v_cmp_gt_u32_e32 vcc, 15, v0
	s_and_saveexec_b64 s[0:1], vcc
	s_cbranch_execz .LBB78_354
; %bb.1:
	s_load_dwordx2 s[0:1], s[4:5], 0x10
	s_load_dwordx4 s[28:31], s[4:5], 0x0
	s_ashr_i32 s7, s6, 31
	s_lshl_b64 s[2:3], s[6:7], 3
	v_lshlrev_b32_e32 v36, 3, v0
	s_waitcnt lgkmcnt(0)
	s_ashr_i32 s5, s0, 31
	s_add_u32 s2, s30, s2
	s_addc_u32 s3, s31, s3
	s_load_dwordx2 s[2:3], s[2:3], 0x0
	s_mov_b32 s4, s0
	s_lshl_b64 s[4:5], s[4:5], 3
	v_mov_b32_e32 v34, 0
	v_mov_b32_e32 v35, 0xbff00000
	s_waitcnt lgkmcnt(0)
	s_add_u32 s0, s2, s4
	s_addc_u32 s2, s3, s5
	s_add_i32 s3, s1, s1
	v_add_u32_e32 v1, s3, v0
	v_ashrrev_i32_e32 v2, 31, v1
	v_lshlrev_b64 v[2:3], 3, v[1:2]
	v_add_u32_e32 v1, s1, v1
	v_mov_b32_e32 v4, s2
	v_add_co_u32_e32 v66, vcc, s0, v2
	v_ashrrev_i32_e32 v2, 31, v1
	v_addc_co_u32_e32 v67, vcc, v4, v3, vcc
	v_lshlrev_b64 v[2:3], 3, v[1:2]
	v_add_u32_e32 v1, s1, v1
	v_add_co_u32_e32 v68, vcc, s0, v2
	v_ashrrev_i32_e32 v2, 31, v1
	v_addc_co_u32_e32 v69, vcc, v4, v3, vcc
	v_lshlrev_b64 v[2:3], 3, v[1:2]
	v_add_u32_e32 v1, s1, v1
	;; [unrolled: 5-line block ×11, first 2 shown]
	v_add_co_u32_e32 v88, vcc, s0, v2
	v_ashrrev_i32_e32 v2, 31, v1
	v_lshlrev_b64 v[1:2], 3, v[1:2]
	v_addc_co_u32_e32 v89, vcc, v4, v3, vcc
	v_mov_b32_e32 v3, s2
	v_add_co_u32_e32 v90, vcc, s0, v1
	v_addc_co_u32_e32 v91, vcc, v3, v2, vcc
	v_mov_b32_e32 v1, s2
	v_add_co_u32_e32 v92, vcc, s0, v36
	s_ashr_i32 s3, s1, 31
	s_mov_b32 s2, s1
	v_addc_co_u32_e32 v93, vcc, 0, v1, vcc
	s_lshl_b64 s[0:1], s[2:3], 3
	v_mov_b32_e32 v1, s1
	v_add_co_u32_e32 v94, vcc, s0, v92
	v_addc_co_u32_e32 v95, vcc, v93, v1, vcc
	flat_load_dwordx2 v[2:3], v[92:93]
	flat_load_dwordx2 v[4:5], v[94:95]
	;; [unrolled: 1-line block ×15, first 2 shown]
	s_cmpk_lg_i32 s29, 0x84
	s_cselect_b64 s[30:31], -1, 0
	s_cmpk_eq_i32 s29, 0x84
	v_mov_b32_e32 v1, 0
	s_cbranch_scc1 .LBB78_3
; %bb.2:
	v_cmp_eq_u32_e64 s[0:1], 1, v0
	s_waitcnt vmcnt(0) lgkmcnt(0)
	v_cndmask_b32_e64 v32, v3, v5, s[0:1]
	v_cmp_eq_u32_e64 s[2:3], 2, v0
	v_cndmask_b32_e64 v32, v32, v7, s[2:3]
	v_cmp_eq_u32_e64 s[4:5], 3, v0
	;; [unrolled: 2-line block ×13, first 2 shown]
	v_cndmask_b32_e64 v33, v32, v31, s[26:27]
	v_cndmask_b32_e64 v32, v2, v4, s[0:1]
	;; [unrolled: 1-line block ×15, first 2 shown]
	v_div_scale_f64 v[34:35], s[34:35], v[32:33], v[32:33], 1.0
	v_rcp_f64_e32 v[37:38], v[34:35]
	v_fma_f64 v[39:40], -v[34:35], v[37:38], 1.0
	v_fma_f64 v[37:38], v[37:38], v[39:40], v[37:38]
	v_div_scale_f64 v[39:40], vcc, 1.0, v[32:33], 1.0
	v_fma_f64 v[41:42], -v[34:35], v[37:38], 1.0
	v_fma_f64 v[37:38], v[37:38], v[41:42], v[37:38]
	v_mul_f64 v[41:42], v[39:40], v[37:38]
	v_fma_f64 v[34:35], -v[34:35], v[41:42], v[39:40]
	v_div_fmas_f64 v[34:35], v[34:35], v[37:38], v[41:42]
	v_cmp_eq_u32_e32 vcc, 0, v0
	v_div_fixup_f64 v[34:35], v[34:35], v[32:33], 1.0
	v_cndmask_b32_e64 v31, v31, v35, s[26:27]
	v_cndmask_b32_e64 v30, v30, v34, s[26:27]
	;; [unrolled: 1-line block ×28, first 2 shown]
	v_cndmask_b32_e32 v3, v3, v35, vcc
	v_cndmask_b32_e32 v2, v2, v34, vcc
	v_xor_b32_e32 v35, 0x80000000, v35
.LBB78_3:
	s_cmpk_eq_i32 s28, 0x79
	v_add_u32_e32 v98, 0x80, v36
	ds_write_b64 v36, v[34:35]
	s_cbranch_scc1 .LBB78_7
; %bb.4:
	s_waitcnt vmcnt(0) lgkmcnt(0)
	v_mov_b32_e32 v65, v33
	v_mov_b32_e32 v64, v32
	;; [unrolled: 1-line block ×32, first 2 shown]
	v_cmp_eq_u32_e64 s[2:3], 14, v0
	ds_write_b64 v98, v[28:29]
	s_waitcnt lgkmcnt(0)
	; wave barrier
	s_and_saveexec_b64 s[28:29], s[2:3]
	s_cbranch_execz .LBB78_11
; %bb.5:
	s_and_b64 vcc, exec, s[30:31]
	s_cbranch_vccz .LBB78_8
; %bb.6:
	v_cmp_eq_u32_e32 vcc, 1, v0
	v_cndmask_b32_e32 v34, v3, v5, vcc
	v_cmp_eq_u32_e64 s[0:1], 2, v0
	v_cndmask_b32_e64 v34, v34, v7, s[0:1]
	v_cmp_eq_u32_e64 s[4:5], 3, v0
	v_cndmask_b32_e64 v34, v34, v9, s[4:5]
	;; [unrolled: 2-line block ×13, first 2 shown]
	v_cndmask_b32_e32 v34, v2, v4, vcc
	v_cndmask_b32_e64 v34, v34, v6, s[0:1]
	v_cndmask_b32_e64 v34, v34, v8, s[4:5]
	;; [unrolled: 1-line block ×9, first 2 shown]
	ds_read_b64 v[36:37], v98
	v_cndmask_b32_e64 v34, v34, v24, s[20:21]
	v_cndmask_b32_e64 v34, v34, v26, s[22:23]
	;; [unrolled: 1-line block ×4, first 2 shown]
	s_waitcnt lgkmcnt(0)
	v_mul_f64 v[38:39], v[34:35], v[36:37]
	s_cbranch_execz .LBB78_9
	s_branch .LBB78_10
.LBB78_7:
                                        ; implicit-def: $vgpr34_vgpr35_vgpr36_vgpr37_vgpr38_vgpr39_vgpr40_vgpr41_vgpr42_vgpr43_vgpr44_vgpr45_vgpr46_vgpr47_vgpr48_vgpr49_vgpr50_vgpr51_vgpr52_vgpr53_vgpr54_vgpr55_vgpr56_vgpr57_vgpr58_vgpr59_vgpr60_vgpr61_vgpr62_vgpr63_vgpr64_vgpr65
	s_cbranch_execnz .LBB78_210
	s_branch .LBB78_353
.LBB78_8:
                                        ; implicit-def: $vgpr38_vgpr39
.LBB78_9:
	ds_read_b64 v[38:39], v98
.LBB78_10:
	v_mov_b32_e32 v34, 0
	ds_read_b64 v[40:41], v34 offset:104
	v_mov_b32_e32 v34, v2
	v_mov_b32_e32 v35, v3
	;; [unrolled: 1-line block ×4, first 2 shown]
	s_waitcnt lgkmcnt(0)
	v_mul_f64 v[60:61], v[38:39], v[40:41]
	v_mov_b32_e32 v38, v6
	v_mov_b32_e32 v39, v7
	;; [unrolled: 1-line block ×24, first 2 shown]
.LBB78_11:
	s_or_b64 exec, exec, s[28:29]
	v_cmp_lt_u32_e64 s[0:1], 12, v0
	ds_write_b64 v98, v[58:59]
	s_waitcnt lgkmcnt(0)
	; wave barrier
	s_and_saveexec_b64 s[34:35], s[0:1]
	s_cbranch_execz .LBB78_17
; %bb.12:
	s_andn2_b64 vcc, exec, s[30:31]
	s_cbranch_vccnz .LBB78_14
; %bb.13:
	v_cmp_eq_u32_e32 vcc, 1, v0
	v_cndmask_b32_e32 v64, v35, v37, vcc
	v_cmp_eq_u32_e64 s[4:5], 2, v0
	v_cndmask_b32_e64 v64, v64, v39, s[4:5]
	v_cmp_eq_u32_e64 s[6:7], 3, v0
	v_cndmask_b32_e64 v64, v64, v41, s[6:7]
	;; [unrolled: 2-line block ×11, first 2 shown]
	v_cndmask_b32_e32 v64, v34, v36, vcc
	v_cndmask_b32_e64 v64, v64, v38, s[4:5]
	v_cndmask_b32_e64 v64, v64, v40, s[6:7]
	;; [unrolled: 1-line block ×9, first 2 shown]
	ds_read_b64 v[64:65], v98
	v_cndmask_b32_e64 v96, v96, v56, s[22:23]
	v_cmp_eq_u32_e64 s[26:27], 13, v0
	v_cndmask_b32_e64 v58, v96, v58, s[24:25]
	v_cndmask_b32_e64 v59, v59, v61, s[26:27]
	v_cmp_eq_u32_e64 s[28:29], 14, v0
	v_cndmask_b32_e64 v58, v58, v60, s[26:27]
	v_cndmask_b32_e64 v59, v59, v63, s[28:29]
	;; [unrolled: 1-line block ×3, first 2 shown]
	s_waitcnt lgkmcnt(0)
	v_mul_f64 v[58:59], v[58:59], v[64:65]
	s_cbranch_execz .LBB78_15
	s_branch .LBB78_16
.LBB78_14:
                                        ; implicit-def: $vgpr58_vgpr59
.LBB78_15:
	ds_read_b64 v[58:59], v98
.LBB78_16:
	v_mov_b32_e32 v64, 0
	ds_read2_b64 v[99:102], v64 offset0:12 offset1:29
	s_waitcnt lgkmcnt(0)
	v_fma_f64 v[64:65], v[60:61], v[101:102], v[58:59]
	v_cndmask_b32_e64 v59, v59, v65, s[2:3]
	v_cndmask_b32_e64 v58, v58, v64, s[2:3]
	v_mul_f64 v[58:59], v[58:59], v[99:100]
.LBB78_17:
	s_or_b64 exec, exec, s[34:35]
	v_cmp_lt_u32_e64 s[2:3], 11, v0
	ds_write_b64 v98, v[56:57]
	s_waitcnt lgkmcnt(0)
	; wave barrier
	s_and_saveexec_b64 s[34:35], s[2:3]
	s_cbranch_execz .LBB78_33
; %bb.18:
	s_andn2_b64 vcc, exec, s[30:31]
	s_cbranch_vccnz .LBB78_20
; %bb.19:
	v_cmp_eq_u32_e32 vcc, 1, v0
	v_cndmask_b32_e32 v96, v35, v37, vcc
	v_cmp_eq_u32_e64 s[4:5], 2, v0
	v_cndmask_b32_e64 v96, v96, v39, s[4:5]
	v_cmp_eq_u32_e64 s[6:7], 3, v0
	v_cndmask_b32_e64 v96, v96, v41, s[6:7]
	;; [unrolled: 2-line block ×13, first 2 shown]
	v_cndmask_b32_e32 v96, v34, v36, vcc
	v_cndmask_b32_e64 v96, v96, v38, s[4:5]
	v_cndmask_b32_e64 v96, v96, v40, s[6:7]
	;; [unrolled: 1-line block ×9, first 2 shown]
	ds_read_b64 v[99:100], v98
	v_cndmask_b32_e64 v96, v96, v56, s[22:23]
	v_cndmask_b32_e64 v96, v96, v58, s[24:25]
	;; [unrolled: 1-line block ×4, first 2 shown]
	s_waitcnt lgkmcnt(0)
	v_mul_f64 v[96:97], v[96:97], v[99:100]
	s_cbranch_execz .LBB78_21
	s_branch .LBB78_22
.LBB78_20:
                                        ; implicit-def: $vgpr96_vgpr97
.LBB78_21:
	ds_read_b64 v[96:97], v98
.LBB78_22:
	s_and_saveexec_b64 s[4:5], s[0:1]
	s_cbranch_execz .LBB78_32
; %bb.23:
	v_add_u32_e32 v99, -13, v0
	v_add_u32_e32 v100, -12, v0
	v_cmp_lt_u32_e32 vcc, 6, v99
	v_mov_b32_e32 v99, 12
	s_and_saveexec_b64 s[0:1], vcc
	s_cbranch_execz .LBB78_27
; %bb.24:
	v_and_b32_e32 v99, -8, v100
	v_sub_u32_e32 v101, 0, v99
	s_mov_b64 s[6:7], 19
	s_movk_i32 s10, 0xe0
	s_mov_b64 s[8:9], 0
.LBB78_25:                              ; =>This Inner Loop Header: Depth=1
	s_lshl_b32 s11, s6, 1
	s_add_i32 s12, s11, -13
	v_mov_b32_e32 v99, s10
	s_add_i32 s13, s11, -14
	s_set_gpr_idx_on s12, gpr_idx(SRC0)
	v_mov_b32_e32 v111, v34
	s_set_gpr_idx_off
	s_set_gpr_idx_on s13, gpr_idx(SRC0)
	v_mov_b32_e32 v110, v34
	s_set_gpr_idx_off
	ds_read_b128 v[102:105], v99
	ds_read_b128 v[106:109], v99 offset:16
	s_add_i32 s12, s11, -11
	s_add_i32 s13, s11, -12
	s_waitcnt lgkmcnt(1)
	v_fma_f64 v[96:97], v[110:111], v[102:103], v[96:97]
	ds_read_b128 v[110:113], v99 offset:32
	ds_read_b128 v[114:117], v99 offset:48
	s_set_gpr_idx_on s12, gpr_idx(SRC0)
	v_mov_b32_e32 v103, v34
	s_set_gpr_idx_off
	s_set_gpr_idx_on s13, gpr_idx(SRC0)
	v_mov_b32_e32 v102, v34
	s_set_gpr_idx_off
	s_add_i32 s12, s11, -9
	s_add_i32 s13, s11, -10
	v_fma_f64 v[96:97], v[102:103], v[104:105], v[96:97]
	s_set_gpr_idx_on s12, gpr_idx(SRC0)
	v_mov_b32_e32 v103, v34
	s_set_gpr_idx_off
	s_set_gpr_idx_on s13, gpr_idx(SRC0)
	v_mov_b32_e32 v102, v34
	s_set_gpr_idx_off
	s_add_i32 s12, s11, -7
	s_add_i32 s13, s11, -8
	s_waitcnt lgkmcnt(2)
	v_fma_f64 v[96:97], v[102:103], v[106:107], v[96:97]
	s_set_gpr_idx_on s12, gpr_idx(SRC0)
	v_mov_b32_e32 v103, v34
	s_set_gpr_idx_off
	s_set_gpr_idx_on s13, gpr_idx(SRC0)
	v_mov_b32_e32 v102, v34
	s_set_gpr_idx_off
	s_add_i32 s12, s11, -5
	s_add_i32 s13, s11, -6
	v_fma_f64 v[96:97], v[102:103], v[108:109], v[96:97]
	s_set_gpr_idx_on s12, gpr_idx(SRC0)
	v_mov_b32_e32 v103, v34
	s_set_gpr_idx_off
	s_set_gpr_idx_on s13, gpr_idx(SRC0)
	v_mov_b32_e32 v102, v34
	s_set_gpr_idx_off
	s_add_i32 s12, s11, -3
	s_add_i32 s13, s11, -4
	s_waitcnt lgkmcnt(1)
	v_fma_f64 v[96:97], v[102:103], v[110:111], v[96:97]
	s_set_gpr_idx_on s12, gpr_idx(SRC0)
	v_mov_b32_e32 v103, v34
	s_set_gpr_idx_off
	s_set_gpr_idx_on s13, gpr_idx(SRC0)
	v_mov_b32_e32 v102, v34
	s_set_gpr_idx_off
	s_add_i32 s12, s11, -1
	s_add_i32 s13, s11, -2
	s_add_u32 s6, s6, 8
	v_add_u32_e32 v99, s6, v101
	s_addc_u32 s7, s7, 0
	v_fma_f64 v[96:97], v[102:103], v[112:113], v[96:97]
	s_set_gpr_idx_on s12, gpr_idx(SRC0)
	v_mov_b32_e32 v103, v34
	s_set_gpr_idx_off
	s_set_gpr_idx_on s13, gpr_idx(SRC0)
	v_mov_b32_e32 v102, v34
	s_set_gpr_idx_off
	s_add_i32 s10, s10, 64
	v_cmp_eq_u32_e32 vcc, 19, v99
	s_waitcnt lgkmcnt(0)
	v_fma_f64 v[96:97], v[102:103], v[114:115], v[96:97]
	s_set_gpr_idx_on s11, gpr_idx(SRC0)
	v_mov_b32_e32 v103, v35
	v_mov_b32_e32 v102, v34
	s_set_gpr_idx_off
	s_add_i32 s11, s6, -7
	s_or_b64 s[8:9], vcc, s[8:9]
	v_mov_b32_e32 v99, s11
	v_fma_f64 v[96:97], v[102:103], v[116:117], v[96:97]
	s_andn2_b64 exec, exec, s[8:9]
	s_cbranch_execnz .LBB78_25
; %bb.26:
	s_or_b64 exec, exec, s[8:9]
.LBB78_27:
	s_or_b64 exec, exec, s[0:1]
	v_and_b32_e32 v64, 7, v100
	v_cmp_ne_u32_e32 vcc, 0, v64
	s_and_saveexec_b64 s[6:7], vcc
	s_cbranch_execz .LBB78_31
; %bb.28:
	v_mov_b32_e32 v65, 0x80
	v_lshl_add_u32 v65, v99, 3, v65
	v_mov_b32_e32 v100, 0
	s_mov_b64 s[8:9], 0
.LBB78_29:                              ; =>This Inner Loop Header: Depth=1
	v_cmp_eq_u32_e32 vcc, 1, v99
	v_cndmask_b32_e32 v103, v35, v37, vcc
	v_cmp_eq_u32_e64 s[0:1], 2, v99
	v_cndmask_b32_e64 v103, v103, v39, s[0:1]
	v_cndmask_b32_e32 v104, v34, v36, vcc
	v_cmp_eq_u32_e32 vcc, 3, v99
	v_cndmask_b32_e32 v103, v103, v41, vcc
	v_cndmask_b32_e64 v104, v104, v38, s[0:1]
	v_cmp_eq_u32_e64 s[0:1], 4, v99
	v_cndmask_b32_e64 v103, v103, v43, s[0:1]
	v_cndmask_b32_e32 v104, v104, v40, vcc
	v_cmp_eq_u32_e32 vcc, 5, v99
	v_cndmask_b32_e32 v103, v103, v45, vcc
	v_cndmask_b32_e64 v104, v104, v42, s[0:1]
	;; [unrolled: 6-line block ×4, first 2 shown]
	v_cmp_eq_u32_e64 s[0:1], 10, v99
	v_cndmask_b32_e64 v103, v103, v55, s[0:1]
	v_cndmask_b32_e32 v104, v104, v52, vcc
	v_cmp_eq_u32_e32 vcc, 11, v99
	ds_read_b64 v[101:102], v65
	v_cndmask_b32_e32 v103, v103, v57, vcc
	v_cndmask_b32_e64 v104, v104, v54, s[0:1]
	v_cmp_eq_u32_e64 s[0:1], 12, v99
	v_cndmask_b32_e64 v103, v103, v59, s[0:1]
	v_cndmask_b32_e32 v104, v104, v56, vcc
	v_cmp_eq_u32_e32 vcc, 13, v99
	v_cndmask_b32_e32 v103, v103, v61, vcc
	v_cndmask_b32_e64 v105, v104, v58, s[0:1]
	v_cmp_eq_u32_e64 s[0:1], 14, v99
	v_cndmask_b32_e64 v104, v103, v63, s[0:1]
	v_cndmask_b32_e32 v103, v105, v60, vcc
	v_cndmask_b32_e64 v103, v103, v62, s[0:1]
	s_waitcnt lgkmcnt(0)
	v_fma_f64 v[96:97], v[103:104], v[101:102], v[96:97]
	v_add_u32_e32 v64, -1, v64
	v_cmp_eq_u32_e32 vcc, 0, v64
	s_or_b64 s[8:9], vcc, s[8:9]
	v_add_co_u32_e32 v99, vcc, 1, v99
	v_add_u32_e32 v65, 8, v65
	v_addc_co_u32_e32 v100, vcc, 0, v100, vcc
	s_andn2_b64 exec, exec, s[8:9]
	s_cbranch_execnz .LBB78_29
; %bb.30:
	s_or_b64 exec, exec, s[8:9]
.LBB78_31:
	s_or_b64 exec, exec, s[6:7]
.LBB78_32:
	s_or_b64 exec, exec, s[4:5]
	v_mov_b32_e32 v56, 0
	ds_read_b64 v[56:57], v56 offset:88
	s_waitcnt lgkmcnt(0)
	v_mul_f64 v[56:57], v[96:97], v[56:57]
.LBB78_33:
	s_or_b64 exec, exec, s[34:35]
	v_cmp_lt_u32_e64 s[0:1], 10, v0
	ds_write_b64 v98, v[54:55]
	s_waitcnt lgkmcnt(0)
	; wave barrier
	s_and_saveexec_b64 s[34:35], s[0:1]
	s_cbranch_execz .LBB78_49
; %bb.34:
	s_andn2_b64 vcc, exec, s[30:31]
	s_cbranch_vccnz .LBB78_36
; %bb.35:
	v_cmp_eq_u32_e32 vcc, 1, v0
	v_cndmask_b32_e32 v96, v35, v37, vcc
	v_cmp_eq_u32_e64 s[4:5], 2, v0
	v_cndmask_b32_e64 v96, v96, v39, s[4:5]
	v_cmp_eq_u32_e64 s[6:7], 3, v0
	v_cndmask_b32_e64 v96, v96, v41, s[6:7]
	;; [unrolled: 2-line block ×13, first 2 shown]
	v_cndmask_b32_e32 v96, v34, v36, vcc
	v_cndmask_b32_e64 v96, v96, v38, s[4:5]
	v_cndmask_b32_e64 v96, v96, v40, s[6:7]
	;; [unrolled: 1-line block ×9, first 2 shown]
	ds_read_b64 v[99:100], v98
	v_cndmask_b32_e64 v96, v96, v56, s[22:23]
	v_cndmask_b32_e64 v96, v96, v58, s[24:25]
	;; [unrolled: 1-line block ×4, first 2 shown]
	s_waitcnt lgkmcnt(0)
	v_mul_f64 v[96:97], v[96:97], v[99:100]
	s_cbranch_execz .LBB78_37
	s_branch .LBB78_38
.LBB78_36:
                                        ; implicit-def: $vgpr96_vgpr97
.LBB78_37:
	ds_read_b64 v[96:97], v98
.LBB78_38:
	s_and_saveexec_b64 s[4:5], s[2:3]
	s_cbranch_execz .LBB78_48
; %bb.39:
	v_add_u32_e32 v99, -12, v0
	v_add_u32_e32 v100, -11, v0
	v_cmp_lt_u32_e32 vcc, 6, v99
	v_mov_b32_e32 v99, 11
	s_and_saveexec_b64 s[2:3], vcc
	s_cbranch_execz .LBB78_43
; %bb.40:
	v_and_b32_e32 v99, -8, v100
	v_sub_u32_e32 v101, 0, v99
	s_mov_b64 s[6:7], 18
	s_movk_i32 s10, 0xd8
	s_mov_b64 s[8:9], 0
.LBB78_41:                              ; =>This Inner Loop Header: Depth=1
	s_lshl_b32 s11, s6, 1
	s_add_i32 s12, s11, -13
	v_mov_b32_e32 v99, s10
	s_add_i32 s13, s11, -14
	s_set_gpr_idx_on s12, gpr_idx(SRC0)
	v_mov_b32_e32 v107, v34
	s_set_gpr_idx_off
	s_set_gpr_idx_on s13, gpr_idx(SRC0)
	v_mov_b32_e32 v106, v34
	s_set_gpr_idx_off
	ds_read2_b64 v[102:105], v99 offset1:1
	s_add_i32 s12, s11, -11
	s_add_i32 s13, s11, -12
	;; [unrolled: 1-line block ×4, first 2 shown]
	s_waitcnt lgkmcnt(0)
	v_fma_f64 v[96:97], v[106:107], v[102:103], v[96:97]
	s_set_gpr_idx_on s12, gpr_idx(SRC0)
	v_mov_b32_e32 v103, v34
	s_set_gpr_idx_off
	s_set_gpr_idx_on s13, gpr_idx(SRC0)
	v_mov_b32_e32 v102, v34
	s_set_gpr_idx_off
	s_add_i32 s12, s11, -7
	s_add_i32 s13, s11, -8
	v_fma_f64 v[96:97], v[102:103], v[104:105], v[96:97]
	s_set_gpr_idx_on s14, gpr_idx(SRC0)
	v_mov_b32_e32 v107, v34
	s_set_gpr_idx_off
	s_set_gpr_idx_on s15, gpr_idx(SRC0)
	v_mov_b32_e32 v106, v34
	s_set_gpr_idx_off
	ds_read2_b64 v[102:105], v99 offset0:2 offset1:3
	s_add_i32 s14, s11, -5
	s_add_i32 s15, s11, -6
	s_waitcnt lgkmcnt(0)
	v_fma_f64 v[96:97], v[106:107], v[102:103], v[96:97]
	s_set_gpr_idx_on s12, gpr_idx(SRC0)
	v_mov_b32_e32 v103, v34
	s_set_gpr_idx_off
	s_set_gpr_idx_on s13, gpr_idx(SRC0)
	v_mov_b32_e32 v102, v34
	s_set_gpr_idx_off
	s_add_i32 s12, s11, -3
	s_add_i32 s13, s11, -4
	v_fma_f64 v[96:97], v[102:103], v[104:105], v[96:97]
	s_set_gpr_idx_on s14, gpr_idx(SRC0)
	v_mov_b32_e32 v107, v34
	s_set_gpr_idx_off
	s_set_gpr_idx_on s15, gpr_idx(SRC0)
	v_mov_b32_e32 v106, v34
	s_set_gpr_idx_off
	ds_read2_b64 v[102:105], v99 offset0:4 offset1:5
	s_add_i32 s14, s11, -1
	s_add_i32 s15, s11, -2
	s_add_u32 s6, s6, 8
	s_addc_u32 s7, s7, 0
	s_waitcnt lgkmcnt(0)
	v_fma_f64 v[96:97], v[106:107], v[102:103], v[96:97]
	s_set_gpr_idx_on s12, gpr_idx(SRC0)
	v_mov_b32_e32 v103, v34
	s_set_gpr_idx_off
	s_set_gpr_idx_on s13, gpr_idx(SRC0)
	v_mov_b32_e32 v102, v34
	s_set_gpr_idx_off
	s_add_i32 s10, s10, 64
	v_fma_f64 v[96:97], v[102:103], v[104:105], v[96:97]
	s_set_gpr_idx_on s14, gpr_idx(SRC0)
	v_mov_b32_e32 v107, v34
	s_set_gpr_idx_off
	s_set_gpr_idx_on s15, gpr_idx(SRC0)
	v_mov_b32_e32 v106, v34
	s_set_gpr_idx_off
	ds_read2_b64 v[102:105], v99 offset0:6 offset1:7
	v_add_u32_e32 v99, s6, v101
	v_cmp_eq_u32_e32 vcc, 18, v99
	s_waitcnt lgkmcnt(0)
	v_fma_f64 v[96:97], v[106:107], v[102:103], v[96:97]
	s_set_gpr_idx_on s11, gpr_idx(SRC0)
	v_mov_b32_e32 v103, v35
	v_mov_b32_e32 v102, v34
	s_set_gpr_idx_off
	s_add_i32 s11, s6, -7
	s_or_b64 s[8:9], vcc, s[8:9]
	v_mov_b32_e32 v99, s11
	v_fma_f64 v[96:97], v[102:103], v[104:105], v[96:97]
	s_andn2_b64 exec, exec, s[8:9]
	s_cbranch_execnz .LBB78_41
; %bb.42:
	s_or_b64 exec, exec, s[8:9]
.LBB78_43:
	s_or_b64 exec, exec, s[2:3]
	v_and_b32_e32 v64, 7, v100
	v_cmp_ne_u32_e32 vcc, 0, v64
	s_and_saveexec_b64 s[6:7], vcc
	s_cbranch_execz .LBB78_47
; %bb.44:
	v_mov_b32_e32 v65, 0x80
	v_lshl_add_u32 v65, v99, 3, v65
	v_mov_b32_e32 v100, 0
	s_mov_b64 s[8:9], 0
.LBB78_45:                              ; =>This Inner Loop Header: Depth=1
	v_cmp_eq_u32_e32 vcc, 1, v99
	v_cndmask_b32_e32 v103, v35, v37, vcc
	v_cmp_eq_u32_e64 s[2:3], 2, v99
	v_cndmask_b32_e64 v103, v103, v39, s[2:3]
	v_cndmask_b32_e32 v104, v34, v36, vcc
	v_cmp_eq_u32_e32 vcc, 3, v99
	v_cndmask_b32_e32 v103, v103, v41, vcc
	v_cndmask_b32_e64 v104, v104, v38, s[2:3]
	v_cmp_eq_u32_e64 s[2:3], 4, v99
	v_cndmask_b32_e64 v103, v103, v43, s[2:3]
	v_cndmask_b32_e32 v104, v104, v40, vcc
	v_cmp_eq_u32_e32 vcc, 5, v99
	v_cndmask_b32_e32 v103, v103, v45, vcc
	v_cndmask_b32_e64 v104, v104, v42, s[2:3]
	;; [unrolled: 6-line block ×4, first 2 shown]
	v_cmp_eq_u32_e64 s[2:3], 10, v99
	v_cndmask_b32_e64 v103, v103, v55, s[2:3]
	v_cndmask_b32_e32 v104, v104, v52, vcc
	v_cmp_eq_u32_e32 vcc, 11, v99
	ds_read_b64 v[101:102], v65
	v_cndmask_b32_e32 v103, v103, v57, vcc
	v_cndmask_b32_e64 v104, v104, v54, s[2:3]
	v_cmp_eq_u32_e64 s[2:3], 12, v99
	v_cndmask_b32_e64 v103, v103, v59, s[2:3]
	v_cndmask_b32_e32 v104, v104, v56, vcc
	v_cmp_eq_u32_e32 vcc, 13, v99
	v_cndmask_b32_e32 v103, v103, v61, vcc
	v_cndmask_b32_e64 v105, v104, v58, s[2:3]
	v_cmp_eq_u32_e64 s[2:3], 14, v99
	v_cndmask_b32_e64 v104, v103, v63, s[2:3]
	v_cndmask_b32_e32 v103, v105, v60, vcc
	v_cndmask_b32_e64 v103, v103, v62, s[2:3]
	s_waitcnt lgkmcnt(0)
	v_fma_f64 v[96:97], v[103:104], v[101:102], v[96:97]
	v_add_u32_e32 v64, -1, v64
	v_cmp_eq_u32_e32 vcc, 0, v64
	s_or_b64 s[8:9], vcc, s[8:9]
	v_add_co_u32_e32 v99, vcc, 1, v99
	v_add_u32_e32 v65, 8, v65
	v_addc_co_u32_e32 v100, vcc, 0, v100, vcc
	s_andn2_b64 exec, exec, s[8:9]
	s_cbranch_execnz .LBB78_45
; %bb.46:
	s_or_b64 exec, exec, s[8:9]
.LBB78_47:
	s_or_b64 exec, exec, s[6:7]
.LBB78_48:
	s_or_b64 exec, exec, s[4:5]
	v_mov_b32_e32 v54, 0
	ds_read_b64 v[54:55], v54 offset:80
	s_waitcnt lgkmcnt(0)
	v_mul_f64 v[54:55], v[96:97], v[54:55]
.LBB78_49:
	s_or_b64 exec, exec, s[34:35]
	v_cmp_lt_u32_e64 s[2:3], 9, v0
	ds_write_b64 v98, v[52:53]
	s_waitcnt lgkmcnt(0)
	; wave barrier
	s_and_saveexec_b64 s[34:35], s[2:3]
	s_cbranch_execz .LBB78_65
; %bb.50:
	s_andn2_b64 vcc, exec, s[30:31]
	s_cbranch_vccnz .LBB78_52
; %bb.51:
	v_cmp_eq_u32_e32 vcc, 1, v0
	v_cndmask_b32_e32 v96, v35, v37, vcc
	v_cmp_eq_u32_e64 s[4:5], 2, v0
	v_cndmask_b32_e64 v96, v96, v39, s[4:5]
	v_cmp_eq_u32_e64 s[6:7], 3, v0
	v_cndmask_b32_e64 v96, v96, v41, s[6:7]
	;; [unrolled: 2-line block ×13, first 2 shown]
	v_cndmask_b32_e32 v96, v34, v36, vcc
	v_cndmask_b32_e64 v96, v96, v38, s[4:5]
	v_cndmask_b32_e64 v96, v96, v40, s[6:7]
	;; [unrolled: 1-line block ×9, first 2 shown]
	ds_read_b64 v[99:100], v98
	v_cndmask_b32_e64 v96, v96, v56, s[22:23]
	v_cndmask_b32_e64 v96, v96, v58, s[24:25]
	v_cndmask_b32_e64 v96, v96, v60, s[26:27]
	v_cndmask_b32_e64 v96, v96, v62, s[28:29]
	s_waitcnt lgkmcnt(0)
	v_mul_f64 v[96:97], v[96:97], v[99:100]
	s_cbranch_execz .LBB78_53
	s_branch .LBB78_54
.LBB78_52:
                                        ; implicit-def: $vgpr96_vgpr97
.LBB78_53:
	ds_read_b64 v[96:97], v98
.LBB78_54:
	s_and_saveexec_b64 s[4:5], s[0:1]
	s_cbranch_execz .LBB78_64
; %bb.55:
	v_add_u32_e32 v99, -11, v0
	v_add_u32_e32 v100, -10, v0
	v_cmp_lt_u32_e32 vcc, 6, v99
	v_mov_b32_e32 v99, 10
	s_and_saveexec_b64 s[0:1], vcc
	s_cbranch_execz .LBB78_59
; %bb.56:
	v_and_b32_e32 v99, -8, v100
	v_sub_u32_e32 v101, 0, v99
	s_mov_b64 s[6:7], 17
	s_movk_i32 s10, 0xd0
	s_mov_b64 s[8:9], 0
.LBB78_57:                              ; =>This Inner Loop Header: Depth=1
	s_lshl_b32 s11, s6, 1
	s_add_i32 s12, s11, -13
	v_mov_b32_e32 v99, s10
	s_add_i32 s13, s11, -14
	s_set_gpr_idx_on s12, gpr_idx(SRC0)
	v_mov_b32_e32 v111, v34
	s_set_gpr_idx_off
	s_set_gpr_idx_on s13, gpr_idx(SRC0)
	v_mov_b32_e32 v110, v34
	s_set_gpr_idx_off
	ds_read_b128 v[102:105], v99
	ds_read_b128 v[106:109], v99 offset:16
	s_add_i32 s12, s11, -11
	s_add_i32 s13, s11, -12
	s_waitcnt lgkmcnt(1)
	v_fma_f64 v[96:97], v[110:111], v[102:103], v[96:97]
	ds_read_b128 v[110:113], v99 offset:32
	ds_read_b128 v[114:117], v99 offset:48
	s_set_gpr_idx_on s12, gpr_idx(SRC0)
	v_mov_b32_e32 v103, v34
	s_set_gpr_idx_off
	s_set_gpr_idx_on s13, gpr_idx(SRC0)
	v_mov_b32_e32 v102, v34
	s_set_gpr_idx_off
	s_add_i32 s12, s11, -9
	s_add_i32 s13, s11, -10
	v_fma_f64 v[96:97], v[102:103], v[104:105], v[96:97]
	s_set_gpr_idx_on s12, gpr_idx(SRC0)
	v_mov_b32_e32 v103, v34
	s_set_gpr_idx_off
	s_set_gpr_idx_on s13, gpr_idx(SRC0)
	v_mov_b32_e32 v102, v34
	s_set_gpr_idx_off
	s_add_i32 s12, s11, -7
	s_add_i32 s13, s11, -8
	s_waitcnt lgkmcnt(2)
	v_fma_f64 v[96:97], v[102:103], v[106:107], v[96:97]
	s_set_gpr_idx_on s12, gpr_idx(SRC0)
	v_mov_b32_e32 v103, v34
	s_set_gpr_idx_off
	s_set_gpr_idx_on s13, gpr_idx(SRC0)
	v_mov_b32_e32 v102, v34
	s_set_gpr_idx_off
	s_add_i32 s12, s11, -5
	s_add_i32 s13, s11, -6
	v_fma_f64 v[96:97], v[102:103], v[108:109], v[96:97]
	s_set_gpr_idx_on s12, gpr_idx(SRC0)
	v_mov_b32_e32 v103, v34
	s_set_gpr_idx_off
	s_set_gpr_idx_on s13, gpr_idx(SRC0)
	v_mov_b32_e32 v102, v34
	s_set_gpr_idx_off
	s_add_i32 s12, s11, -3
	s_add_i32 s13, s11, -4
	s_waitcnt lgkmcnt(1)
	v_fma_f64 v[96:97], v[102:103], v[110:111], v[96:97]
	s_set_gpr_idx_on s12, gpr_idx(SRC0)
	v_mov_b32_e32 v103, v34
	s_set_gpr_idx_off
	s_set_gpr_idx_on s13, gpr_idx(SRC0)
	v_mov_b32_e32 v102, v34
	s_set_gpr_idx_off
	s_add_i32 s12, s11, -1
	s_add_i32 s13, s11, -2
	s_add_u32 s6, s6, 8
	v_add_u32_e32 v99, s6, v101
	s_addc_u32 s7, s7, 0
	v_fma_f64 v[96:97], v[102:103], v[112:113], v[96:97]
	s_set_gpr_idx_on s12, gpr_idx(SRC0)
	v_mov_b32_e32 v103, v34
	s_set_gpr_idx_off
	s_set_gpr_idx_on s13, gpr_idx(SRC0)
	v_mov_b32_e32 v102, v34
	s_set_gpr_idx_off
	s_add_i32 s10, s10, 64
	v_cmp_eq_u32_e32 vcc, 17, v99
	s_waitcnt lgkmcnt(0)
	v_fma_f64 v[96:97], v[102:103], v[114:115], v[96:97]
	s_set_gpr_idx_on s11, gpr_idx(SRC0)
	v_mov_b32_e32 v103, v35
	v_mov_b32_e32 v102, v34
	s_set_gpr_idx_off
	s_add_i32 s11, s6, -7
	s_or_b64 s[8:9], vcc, s[8:9]
	v_mov_b32_e32 v99, s11
	v_fma_f64 v[96:97], v[102:103], v[116:117], v[96:97]
	s_andn2_b64 exec, exec, s[8:9]
	s_cbranch_execnz .LBB78_57
; %bb.58:
	s_or_b64 exec, exec, s[8:9]
.LBB78_59:
	s_or_b64 exec, exec, s[0:1]
	v_and_b32_e32 v64, 7, v100
	v_cmp_ne_u32_e32 vcc, 0, v64
	s_and_saveexec_b64 s[6:7], vcc
	s_cbranch_execz .LBB78_63
; %bb.60:
	v_mov_b32_e32 v65, 0x80
	v_lshl_add_u32 v65, v99, 3, v65
	v_mov_b32_e32 v100, 0
	s_mov_b64 s[8:9], 0
.LBB78_61:                              ; =>This Inner Loop Header: Depth=1
	v_cmp_eq_u32_e32 vcc, 1, v99
	v_cndmask_b32_e32 v103, v35, v37, vcc
	v_cmp_eq_u32_e64 s[0:1], 2, v99
	v_cndmask_b32_e64 v103, v103, v39, s[0:1]
	v_cndmask_b32_e32 v104, v34, v36, vcc
	v_cmp_eq_u32_e32 vcc, 3, v99
	v_cndmask_b32_e32 v103, v103, v41, vcc
	v_cndmask_b32_e64 v104, v104, v38, s[0:1]
	v_cmp_eq_u32_e64 s[0:1], 4, v99
	v_cndmask_b32_e64 v103, v103, v43, s[0:1]
	v_cndmask_b32_e32 v104, v104, v40, vcc
	v_cmp_eq_u32_e32 vcc, 5, v99
	v_cndmask_b32_e32 v103, v103, v45, vcc
	v_cndmask_b32_e64 v104, v104, v42, s[0:1]
	;; [unrolled: 6-line block ×4, first 2 shown]
	v_cmp_eq_u32_e64 s[0:1], 10, v99
	v_cndmask_b32_e64 v103, v103, v55, s[0:1]
	v_cndmask_b32_e32 v104, v104, v52, vcc
	v_cmp_eq_u32_e32 vcc, 11, v99
	ds_read_b64 v[101:102], v65
	v_cndmask_b32_e32 v103, v103, v57, vcc
	v_cndmask_b32_e64 v104, v104, v54, s[0:1]
	v_cmp_eq_u32_e64 s[0:1], 12, v99
	v_cndmask_b32_e64 v103, v103, v59, s[0:1]
	v_cndmask_b32_e32 v104, v104, v56, vcc
	v_cmp_eq_u32_e32 vcc, 13, v99
	v_cndmask_b32_e32 v103, v103, v61, vcc
	v_cndmask_b32_e64 v105, v104, v58, s[0:1]
	v_cmp_eq_u32_e64 s[0:1], 14, v99
	v_cndmask_b32_e64 v104, v103, v63, s[0:1]
	v_cndmask_b32_e32 v103, v105, v60, vcc
	v_cndmask_b32_e64 v103, v103, v62, s[0:1]
	s_waitcnt lgkmcnt(0)
	v_fma_f64 v[96:97], v[103:104], v[101:102], v[96:97]
	v_add_u32_e32 v64, -1, v64
	v_cmp_eq_u32_e32 vcc, 0, v64
	s_or_b64 s[8:9], vcc, s[8:9]
	v_add_co_u32_e32 v99, vcc, 1, v99
	v_add_u32_e32 v65, 8, v65
	v_addc_co_u32_e32 v100, vcc, 0, v100, vcc
	s_andn2_b64 exec, exec, s[8:9]
	s_cbranch_execnz .LBB78_61
; %bb.62:
	s_or_b64 exec, exec, s[8:9]
.LBB78_63:
	s_or_b64 exec, exec, s[6:7]
.LBB78_64:
	s_or_b64 exec, exec, s[4:5]
	v_mov_b32_e32 v52, 0
	ds_read_b64 v[52:53], v52 offset:72
	s_waitcnt lgkmcnt(0)
	v_mul_f64 v[52:53], v[96:97], v[52:53]
.LBB78_65:
	s_or_b64 exec, exec, s[34:35]
	v_cmp_lt_u32_e64 s[0:1], 8, v0
	ds_write_b64 v98, v[50:51]
	s_waitcnt lgkmcnt(0)
	; wave barrier
	s_and_saveexec_b64 s[34:35], s[0:1]
	s_cbranch_execz .LBB78_81
; %bb.66:
	s_andn2_b64 vcc, exec, s[30:31]
	s_cbranch_vccnz .LBB78_68
; %bb.67:
	v_cmp_eq_u32_e32 vcc, 1, v0
	v_cndmask_b32_e32 v96, v35, v37, vcc
	v_cmp_eq_u32_e64 s[4:5], 2, v0
	v_cndmask_b32_e64 v96, v96, v39, s[4:5]
	v_cmp_eq_u32_e64 s[6:7], 3, v0
	v_cndmask_b32_e64 v96, v96, v41, s[6:7]
	;; [unrolled: 2-line block ×13, first 2 shown]
	v_cndmask_b32_e32 v96, v34, v36, vcc
	v_cndmask_b32_e64 v96, v96, v38, s[4:5]
	v_cndmask_b32_e64 v96, v96, v40, s[6:7]
	;; [unrolled: 1-line block ×9, first 2 shown]
	ds_read_b64 v[99:100], v98
	v_cndmask_b32_e64 v96, v96, v56, s[22:23]
	v_cndmask_b32_e64 v96, v96, v58, s[24:25]
	;; [unrolled: 1-line block ×4, first 2 shown]
	s_waitcnt lgkmcnt(0)
	v_mul_f64 v[96:97], v[96:97], v[99:100]
	s_cbranch_execz .LBB78_69
	s_branch .LBB78_70
.LBB78_68:
                                        ; implicit-def: $vgpr96_vgpr97
.LBB78_69:
	ds_read_b64 v[96:97], v98
.LBB78_70:
	s_and_saveexec_b64 s[4:5], s[2:3]
	s_cbranch_execz .LBB78_80
; %bb.71:
	v_add_u32_e32 v99, -10, v0
	v_add_u32_e32 v100, -9, v0
	v_cmp_lt_u32_e32 vcc, 6, v99
	v_mov_b32_e32 v99, 9
	s_and_saveexec_b64 s[2:3], vcc
	s_cbranch_execz .LBB78_75
; %bb.72:
	v_and_b32_e32 v99, -8, v100
	v_sub_u32_e32 v101, 0, v99
	s_mov_b64 s[6:7], 16
	s_movk_i32 s10, 0xc8
	s_mov_b64 s[8:9], 0
.LBB78_73:                              ; =>This Inner Loop Header: Depth=1
	s_lshl_b32 s11, s6, 1
	s_add_i32 s12, s11, -13
	v_mov_b32_e32 v99, s10
	s_add_i32 s13, s11, -14
	s_set_gpr_idx_on s12, gpr_idx(SRC0)
	v_mov_b32_e32 v107, v34
	s_set_gpr_idx_off
	s_set_gpr_idx_on s13, gpr_idx(SRC0)
	v_mov_b32_e32 v106, v34
	s_set_gpr_idx_off
	ds_read2_b64 v[102:105], v99 offset1:1
	s_add_i32 s12, s11, -11
	s_add_i32 s13, s11, -12
	;; [unrolled: 1-line block ×4, first 2 shown]
	s_waitcnt lgkmcnt(0)
	v_fma_f64 v[96:97], v[106:107], v[102:103], v[96:97]
	s_set_gpr_idx_on s12, gpr_idx(SRC0)
	v_mov_b32_e32 v103, v34
	s_set_gpr_idx_off
	s_set_gpr_idx_on s13, gpr_idx(SRC0)
	v_mov_b32_e32 v102, v34
	s_set_gpr_idx_off
	s_add_i32 s12, s11, -7
	s_add_i32 s13, s11, -8
	v_fma_f64 v[96:97], v[102:103], v[104:105], v[96:97]
	s_set_gpr_idx_on s14, gpr_idx(SRC0)
	v_mov_b32_e32 v107, v34
	s_set_gpr_idx_off
	s_set_gpr_idx_on s15, gpr_idx(SRC0)
	v_mov_b32_e32 v106, v34
	s_set_gpr_idx_off
	ds_read2_b64 v[102:105], v99 offset0:2 offset1:3
	s_add_i32 s14, s11, -5
	s_add_i32 s15, s11, -6
	s_waitcnt lgkmcnt(0)
	v_fma_f64 v[96:97], v[106:107], v[102:103], v[96:97]
	s_set_gpr_idx_on s12, gpr_idx(SRC0)
	v_mov_b32_e32 v103, v34
	s_set_gpr_idx_off
	s_set_gpr_idx_on s13, gpr_idx(SRC0)
	v_mov_b32_e32 v102, v34
	s_set_gpr_idx_off
	s_add_i32 s12, s11, -3
	s_add_i32 s13, s11, -4
	v_fma_f64 v[96:97], v[102:103], v[104:105], v[96:97]
	s_set_gpr_idx_on s14, gpr_idx(SRC0)
	v_mov_b32_e32 v107, v34
	s_set_gpr_idx_off
	s_set_gpr_idx_on s15, gpr_idx(SRC0)
	v_mov_b32_e32 v106, v34
	s_set_gpr_idx_off
	ds_read2_b64 v[102:105], v99 offset0:4 offset1:5
	s_add_i32 s14, s11, -1
	s_add_i32 s15, s11, -2
	s_add_u32 s6, s6, 8
	s_addc_u32 s7, s7, 0
	s_waitcnt lgkmcnt(0)
	v_fma_f64 v[96:97], v[106:107], v[102:103], v[96:97]
	s_set_gpr_idx_on s12, gpr_idx(SRC0)
	v_mov_b32_e32 v103, v34
	s_set_gpr_idx_off
	s_set_gpr_idx_on s13, gpr_idx(SRC0)
	v_mov_b32_e32 v102, v34
	s_set_gpr_idx_off
	s_add_i32 s10, s10, 64
	v_fma_f64 v[96:97], v[102:103], v[104:105], v[96:97]
	s_set_gpr_idx_on s14, gpr_idx(SRC0)
	v_mov_b32_e32 v107, v34
	s_set_gpr_idx_off
	s_set_gpr_idx_on s15, gpr_idx(SRC0)
	v_mov_b32_e32 v106, v34
	s_set_gpr_idx_off
	ds_read2_b64 v[102:105], v99 offset0:6 offset1:7
	v_add_u32_e32 v99, s6, v101
	v_cmp_eq_u32_e32 vcc, 16, v99
	s_waitcnt lgkmcnt(0)
	v_fma_f64 v[96:97], v[106:107], v[102:103], v[96:97]
	s_set_gpr_idx_on s11, gpr_idx(SRC0)
	v_mov_b32_e32 v103, v35
	v_mov_b32_e32 v102, v34
	s_set_gpr_idx_off
	s_add_i32 s11, s6, -7
	s_or_b64 s[8:9], vcc, s[8:9]
	v_mov_b32_e32 v99, s11
	v_fma_f64 v[96:97], v[102:103], v[104:105], v[96:97]
	s_andn2_b64 exec, exec, s[8:9]
	s_cbranch_execnz .LBB78_73
; %bb.74:
	s_or_b64 exec, exec, s[8:9]
.LBB78_75:
	s_or_b64 exec, exec, s[2:3]
	v_and_b32_e32 v64, 7, v100
	v_cmp_ne_u32_e32 vcc, 0, v64
	s_and_saveexec_b64 s[6:7], vcc
	s_cbranch_execz .LBB78_79
; %bb.76:
	v_mov_b32_e32 v65, 0x80
	v_lshl_add_u32 v65, v99, 3, v65
	v_mov_b32_e32 v100, 0
	s_mov_b64 s[8:9], 0
.LBB78_77:                              ; =>This Inner Loop Header: Depth=1
	v_cmp_eq_u32_e32 vcc, 1, v99
	v_cndmask_b32_e32 v103, v35, v37, vcc
	v_cmp_eq_u32_e64 s[2:3], 2, v99
	v_cndmask_b32_e64 v103, v103, v39, s[2:3]
	v_cndmask_b32_e32 v104, v34, v36, vcc
	v_cmp_eq_u32_e32 vcc, 3, v99
	v_cndmask_b32_e32 v103, v103, v41, vcc
	v_cndmask_b32_e64 v104, v104, v38, s[2:3]
	v_cmp_eq_u32_e64 s[2:3], 4, v99
	v_cndmask_b32_e64 v103, v103, v43, s[2:3]
	v_cndmask_b32_e32 v104, v104, v40, vcc
	v_cmp_eq_u32_e32 vcc, 5, v99
	v_cndmask_b32_e32 v103, v103, v45, vcc
	v_cndmask_b32_e64 v104, v104, v42, s[2:3]
	;; [unrolled: 6-line block ×4, first 2 shown]
	v_cmp_eq_u32_e64 s[2:3], 10, v99
	v_cndmask_b32_e64 v103, v103, v55, s[2:3]
	v_cndmask_b32_e32 v104, v104, v52, vcc
	v_cmp_eq_u32_e32 vcc, 11, v99
	ds_read_b64 v[101:102], v65
	v_cndmask_b32_e32 v103, v103, v57, vcc
	v_cndmask_b32_e64 v104, v104, v54, s[2:3]
	v_cmp_eq_u32_e64 s[2:3], 12, v99
	v_cndmask_b32_e64 v103, v103, v59, s[2:3]
	v_cndmask_b32_e32 v104, v104, v56, vcc
	v_cmp_eq_u32_e32 vcc, 13, v99
	v_cndmask_b32_e32 v103, v103, v61, vcc
	v_cndmask_b32_e64 v105, v104, v58, s[2:3]
	v_cmp_eq_u32_e64 s[2:3], 14, v99
	v_cndmask_b32_e64 v104, v103, v63, s[2:3]
	v_cndmask_b32_e32 v103, v105, v60, vcc
	v_cndmask_b32_e64 v103, v103, v62, s[2:3]
	s_waitcnt lgkmcnt(0)
	v_fma_f64 v[96:97], v[103:104], v[101:102], v[96:97]
	v_add_u32_e32 v64, -1, v64
	v_cmp_eq_u32_e32 vcc, 0, v64
	s_or_b64 s[8:9], vcc, s[8:9]
	v_add_co_u32_e32 v99, vcc, 1, v99
	v_add_u32_e32 v65, 8, v65
	v_addc_co_u32_e32 v100, vcc, 0, v100, vcc
	s_andn2_b64 exec, exec, s[8:9]
	s_cbranch_execnz .LBB78_77
; %bb.78:
	s_or_b64 exec, exec, s[8:9]
.LBB78_79:
	s_or_b64 exec, exec, s[6:7]
.LBB78_80:
	s_or_b64 exec, exec, s[4:5]
	v_mov_b32_e32 v50, 0
	ds_read_b64 v[50:51], v50 offset:64
	s_waitcnt lgkmcnt(0)
	v_mul_f64 v[50:51], v[96:97], v[50:51]
.LBB78_81:
	s_or_b64 exec, exec, s[34:35]
	v_cmp_lt_u32_e64 s[2:3], 7, v0
	ds_write_b64 v98, v[48:49]
	s_waitcnt lgkmcnt(0)
	; wave barrier
	s_and_saveexec_b64 s[34:35], s[2:3]
	s_cbranch_execz .LBB78_97
; %bb.82:
	s_andn2_b64 vcc, exec, s[30:31]
	s_cbranch_vccnz .LBB78_84
; %bb.83:
	v_cmp_eq_u32_e32 vcc, 1, v0
	v_cndmask_b32_e32 v96, v35, v37, vcc
	v_cmp_eq_u32_e64 s[4:5], 2, v0
	v_cndmask_b32_e64 v96, v96, v39, s[4:5]
	v_cmp_eq_u32_e64 s[6:7], 3, v0
	v_cndmask_b32_e64 v96, v96, v41, s[6:7]
	;; [unrolled: 2-line block ×13, first 2 shown]
	v_cndmask_b32_e32 v96, v34, v36, vcc
	v_cndmask_b32_e64 v96, v96, v38, s[4:5]
	v_cndmask_b32_e64 v96, v96, v40, s[6:7]
	;; [unrolled: 1-line block ×9, first 2 shown]
	ds_read_b64 v[99:100], v98
	v_cndmask_b32_e64 v96, v96, v56, s[22:23]
	v_cndmask_b32_e64 v96, v96, v58, s[24:25]
	v_cndmask_b32_e64 v96, v96, v60, s[26:27]
	v_cndmask_b32_e64 v96, v96, v62, s[28:29]
	s_waitcnt lgkmcnt(0)
	v_mul_f64 v[96:97], v[96:97], v[99:100]
	s_cbranch_execz .LBB78_85
	s_branch .LBB78_86
.LBB78_84:
                                        ; implicit-def: $vgpr96_vgpr97
.LBB78_85:
	ds_read_b64 v[96:97], v98
.LBB78_86:
	s_and_saveexec_b64 s[4:5], s[0:1]
	s_cbranch_execz .LBB78_96
; %bb.87:
	v_add_u32_e32 v99, -9, v0
	v_cmp_lt_u32_e32 vcc, 6, v99
	v_mov_b32_e32 v99, 8
	s_and_saveexec_b64 s[0:1], vcc
	s_cbranch_execz .LBB78_91
; %bb.88:
	v_and_b32_e32 v99, 8, v0
	v_sub_u32_e32 v100, 0, v99
	s_mov_b64 s[6:7], 15
	s_movk_i32 s10, 0xc0
	s_mov_b64 s[8:9], 0
.LBB78_89:                              ; =>This Inner Loop Header: Depth=1
	s_lshl_b32 s11, s6, 1
	s_add_i32 s12, s11, -13
	v_mov_b32_e32 v99, s10
	s_add_i32 s13, s11, -14
	s_set_gpr_idx_on s12, gpr_idx(SRC0)
	v_mov_b32_e32 v110, v34
	s_set_gpr_idx_off
	s_set_gpr_idx_on s13, gpr_idx(SRC0)
	v_mov_b32_e32 v109, v34
	s_set_gpr_idx_off
	ds_read_b128 v[101:104], v99
	ds_read_b128 v[105:108], v99 offset:16
	s_add_i32 s12, s11, -11
	s_add_i32 s13, s11, -12
	s_waitcnt lgkmcnt(1)
	v_fma_f64 v[96:97], v[109:110], v[101:102], v[96:97]
	ds_read_b128 v[109:112], v99 offset:32
	ds_read_b128 v[113:116], v99 offset:48
	s_set_gpr_idx_on s12, gpr_idx(SRC0)
	v_mov_b32_e32 v102, v34
	s_set_gpr_idx_off
	s_set_gpr_idx_on s13, gpr_idx(SRC0)
	v_mov_b32_e32 v101, v34
	s_set_gpr_idx_off
	s_add_i32 s12, s11, -9
	s_add_i32 s13, s11, -10
	v_fma_f64 v[96:97], v[101:102], v[103:104], v[96:97]
	s_set_gpr_idx_on s12, gpr_idx(SRC0)
	v_mov_b32_e32 v102, v34
	s_set_gpr_idx_off
	s_set_gpr_idx_on s13, gpr_idx(SRC0)
	v_mov_b32_e32 v101, v34
	s_set_gpr_idx_off
	s_add_i32 s12, s11, -7
	s_add_i32 s13, s11, -8
	s_waitcnt lgkmcnt(2)
	v_fma_f64 v[96:97], v[101:102], v[105:106], v[96:97]
	s_set_gpr_idx_on s12, gpr_idx(SRC0)
	v_mov_b32_e32 v102, v34
	s_set_gpr_idx_off
	s_set_gpr_idx_on s13, gpr_idx(SRC0)
	v_mov_b32_e32 v101, v34
	s_set_gpr_idx_off
	s_add_i32 s12, s11, -5
	s_add_i32 s13, s11, -6
	v_fma_f64 v[96:97], v[101:102], v[107:108], v[96:97]
	s_set_gpr_idx_on s12, gpr_idx(SRC0)
	v_mov_b32_e32 v102, v34
	s_set_gpr_idx_off
	s_set_gpr_idx_on s13, gpr_idx(SRC0)
	v_mov_b32_e32 v101, v34
	s_set_gpr_idx_off
	s_add_i32 s12, s11, -3
	s_add_i32 s13, s11, -4
	s_waitcnt lgkmcnt(1)
	v_fma_f64 v[96:97], v[101:102], v[109:110], v[96:97]
	s_set_gpr_idx_on s12, gpr_idx(SRC0)
	v_mov_b32_e32 v102, v34
	s_set_gpr_idx_off
	s_set_gpr_idx_on s13, gpr_idx(SRC0)
	v_mov_b32_e32 v101, v34
	s_set_gpr_idx_off
	s_add_i32 s12, s11, -1
	s_add_i32 s13, s11, -2
	s_add_u32 s6, s6, 8
	v_add_u32_e32 v99, s6, v100
	s_addc_u32 s7, s7, 0
	v_fma_f64 v[96:97], v[101:102], v[111:112], v[96:97]
	s_set_gpr_idx_on s12, gpr_idx(SRC0)
	v_mov_b32_e32 v102, v34
	s_set_gpr_idx_off
	s_set_gpr_idx_on s13, gpr_idx(SRC0)
	v_mov_b32_e32 v101, v34
	s_set_gpr_idx_off
	s_add_i32 s10, s10, 64
	v_cmp_eq_u32_e32 vcc, 7, v99
	s_waitcnt lgkmcnt(0)
	v_fma_f64 v[96:97], v[101:102], v[113:114], v[96:97]
	s_set_gpr_idx_on s11, gpr_idx(SRC0)
	v_mov_b32_e32 v102, v35
	v_mov_b32_e32 v101, v34
	s_set_gpr_idx_off
	s_add_i32 s11, s6, -7
	s_or_b64 s[8:9], vcc, s[8:9]
	v_mov_b32_e32 v99, s11
	v_fma_f64 v[96:97], v[101:102], v[115:116], v[96:97]
	s_andn2_b64 exec, exec, s[8:9]
	s_cbranch_execnz .LBB78_89
; %bb.90:
	s_or_b64 exec, exec, s[8:9]
.LBB78_91:
	s_or_b64 exec, exec, s[0:1]
	v_and_b32_e32 v64, 7, v0
	v_cmp_ne_u32_e32 vcc, 0, v64
	s_and_saveexec_b64 s[6:7], vcc
	s_cbranch_execz .LBB78_95
; %bb.92:
	v_mov_b32_e32 v65, 0x80
	v_lshl_add_u32 v65, v99, 3, v65
	v_mov_b32_e32 v100, 0
	s_mov_b64 s[8:9], 0
.LBB78_93:                              ; =>This Inner Loop Header: Depth=1
	v_cmp_eq_u32_e32 vcc, 1, v99
	v_cndmask_b32_e32 v103, v35, v37, vcc
	v_cmp_eq_u32_e64 s[0:1], 2, v99
	v_cndmask_b32_e64 v103, v103, v39, s[0:1]
	v_cndmask_b32_e32 v104, v34, v36, vcc
	v_cmp_eq_u32_e32 vcc, 3, v99
	v_cndmask_b32_e32 v103, v103, v41, vcc
	v_cndmask_b32_e64 v104, v104, v38, s[0:1]
	v_cmp_eq_u32_e64 s[0:1], 4, v99
	v_cndmask_b32_e64 v103, v103, v43, s[0:1]
	v_cndmask_b32_e32 v104, v104, v40, vcc
	v_cmp_eq_u32_e32 vcc, 5, v99
	v_cndmask_b32_e32 v103, v103, v45, vcc
	v_cndmask_b32_e64 v104, v104, v42, s[0:1]
	;; [unrolled: 6-line block ×4, first 2 shown]
	v_cmp_eq_u32_e64 s[0:1], 10, v99
	v_cndmask_b32_e64 v103, v103, v55, s[0:1]
	v_cndmask_b32_e32 v104, v104, v52, vcc
	v_cmp_eq_u32_e32 vcc, 11, v99
	ds_read_b64 v[101:102], v65
	v_cndmask_b32_e32 v103, v103, v57, vcc
	v_cndmask_b32_e64 v104, v104, v54, s[0:1]
	v_cmp_eq_u32_e64 s[0:1], 12, v99
	v_cndmask_b32_e64 v103, v103, v59, s[0:1]
	v_cndmask_b32_e32 v104, v104, v56, vcc
	v_cmp_eq_u32_e32 vcc, 13, v99
	v_cndmask_b32_e32 v103, v103, v61, vcc
	v_cndmask_b32_e64 v105, v104, v58, s[0:1]
	v_cmp_eq_u32_e64 s[0:1], 14, v99
	v_cndmask_b32_e64 v104, v103, v63, s[0:1]
	v_cndmask_b32_e32 v103, v105, v60, vcc
	v_cndmask_b32_e64 v103, v103, v62, s[0:1]
	s_waitcnt lgkmcnt(0)
	v_fma_f64 v[96:97], v[103:104], v[101:102], v[96:97]
	v_add_u32_e32 v64, -1, v64
	v_cmp_eq_u32_e32 vcc, 0, v64
	s_or_b64 s[8:9], vcc, s[8:9]
	v_add_co_u32_e32 v99, vcc, 1, v99
	v_add_u32_e32 v65, 8, v65
	v_addc_co_u32_e32 v100, vcc, 0, v100, vcc
	s_andn2_b64 exec, exec, s[8:9]
	s_cbranch_execnz .LBB78_93
; %bb.94:
	s_or_b64 exec, exec, s[8:9]
.LBB78_95:
	s_or_b64 exec, exec, s[6:7]
.LBB78_96:
	s_or_b64 exec, exec, s[4:5]
	v_mov_b32_e32 v48, 0
	ds_read_b64 v[48:49], v48 offset:56
	s_waitcnt lgkmcnt(0)
	v_mul_f64 v[48:49], v[96:97], v[48:49]
.LBB78_97:
	s_or_b64 exec, exec, s[34:35]
	v_cmp_lt_u32_e64 s[0:1], 6, v0
	ds_write_b64 v98, v[46:47]
	s_waitcnt lgkmcnt(0)
	; wave barrier
	s_and_saveexec_b64 s[34:35], s[0:1]
	s_cbranch_execz .LBB78_113
; %bb.98:
	s_andn2_b64 vcc, exec, s[30:31]
	s_cbranch_vccnz .LBB78_100
; %bb.99:
	v_cmp_eq_u32_e32 vcc, 1, v0
	v_cndmask_b32_e32 v96, v35, v37, vcc
	v_cmp_eq_u32_e64 s[4:5], 2, v0
	v_cndmask_b32_e64 v96, v96, v39, s[4:5]
	v_cmp_eq_u32_e64 s[6:7], 3, v0
	v_cndmask_b32_e64 v96, v96, v41, s[6:7]
	;; [unrolled: 2-line block ×13, first 2 shown]
	v_cndmask_b32_e32 v96, v34, v36, vcc
	v_cndmask_b32_e64 v96, v96, v38, s[4:5]
	v_cndmask_b32_e64 v96, v96, v40, s[6:7]
	;; [unrolled: 1-line block ×9, first 2 shown]
	ds_read_b64 v[99:100], v98
	v_cndmask_b32_e64 v96, v96, v56, s[22:23]
	v_cndmask_b32_e64 v96, v96, v58, s[24:25]
	;; [unrolled: 1-line block ×4, first 2 shown]
	s_waitcnt lgkmcnt(0)
	v_mul_f64 v[96:97], v[96:97], v[99:100]
	s_cbranch_execz .LBB78_101
	s_branch .LBB78_102
.LBB78_100:
                                        ; implicit-def: $vgpr96_vgpr97
.LBB78_101:
	ds_read_b64 v[96:97], v98
.LBB78_102:
	s_and_saveexec_b64 s[4:5], s[2:3]
	s_cbranch_execz .LBB78_112
; %bb.103:
	v_add_u32_e32 v99, -8, v0
	v_add_u32_e32 v100, -7, v0
	v_cmp_lt_u32_e32 vcc, 6, v99
	v_mov_b32_e32 v99, 7
	s_and_saveexec_b64 s[2:3], vcc
	s_cbranch_execz .LBB78_107
; %bb.104:
	v_and_b32_e32 v99, -8, v100
	v_sub_u32_e32 v101, 0, v99
	s_mov_b64 s[6:7], 14
	s_movk_i32 s10, 0xb8
	s_mov_b64 s[8:9], 0
.LBB78_105:                             ; =>This Inner Loop Header: Depth=1
	s_lshl_b32 s11, s6, 1
	s_add_i32 s12, s11, -13
	v_mov_b32_e32 v99, s10
	s_add_i32 s13, s11, -14
	s_set_gpr_idx_on s12, gpr_idx(SRC0)
	v_mov_b32_e32 v107, v34
	s_set_gpr_idx_off
	s_set_gpr_idx_on s13, gpr_idx(SRC0)
	v_mov_b32_e32 v106, v34
	s_set_gpr_idx_off
	ds_read2_b64 v[102:105], v99 offset1:1
	s_add_i32 s12, s11, -11
	s_add_i32 s13, s11, -12
	;; [unrolled: 1-line block ×4, first 2 shown]
	s_waitcnt lgkmcnt(0)
	v_fma_f64 v[96:97], v[106:107], v[102:103], v[96:97]
	s_set_gpr_idx_on s12, gpr_idx(SRC0)
	v_mov_b32_e32 v103, v34
	s_set_gpr_idx_off
	s_set_gpr_idx_on s13, gpr_idx(SRC0)
	v_mov_b32_e32 v102, v34
	s_set_gpr_idx_off
	s_add_i32 s12, s11, -7
	s_add_i32 s13, s11, -8
	v_fma_f64 v[96:97], v[102:103], v[104:105], v[96:97]
	s_set_gpr_idx_on s14, gpr_idx(SRC0)
	v_mov_b32_e32 v107, v34
	s_set_gpr_idx_off
	s_set_gpr_idx_on s15, gpr_idx(SRC0)
	v_mov_b32_e32 v106, v34
	s_set_gpr_idx_off
	ds_read2_b64 v[102:105], v99 offset0:2 offset1:3
	s_add_i32 s14, s11, -5
	s_add_i32 s15, s11, -6
	s_waitcnt lgkmcnt(0)
	v_fma_f64 v[96:97], v[106:107], v[102:103], v[96:97]
	s_set_gpr_idx_on s12, gpr_idx(SRC0)
	v_mov_b32_e32 v103, v34
	s_set_gpr_idx_off
	s_set_gpr_idx_on s13, gpr_idx(SRC0)
	v_mov_b32_e32 v102, v34
	s_set_gpr_idx_off
	s_add_i32 s12, s11, -3
	s_add_i32 s13, s11, -4
	v_fma_f64 v[96:97], v[102:103], v[104:105], v[96:97]
	s_set_gpr_idx_on s14, gpr_idx(SRC0)
	v_mov_b32_e32 v107, v34
	s_set_gpr_idx_off
	s_set_gpr_idx_on s15, gpr_idx(SRC0)
	v_mov_b32_e32 v106, v34
	s_set_gpr_idx_off
	ds_read2_b64 v[102:105], v99 offset0:4 offset1:5
	s_add_i32 s14, s11, -1
	s_add_i32 s15, s11, -2
	s_add_u32 s6, s6, 8
	s_addc_u32 s7, s7, 0
	s_waitcnt lgkmcnt(0)
	v_fma_f64 v[96:97], v[106:107], v[102:103], v[96:97]
	s_set_gpr_idx_on s12, gpr_idx(SRC0)
	v_mov_b32_e32 v103, v34
	s_set_gpr_idx_off
	s_set_gpr_idx_on s13, gpr_idx(SRC0)
	v_mov_b32_e32 v102, v34
	s_set_gpr_idx_off
	s_add_i32 s10, s10, 64
	v_fma_f64 v[96:97], v[102:103], v[104:105], v[96:97]
	s_set_gpr_idx_on s14, gpr_idx(SRC0)
	v_mov_b32_e32 v107, v34
	s_set_gpr_idx_off
	s_set_gpr_idx_on s15, gpr_idx(SRC0)
	v_mov_b32_e32 v106, v34
	s_set_gpr_idx_off
	ds_read2_b64 v[102:105], v99 offset0:6 offset1:7
	v_add_u32_e32 v99, s6, v101
	v_cmp_eq_u32_e32 vcc, 14, v99
	s_waitcnt lgkmcnt(0)
	v_fma_f64 v[96:97], v[106:107], v[102:103], v[96:97]
	s_set_gpr_idx_on s11, gpr_idx(SRC0)
	v_mov_b32_e32 v103, v35
	v_mov_b32_e32 v102, v34
	s_set_gpr_idx_off
	s_add_i32 s11, s6, -7
	s_or_b64 s[8:9], vcc, s[8:9]
	v_mov_b32_e32 v99, s11
	v_fma_f64 v[96:97], v[102:103], v[104:105], v[96:97]
	s_andn2_b64 exec, exec, s[8:9]
	s_cbranch_execnz .LBB78_105
; %bb.106:
	s_or_b64 exec, exec, s[8:9]
.LBB78_107:
	s_or_b64 exec, exec, s[2:3]
	v_and_b32_e32 v64, 7, v100
	v_cmp_ne_u32_e32 vcc, 0, v64
	s_and_saveexec_b64 s[6:7], vcc
	s_cbranch_execz .LBB78_111
; %bb.108:
	v_mov_b32_e32 v65, 0x80
	v_lshl_add_u32 v65, v99, 3, v65
	v_mov_b32_e32 v100, 0
	s_mov_b64 s[8:9], 0
.LBB78_109:                             ; =>This Inner Loop Header: Depth=1
	v_cmp_eq_u32_e32 vcc, 1, v99
	v_cndmask_b32_e32 v103, v35, v37, vcc
	v_cmp_eq_u32_e64 s[2:3], 2, v99
	v_cndmask_b32_e64 v103, v103, v39, s[2:3]
	v_cndmask_b32_e32 v104, v34, v36, vcc
	v_cmp_eq_u32_e32 vcc, 3, v99
	v_cndmask_b32_e32 v103, v103, v41, vcc
	v_cndmask_b32_e64 v104, v104, v38, s[2:3]
	v_cmp_eq_u32_e64 s[2:3], 4, v99
	v_cndmask_b32_e64 v103, v103, v43, s[2:3]
	v_cndmask_b32_e32 v104, v104, v40, vcc
	v_cmp_eq_u32_e32 vcc, 5, v99
	v_cndmask_b32_e32 v103, v103, v45, vcc
	v_cndmask_b32_e64 v104, v104, v42, s[2:3]
	;; [unrolled: 6-line block ×4, first 2 shown]
	v_cmp_eq_u32_e64 s[2:3], 10, v99
	v_cndmask_b32_e64 v103, v103, v55, s[2:3]
	v_cndmask_b32_e32 v104, v104, v52, vcc
	v_cmp_eq_u32_e32 vcc, 11, v99
	ds_read_b64 v[101:102], v65
	v_cndmask_b32_e32 v103, v103, v57, vcc
	v_cndmask_b32_e64 v104, v104, v54, s[2:3]
	v_cmp_eq_u32_e64 s[2:3], 12, v99
	v_cndmask_b32_e64 v103, v103, v59, s[2:3]
	v_cndmask_b32_e32 v104, v104, v56, vcc
	v_cmp_eq_u32_e32 vcc, 13, v99
	v_cndmask_b32_e32 v103, v103, v61, vcc
	v_cndmask_b32_e64 v105, v104, v58, s[2:3]
	v_cmp_eq_u32_e64 s[2:3], 14, v99
	v_cndmask_b32_e64 v104, v103, v63, s[2:3]
	v_cndmask_b32_e32 v103, v105, v60, vcc
	v_cndmask_b32_e64 v103, v103, v62, s[2:3]
	s_waitcnt lgkmcnt(0)
	v_fma_f64 v[96:97], v[103:104], v[101:102], v[96:97]
	v_add_u32_e32 v64, -1, v64
	v_cmp_eq_u32_e32 vcc, 0, v64
	s_or_b64 s[8:9], vcc, s[8:9]
	v_add_co_u32_e32 v99, vcc, 1, v99
	v_add_u32_e32 v65, 8, v65
	v_addc_co_u32_e32 v100, vcc, 0, v100, vcc
	s_andn2_b64 exec, exec, s[8:9]
	s_cbranch_execnz .LBB78_109
; %bb.110:
	s_or_b64 exec, exec, s[8:9]
.LBB78_111:
	s_or_b64 exec, exec, s[6:7]
.LBB78_112:
	s_or_b64 exec, exec, s[4:5]
	v_mov_b32_e32 v46, 0
	ds_read_b64 v[46:47], v46 offset:48
	s_waitcnt lgkmcnt(0)
	v_mul_f64 v[46:47], v[96:97], v[46:47]
.LBB78_113:
	s_or_b64 exec, exec, s[34:35]
	v_cmp_lt_u32_e64 s[2:3], 5, v0
	ds_write_b64 v98, v[44:45]
	s_waitcnt lgkmcnt(0)
	; wave barrier
	s_and_saveexec_b64 s[34:35], s[2:3]
	s_cbranch_execz .LBB78_129
; %bb.114:
	s_andn2_b64 vcc, exec, s[30:31]
	s_cbranch_vccnz .LBB78_116
; %bb.115:
	v_cmp_eq_u32_e32 vcc, 1, v0
	v_cndmask_b32_e32 v96, v35, v37, vcc
	v_cmp_eq_u32_e64 s[4:5], 2, v0
	v_cndmask_b32_e64 v96, v96, v39, s[4:5]
	v_cmp_eq_u32_e64 s[6:7], 3, v0
	v_cndmask_b32_e64 v96, v96, v41, s[6:7]
	;; [unrolled: 2-line block ×13, first 2 shown]
	v_cndmask_b32_e32 v96, v34, v36, vcc
	v_cndmask_b32_e64 v96, v96, v38, s[4:5]
	v_cndmask_b32_e64 v96, v96, v40, s[6:7]
	;; [unrolled: 1-line block ×9, first 2 shown]
	ds_read_b64 v[99:100], v98
	v_cndmask_b32_e64 v96, v96, v56, s[22:23]
	v_cndmask_b32_e64 v96, v96, v58, s[24:25]
	;; [unrolled: 1-line block ×4, first 2 shown]
	s_waitcnt lgkmcnt(0)
	v_mul_f64 v[96:97], v[96:97], v[99:100]
	s_cbranch_execz .LBB78_117
	s_branch .LBB78_118
.LBB78_116:
                                        ; implicit-def: $vgpr96_vgpr97
.LBB78_117:
	ds_read_b64 v[96:97], v98
.LBB78_118:
	s_and_saveexec_b64 s[4:5], s[0:1]
	s_cbranch_execz .LBB78_128
; %bb.119:
	v_add_u32_e32 v101, -7, v0
	v_add_u32_e32 v100, -6, v0
	v_mov_b32_e32 v99, 6
	v_cmp_lt_u32_e32 vcc, 6, v101
	s_and_saveexec_b64 s[0:1], vcc
	s_cbranch_execz .LBB78_123
; %bb.120:
	v_and_b32_e32 v99, -8, v100
	v_sub_u32_e32 v101, 0, v99
	s_mov_b64 s[6:7], 13
	s_movk_i32 s10, 0xb0
	s_mov_b64 s[8:9], 0
.LBB78_121:                             ; =>This Inner Loop Header: Depth=1
	s_lshl_b32 s11, s6, 1
	s_add_i32 s12, s11, -13
	v_mov_b32_e32 v99, s10
	s_add_i32 s13, s11, -14
	s_set_gpr_idx_on s12, gpr_idx(SRC0)
	v_mov_b32_e32 v111, v34
	s_set_gpr_idx_off
	s_set_gpr_idx_on s13, gpr_idx(SRC0)
	v_mov_b32_e32 v110, v34
	s_set_gpr_idx_off
	ds_read_b128 v[102:105], v99
	ds_read_b128 v[106:109], v99 offset:16
	s_add_i32 s12, s11, -11
	s_add_i32 s13, s11, -12
	s_waitcnt lgkmcnt(1)
	v_fma_f64 v[96:97], v[110:111], v[102:103], v[96:97]
	ds_read_b128 v[110:113], v99 offset:32
	ds_read_b128 v[114:117], v99 offset:48
	s_set_gpr_idx_on s12, gpr_idx(SRC0)
	v_mov_b32_e32 v103, v34
	s_set_gpr_idx_off
	s_set_gpr_idx_on s13, gpr_idx(SRC0)
	v_mov_b32_e32 v102, v34
	s_set_gpr_idx_off
	s_add_i32 s12, s11, -9
	s_add_i32 s13, s11, -10
	v_fma_f64 v[96:97], v[102:103], v[104:105], v[96:97]
	s_set_gpr_idx_on s12, gpr_idx(SRC0)
	v_mov_b32_e32 v103, v34
	s_set_gpr_idx_off
	s_set_gpr_idx_on s13, gpr_idx(SRC0)
	v_mov_b32_e32 v102, v34
	s_set_gpr_idx_off
	s_add_i32 s12, s11, -7
	s_add_i32 s13, s11, -8
	s_waitcnt lgkmcnt(2)
	v_fma_f64 v[96:97], v[102:103], v[106:107], v[96:97]
	s_set_gpr_idx_on s12, gpr_idx(SRC0)
	v_mov_b32_e32 v103, v34
	s_set_gpr_idx_off
	s_set_gpr_idx_on s13, gpr_idx(SRC0)
	v_mov_b32_e32 v102, v34
	s_set_gpr_idx_off
	s_add_i32 s12, s11, -5
	s_add_i32 s13, s11, -6
	v_fma_f64 v[96:97], v[102:103], v[108:109], v[96:97]
	s_set_gpr_idx_on s12, gpr_idx(SRC0)
	v_mov_b32_e32 v103, v34
	s_set_gpr_idx_off
	s_set_gpr_idx_on s13, gpr_idx(SRC0)
	v_mov_b32_e32 v102, v34
	s_set_gpr_idx_off
	s_add_i32 s12, s11, -3
	s_add_i32 s13, s11, -4
	s_waitcnt lgkmcnt(1)
	v_fma_f64 v[96:97], v[102:103], v[110:111], v[96:97]
	s_set_gpr_idx_on s12, gpr_idx(SRC0)
	v_mov_b32_e32 v103, v34
	s_set_gpr_idx_off
	s_set_gpr_idx_on s13, gpr_idx(SRC0)
	v_mov_b32_e32 v102, v34
	s_set_gpr_idx_off
	s_add_i32 s12, s11, -1
	s_add_i32 s13, s11, -2
	s_add_u32 s6, s6, 8
	v_add_u32_e32 v99, s6, v101
	s_addc_u32 s7, s7, 0
	v_fma_f64 v[96:97], v[102:103], v[112:113], v[96:97]
	s_set_gpr_idx_on s12, gpr_idx(SRC0)
	v_mov_b32_e32 v103, v34
	s_set_gpr_idx_off
	s_set_gpr_idx_on s13, gpr_idx(SRC0)
	v_mov_b32_e32 v102, v34
	s_set_gpr_idx_off
	s_add_i32 s10, s10, 64
	v_cmp_eq_u32_e32 vcc, 13, v99
	s_waitcnt lgkmcnt(0)
	v_fma_f64 v[96:97], v[102:103], v[114:115], v[96:97]
	s_set_gpr_idx_on s11, gpr_idx(SRC0)
	v_mov_b32_e32 v103, v35
	v_mov_b32_e32 v102, v34
	s_set_gpr_idx_off
	s_add_i32 s11, s6, -7
	s_or_b64 s[8:9], vcc, s[8:9]
	v_mov_b32_e32 v99, s11
	v_fma_f64 v[96:97], v[102:103], v[116:117], v[96:97]
	s_andn2_b64 exec, exec, s[8:9]
	s_cbranch_execnz .LBB78_121
; %bb.122:
	s_or_b64 exec, exec, s[8:9]
.LBB78_123:
	s_or_b64 exec, exec, s[0:1]
	v_and_b32_e32 v64, 7, v100
	v_cmp_ne_u32_e32 vcc, 0, v64
	s_and_saveexec_b64 s[6:7], vcc
	s_cbranch_execz .LBB78_127
; %bb.124:
	v_mov_b32_e32 v65, 0x80
	v_lshl_add_u32 v65, v99, 3, v65
	v_mov_b32_e32 v100, 0
	s_mov_b64 s[8:9], 0
.LBB78_125:                             ; =>This Inner Loop Header: Depth=1
	v_cmp_eq_u32_e32 vcc, 1, v99
	v_cndmask_b32_e32 v103, v35, v37, vcc
	v_cmp_eq_u32_e64 s[0:1], 2, v99
	v_cndmask_b32_e64 v103, v103, v39, s[0:1]
	v_cndmask_b32_e32 v104, v34, v36, vcc
	v_cmp_eq_u32_e32 vcc, 3, v99
	v_cndmask_b32_e32 v103, v103, v41, vcc
	v_cndmask_b32_e64 v104, v104, v38, s[0:1]
	v_cmp_eq_u32_e64 s[0:1], 4, v99
	v_cndmask_b32_e64 v103, v103, v43, s[0:1]
	v_cndmask_b32_e32 v104, v104, v40, vcc
	v_cmp_eq_u32_e32 vcc, 5, v99
	v_cndmask_b32_e32 v103, v103, v45, vcc
	v_cndmask_b32_e64 v104, v104, v42, s[0:1]
	v_cmp_eq_u32_e64 s[0:1], 6, v99
	v_cndmask_b32_e64 v103, v103, v47, s[0:1]
	v_cndmask_b32_e32 v104, v104, v44, vcc
	v_cmp_eq_u32_e32 vcc, 7, v99
	v_cndmask_b32_e32 v103, v103, v49, vcc
	v_cndmask_b32_e64 v104, v104, v46, s[0:1]
	v_cmp_eq_u32_e64 s[0:1], 8, v99
	v_cndmask_b32_e64 v103, v103, v51, s[0:1]
	v_cndmask_b32_e32 v104, v104, v48, vcc
	v_cmp_eq_u32_e32 vcc, 9, v99
	v_cndmask_b32_e32 v103, v103, v53, vcc
	v_cndmask_b32_e64 v104, v104, v50, s[0:1]
	v_cmp_eq_u32_e64 s[0:1], 10, v99
	v_cndmask_b32_e64 v103, v103, v55, s[0:1]
	v_cndmask_b32_e32 v104, v104, v52, vcc
	v_cmp_eq_u32_e32 vcc, 11, v99
	ds_read_b64 v[101:102], v65
	v_cndmask_b32_e32 v103, v103, v57, vcc
	v_cndmask_b32_e64 v104, v104, v54, s[0:1]
	v_cmp_eq_u32_e64 s[0:1], 12, v99
	v_cndmask_b32_e64 v103, v103, v59, s[0:1]
	v_cndmask_b32_e32 v104, v104, v56, vcc
	v_cmp_eq_u32_e32 vcc, 13, v99
	v_cndmask_b32_e32 v103, v103, v61, vcc
	v_cndmask_b32_e64 v105, v104, v58, s[0:1]
	v_cmp_eq_u32_e64 s[0:1], 14, v99
	v_cndmask_b32_e64 v104, v103, v63, s[0:1]
	v_cndmask_b32_e32 v103, v105, v60, vcc
	v_cndmask_b32_e64 v103, v103, v62, s[0:1]
	s_waitcnt lgkmcnt(0)
	v_fma_f64 v[96:97], v[103:104], v[101:102], v[96:97]
	v_add_u32_e32 v64, -1, v64
	v_cmp_eq_u32_e32 vcc, 0, v64
	s_or_b64 s[8:9], vcc, s[8:9]
	v_add_co_u32_e32 v99, vcc, 1, v99
	v_add_u32_e32 v65, 8, v65
	v_addc_co_u32_e32 v100, vcc, 0, v100, vcc
	s_andn2_b64 exec, exec, s[8:9]
	s_cbranch_execnz .LBB78_125
; %bb.126:
	s_or_b64 exec, exec, s[8:9]
.LBB78_127:
	s_or_b64 exec, exec, s[6:7]
.LBB78_128:
	s_or_b64 exec, exec, s[4:5]
	v_mov_b32_e32 v44, 0
	ds_read_b64 v[44:45], v44 offset:40
	s_waitcnt lgkmcnt(0)
	v_mul_f64 v[44:45], v[96:97], v[44:45]
.LBB78_129:
	s_or_b64 exec, exec, s[34:35]
	v_cmp_lt_u32_e64 s[0:1], 4, v0
	ds_write_b64 v98, v[42:43]
	s_waitcnt lgkmcnt(0)
	; wave barrier
	s_and_saveexec_b64 s[34:35], s[0:1]
	s_cbranch_execz .LBB78_145
; %bb.130:
	s_andn2_b64 vcc, exec, s[30:31]
	s_cbranch_vccnz .LBB78_132
; %bb.131:
	v_cmp_eq_u32_e32 vcc, 1, v0
	v_cndmask_b32_e32 v96, v35, v37, vcc
	v_cmp_eq_u32_e64 s[4:5], 2, v0
	v_cndmask_b32_e64 v96, v96, v39, s[4:5]
	v_cmp_eq_u32_e64 s[6:7], 3, v0
	v_cndmask_b32_e64 v96, v96, v41, s[6:7]
	v_cmp_eq_u32_e64 s[8:9], 4, v0
	v_cndmask_b32_e64 v96, v96, v43, s[8:9]
	v_cmp_eq_u32_e64 s[10:11], 5, v0
	v_cndmask_b32_e64 v96, v96, v45, s[10:11]
	v_cmp_eq_u32_e64 s[12:13], 6, v0
	v_cndmask_b32_e64 v96, v96, v47, s[12:13]
	v_cmp_eq_u32_e64 s[14:15], 7, v0
	v_cndmask_b32_e64 v96, v96, v49, s[14:15]
	v_cmp_eq_u32_e64 s[16:17], 8, v0
	v_cndmask_b32_e64 v96, v96, v51, s[16:17]
	v_cmp_eq_u32_e64 s[18:19], 9, v0
	v_cndmask_b32_e64 v96, v96, v53, s[18:19]
	v_cmp_eq_u32_e64 s[20:21], 10, v0
	v_cndmask_b32_e64 v96, v96, v55, s[20:21]
	v_cmp_eq_u32_e64 s[22:23], 11, v0
	v_cndmask_b32_e64 v96, v96, v57, s[22:23]
	v_cmp_eq_u32_e64 s[24:25], 12, v0
	v_cndmask_b32_e64 v96, v96, v59, s[24:25]
	v_cmp_eq_u32_e64 s[26:27], 13, v0
	v_cndmask_b32_e64 v96, v96, v61, s[26:27]
	v_cmp_eq_u32_e64 s[28:29], 14, v0
	v_cndmask_b32_e64 v97, v96, v63, s[28:29]
	v_cndmask_b32_e32 v96, v34, v36, vcc
	v_cndmask_b32_e64 v96, v96, v38, s[4:5]
	v_cndmask_b32_e64 v96, v96, v40, s[6:7]
	;; [unrolled: 1-line block ×9, first 2 shown]
	ds_read_b64 v[99:100], v98
	v_cndmask_b32_e64 v96, v96, v56, s[22:23]
	v_cndmask_b32_e64 v96, v96, v58, s[24:25]
	v_cndmask_b32_e64 v96, v96, v60, s[26:27]
	v_cndmask_b32_e64 v96, v96, v62, s[28:29]
	s_waitcnt lgkmcnt(0)
	v_mul_f64 v[96:97], v[96:97], v[99:100]
	s_cbranch_execz .LBB78_133
	s_branch .LBB78_134
.LBB78_132:
                                        ; implicit-def: $vgpr96_vgpr97
.LBB78_133:
	ds_read_b64 v[96:97], v98
.LBB78_134:
	s_and_saveexec_b64 s[4:5], s[2:3]
	s_cbranch_execz .LBB78_144
; %bb.135:
	v_add_u32_e32 v99, -6, v0
	v_add_u32_e32 v100, -5, v0
	v_cmp_lt_u32_e32 vcc, 6, v99
	v_mov_b32_e32 v99, 5
	s_and_saveexec_b64 s[2:3], vcc
	s_cbranch_execz .LBB78_139
; %bb.136:
	v_and_b32_e32 v99, -8, v100
	v_sub_u32_e32 v101, 0, v99
	s_mov_b64 s[6:7], 12
	s_movk_i32 s10, 0xa8
	s_mov_b64 s[8:9], 0
.LBB78_137:                             ; =>This Inner Loop Header: Depth=1
	s_lshl_b32 s11, s6, 1
	s_add_i32 s12, s11, -13
	v_mov_b32_e32 v99, s10
	s_add_i32 s13, s11, -14
	s_set_gpr_idx_on s12, gpr_idx(SRC0)
	v_mov_b32_e32 v107, v34
	s_set_gpr_idx_off
	s_set_gpr_idx_on s13, gpr_idx(SRC0)
	v_mov_b32_e32 v106, v34
	s_set_gpr_idx_off
	ds_read2_b64 v[102:105], v99 offset1:1
	s_add_i32 s12, s11, -11
	s_add_i32 s13, s11, -12
	s_add_i32 s14, s11, -9
	s_add_i32 s15, s11, -10
	s_waitcnt lgkmcnt(0)
	v_fma_f64 v[96:97], v[106:107], v[102:103], v[96:97]
	s_set_gpr_idx_on s12, gpr_idx(SRC0)
	v_mov_b32_e32 v103, v34
	s_set_gpr_idx_off
	s_set_gpr_idx_on s13, gpr_idx(SRC0)
	v_mov_b32_e32 v102, v34
	s_set_gpr_idx_off
	s_add_i32 s12, s11, -7
	s_add_i32 s13, s11, -8
	v_fma_f64 v[96:97], v[102:103], v[104:105], v[96:97]
	s_set_gpr_idx_on s14, gpr_idx(SRC0)
	v_mov_b32_e32 v107, v34
	s_set_gpr_idx_off
	s_set_gpr_idx_on s15, gpr_idx(SRC0)
	v_mov_b32_e32 v106, v34
	s_set_gpr_idx_off
	ds_read2_b64 v[102:105], v99 offset0:2 offset1:3
	s_add_i32 s14, s11, -5
	s_add_i32 s15, s11, -6
	s_waitcnt lgkmcnt(0)
	v_fma_f64 v[96:97], v[106:107], v[102:103], v[96:97]
	s_set_gpr_idx_on s12, gpr_idx(SRC0)
	v_mov_b32_e32 v103, v34
	s_set_gpr_idx_off
	s_set_gpr_idx_on s13, gpr_idx(SRC0)
	v_mov_b32_e32 v102, v34
	s_set_gpr_idx_off
	s_add_i32 s12, s11, -3
	s_add_i32 s13, s11, -4
	v_fma_f64 v[96:97], v[102:103], v[104:105], v[96:97]
	s_set_gpr_idx_on s14, gpr_idx(SRC0)
	v_mov_b32_e32 v107, v34
	s_set_gpr_idx_off
	s_set_gpr_idx_on s15, gpr_idx(SRC0)
	v_mov_b32_e32 v106, v34
	s_set_gpr_idx_off
	ds_read2_b64 v[102:105], v99 offset0:4 offset1:5
	s_add_i32 s14, s11, -1
	s_add_i32 s15, s11, -2
	s_add_u32 s6, s6, 8
	s_addc_u32 s7, s7, 0
	s_waitcnt lgkmcnt(0)
	v_fma_f64 v[96:97], v[106:107], v[102:103], v[96:97]
	s_set_gpr_idx_on s12, gpr_idx(SRC0)
	v_mov_b32_e32 v103, v34
	s_set_gpr_idx_off
	s_set_gpr_idx_on s13, gpr_idx(SRC0)
	v_mov_b32_e32 v102, v34
	s_set_gpr_idx_off
	s_add_i32 s10, s10, 64
	v_fma_f64 v[96:97], v[102:103], v[104:105], v[96:97]
	s_set_gpr_idx_on s14, gpr_idx(SRC0)
	v_mov_b32_e32 v107, v34
	s_set_gpr_idx_off
	s_set_gpr_idx_on s15, gpr_idx(SRC0)
	v_mov_b32_e32 v106, v34
	s_set_gpr_idx_off
	ds_read2_b64 v[102:105], v99 offset0:6 offset1:7
	v_add_u32_e32 v99, s6, v101
	v_cmp_eq_u32_e32 vcc, 12, v99
	s_waitcnt lgkmcnt(0)
	v_fma_f64 v[96:97], v[106:107], v[102:103], v[96:97]
	s_set_gpr_idx_on s11, gpr_idx(SRC0)
	v_mov_b32_e32 v103, v35
	v_mov_b32_e32 v102, v34
	s_set_gpr_idx_off
	s_add_i32 s11, s6, -7
	s_or_b64 s[8:9], vcc, s[8:9]
	v_mov_b32_e32 v99, s11
	v_fma_f64 v[96:97], v[102:103], v[104:105], v[96:97]
	s_andn2_b64 exec, exec, s[8:9]
	s_cbranch_execnz .LBB78_137
; %bb.138:
	s_or_b64 exec, exec, s[8:9]
.LBB78_139:
	s_or_b64 exec, exec, s[2:3]
	v_and_b32_e32 v64, 7, v100
	v_cmp_ne_u32_e32 vcc, 0, v64
	s_and_saveexec_b64 s[6:7], vcc
	s_cbranch_execz .LBB78_143
; %bb.140:
	v_mov_b32_e32 v65, 0x80
	v_lshl_add_u32 v65, v99, 3, v65
	v_mov_b32_e32 v100, 0
	s_mov_b64 s[8:9], 0
.LBB78_141:                             ; =>This Inner Loop Header: Depth=1
	v_cmp_eq_u32_e32 vcc, 1, v99
	v_cndmask_b32_e32 v103, v35, v37, vcc
	v_cmp_eq_u32_e64 s[2:3], 2, v99
	v_cndmask_b32_e64 v103, v103, v39, s[2:3]
	v_cndmask_b32_e32 v104, v34, v36, vcc
	v_cmp_eq_u32_e32 vcc, 3, v99
	v_cndmask_b32_e32 v103, v103, v41, vcc
	v_cndmask_b32_e64 v104, v104, v38, s[2:3]
	v_cmp_eq_u32_e64 s[2:3], 4, v99
	v_cndmask_b32_e64 v103, v103, v43, s[2:3]
	v_cndmask_b32_e32 v104, v104, v40, vcc
	v_cmp_eq_u32_e32 vcc, 5, v99
	v_cndmask_b32_e32 v103, v103, v45, vcc
	v_cndmask_b32_e64 v104, v104, v42, s[2:3]
	;; [unrolled: 6-line block ×4, first 2 shown]
	v_cmp_eq_u32_e64 s[2:3], 10, v99
	v_cndmask_b32_e64 v103, v103, v55, s[2:3]
	v_cndmask_b32_e32 v104, v104, v52, vcc
	v_cmp_eq_u32_e32 vcc, 11, v99
	ds_read_b64 v[101:102], v65
	v_cndmask_b32_e32 v103, v103, v57, vcc
	v_cndmask_b32_e64 v104, v104, v54, s[2:3]
	v_cmp_eq_u32_e64 s[2:3], 12, v99
	v_cndmask_b32_e64 v103, v103, v59, s[2:3]
	v_cndmask_b32_e32 v104, v104, v56, vcc
	v_cmp_eq_u32_e32 vcc, 13, v99
	v_cndmask_b32_e32 v103, v103, v61, vcc
	v_cndmask_b32_e64 v105, v104, v58, s[2:3]
	v_cmp_eq_u32_e64 s[2:3], 14, v99
	v_cndmask_b32_e64 v104, v103, v63, s[2:3]
	v_cndmask_b32_e32 v103, v105, v60, vcc
	v_cndmask_b32_e64 v103, v103, v62, s[2:3]
	s_waitcnt lgkmcnt(0)
	v_fma_f64 v[96:97], v[103:104], v[101:102], v[96:97]
	v_add_u32_e32 v64, -1, v64
	v_cmp_eq_u32_e32 vcc, 0, v64
	s_or_b64 s[8:9], vcc, s[8:9]
	v_add_co_u32_e32 v99, vcc, 1, v99
	v_add_u32_e32 v65, 8, v65
	v_addc_co_u32_e32 v100, vcc, 0, v100, vcc
	s_andn2_b64 exec, exec, s[8:9]
	s_cbranch_execnz .LBB78_141
; %bb.142:
	s_or_b64 exec, exec, s[8:9]
.LBB78_143:
	s_or_b64 exec, exec, s[6:7]
.LBB78_144:
	s_or_b64 exec, exec, s[4:5]
	v_mov_b32_e32 v42, 0
	ds_read_b64 v[42:43], v42 offset:32
	s_waitcnt lgkmcnt(0)
	v_mul_f64 v[42:43], v[96:97], v[42:43]
.LBB78_145:
	s_or_b64 exec, exec, s[34:35]
	v_cmp_lt_u32_e64 s[2:3], 3, v0
	ds_write_b64 v98, v[40:41]
	s_waitcnt lgkmcnt(0)
	; wave barrier
	s_and_saveexec_b64 s[34:35], s[2:3]
	s_cbranch_execz .LBB78_161
; %bb.146:
	s_andn2_b64 vcc, exec, s[30:31]
	s_cbranch_vccnz .LBB78_148
; %bb.147:
	v_cmp_eq_u32_e32 vcc, 1, v0
	v_cndmask_b32_e32 v96, v35, v37, vcc
	v_cmp_eq_u32_e64 s[4:5], 2, v0
	v_cndmask_b32_e64 v96, v96, v39, s[4:5]
	v_cmp_eq_u32_e64 s[6:7], 3, v0
	v_cndmask_b32_e64 v96, v96, v41, s[6:7]
	;; [unrolled: 2-line block ×13, first 2 shown]
	v_cndmask_b32_e32 v96, v34, v36, vcc
	v_cndmask_b32_e64 v96, v96, v38, s[4:5]
	v_cndmask_b32_e64 v96, v96, v40, s[6:7]
	;; [unrolled: 1-line block ×9, first 2 shown]
	ds_read_b64 v[99:100], v98
	v_cndmask_b32_e64 v96, v96, v56, s[22:23]
	v_cndmask_b32_e64 v96, v96, v58, s[24:25]
	;; [unrolled: 1-line block ×4, first 2 shown]
	s_waitcnt lgkmcnt(0)
	v_mul_f64 v[96:97], v[96:97], v[99:100]
	s_cbranch_execz .LBB78_149
	s_branch .LBB78_150
.LBB78_148:
                                        ; implicit-def: $vgpr96_vgpr97
.LBB78_149:
	ds_read_b64 v[96:97], v98
.LBB78_150:
	s_and_saveexec_b64 s[4:5], s[0:1]
	s_cbranch_execz .LBB78_160
; %bb.151:
	v_add_u32_e32 v99, -5, v0
	v_add_u32_e32 v100, -4, v0
	v_cmp_lt_u32_e32 vcc, 6, v99
	v_mov_b32_e32 v99, 4
	s_and_saveexec_b64 s[0:1], vcc
	s_cbranch_execz .LBB78_155
; %bb.152:
	v_and_b32_e32 v99, -8, v100
	v_sub_u32_e32 v101, 0, v99
	s_mov_b64 s[6:7], 5
	s_movk_i32 s10, 0xa0
	s_mov_b64 s[8:9], 0
.LBB78_153:                             ; =>This Inner Loop Header: Depth=1
	s_lshl_b32 s11, s6, 1
	s_add_i32 s12, s11, -1
	v_mov_b32_e32 v99, s10
	s_add_i32 s13, s11, -2
	s_set_gpr_idx_on s12, gpr_idx(SRC0)
	v_mov_b32_e32 v111, v34
	s_set_gpr_idx_off
	s_set_gpr_idx_on s13, gpr_idx(SRC0)
	v_mov_b32_e32 v110, v34
	s_set_gpr_idx_off
	ds_read_b128 v[102:105], v99
	ds_read_b128 v[106:109], v99 offset:16
	s_add_i32 s12, s11, 3
	s_add_i32 s13, s11, 2
	s_waitcnt lgkmcnt(1)
	v_fma_f64 v[96:97], v[110:111], v[102:103], v[96:97]
	ds_read_b128 v[110:113], v99 offset:32
	ds_read_b128 v[114:117], v99 offset:48
	s_set_gpr_idx_on s11, gpr_idx(SRC0)
	v_mov_b32_e32 v103, v35
	v_mov_b32_e32 v102, v34
	s_set_gpr_idx_off
	v_fma_f64 v[96:97], v[102:103], v[104:105], v[96:97]
	s_set_gpr_idx_on s12, gpr_idx(SRC0)
	v_mov_b32_e32 v103, v34
	s_set_gpr_idx_off
	s_set_gpr_idx_on s13, gpr_idx(SRC0)
	v_mov_b32_e32 v102, v34
	s_set_gpr_idx_off
	s_add_i32 s12, s11, 5
	s_add_i32 s13, s11, 4
	s_waitcnt lgkmcnt(2)
	v_fma_f64 v[96:97], v[102:103], v[106:107], v[96:97]
	s_set_gpr_idx_on s12, gpr_idx(SRC0)
	v_mov_b32_e32 v103, v34
	s_set_gpr_idx_off
	s_set_gpr_idx_on s13, gpr_idx(SRC0)
	v_mov_b32_e32 v102, v34
	s_set_gpr_idx_off
	s_add_i32 s12, s11, 7
	s_add_i32 s13, s11, 6
	v_fma_f64 v[96:97], v[102:103], v[108:109], v[96:97]
	s_set_gpr_idx_on s12, gpr_idx(SRC0)
	v_mov_b32_e32 v103, v34
	s_set_gpr_idx_off
	s_set_gpr_idx_on s13, gpr_idx(SRC0)
	v_mov_b32_e32 v102, v34
	s_set_gpr_idx_off
	s_add_i32 s12, s11, 9
	s_add_i32 s13, s11, 8
	s_waitcnt lgkmcnt(1)
	v_fma_f64 v[96:97], v[102:103], v[110:111], v[96:97]
	s_set_gpr_idx_on s12, gpr_idx(SRC0)
	v_mov_b32_e32 v103, v34
	s_set_gpr_idx_off
	s_set_gpr_idx_on s13, gpr_idx(SRC0)
	v_mov_b32_e32 v102, v34
	s_set_gpr_idx_off
	s_add_i32 s12, s11, 11
	s_add_i32 s13, s11, 10
	v_fma_f64 v[96:97], v[102:103], v[112:113], v[96:97]
	s_set_gpr_idx_on s12, gpr_idx(SRC0)
	v_mov_b32_e32 v103, v34
	s_set_gpr_idx_off
	s_set_gpr_idx_on s13, gpr_idx(SRC0)
	v_mov_b32_e32 v102, v34
	s_set_gpr_idx_off
	s_add_i32 s12, s11, 13
	s_add_i32 s11, s11, 12
	s_add_u32 s6, s6, 8
	v_add_u32_e32 v99, s6, v101
	s_addc_u32 s7, s7, 0
	s_waitcnt lgkmcnt(0)
	v_fma_f64 v[96:97], v[102:103], v[114:115], v[96:97]
	s_set_gpr_idx_on s12, gpr_idx(SRC0)
	v_mov_b32_e32 v103, v34
	s_set_gpr_idx_off
	s_set_gpr_idx_on s11, gpr_idx(SRC0)
	v_mov_b32_e32 v102, v34
	s_set_gpr_idx_off
	s_add_i32 s10, s10, 64
	s_add_i32 s11, s6, -1
	v_cmp_eq_u32_e32 vcc, 5, v99
	s_or_b64 s[8:9], vcc, s[8:9]
	v_mov_b32_e32 v99, s11
	v_fma_f64 v[96:97], v[102:103], v[116:117], v[96:97]
	s_andn2_b64 exec, exec, s[8:9]
	s_cbranch_execnz .LBB78_153
; %bb.154:
	s_or_b64 exec, exec, s[8:9]
.LBB78_155:
	s_or_b64 exec, exec, s[0:1]
	v_and_b32_e32 v64, 7, v100
	v_cmp_ne_u32_e32 vcc, 0, v64
	s_and_saveexec_b64 s[6:7], vcc
	s_cbranch_execz .LBB78_159
; %bb.156:
	v_mov_b32_e32 v65, 0x80
	v_lshl_add_u32 v65, v99, 3, v65
	v_mov_b32_e32 v100, 0
	s_mov_b64 s[8:9], 0
.LBB78_157:                             ; =>This Inner Loop Header: Depth=1
	v_cmp_eq_u32_e32 vcc, 1, v99
	v_cndmask_b32_e32 v103, v35, v37, vcc
	v_cmp_eq_u32_e64 s[0:1], 2, v99
	v_cndmask_b32_e64 v103, v103, v39, s[0:1]
	v_cndmask_b32_e32 v104, v34, v36, vcc
	v_cmp_eq_u32_e32 vcc, 3, v99
	v_cndmask_b32_e32 v103, v103, v41, vcc
	v_cndmask_b32_e64 v104, v104, v38, s[0:1]
	v_cmp_eq_u32_e64 s[0:1], 4, v99
	v_cndmask_b32_e64 v103, v103, v43, s[0:1]
	v_cndmask_b32_e32 v104, v104, v40, vcc
	v_cmp_eq_u32_e32 vcc, 5, v99
	v_cndmask_b32_e32 v103, v103, v45, vcc
	v_cndmask_b32_e64 v104, v104, v42, s[0:1]
	;; [unrolled: 6-line block ×4, first 2 shown]
	v_cmp_eq_u32_e64 s[0:1], 10, v99
	v_cndmask_b32_e64 v103, v103, v55, s[0:1]
	v_cndmask_b32_e32 v104, v104, v52, vcc
	v_cmp_eq_u32_e32 vcc, 11, v99
	ds_read_b64 v[101:102], v65
	v_cndmask_b32_e32 v103, v103, v57, vcc
	v_cndmask_b32_e64 v104, v104, v54, s[0:1]
	v_cmp_eq_u32_e64 s[0:1], 12, v99
	v_cndmask_b32_e64 v103, v103, v59, s[0:1]
	v_cndmask_b32_e32 v104, v104, v56, vcc
	v_cmp_eq_u32_e32 vcc, 13, v99
	v_cndmask_b32_e32 v103, v103, v61, vcc
	v_cndmask_b32_e64 v105, v104, v58, s[0:1]
	v_cmp_eq_u32_e64 s[0:1], 14, v99
	v_cndmask_b32_e64 v104, v103, v63, s[0:1]
	v_cndmask_b32_e32 v103, v105, v60, vcc
	v_cndmask_b32_e64 v103, v103, v62, s[0:1]
	s_waitcnt lgkmcnt(0)
	v_fma_f64 v[96:97], v[103:104], v[101:102], v[96:97]
	v_add_u32_e32 v64, -1, v64
	v_cmp_eq_u32_e32 vcc, 0, v64
	s_or_b64 s[8:9], vcc, s[8:9]
	v_add_co_u32_e32 v99, vcc, 1, v99
	v_add_u32_e32 v65, 8, v65
	v_addc_co_u32_e32 v100, vcc, 0, v100, vcc
	s_andn2_b64 exec, exec, s[8:9]
	s_cbranch_execnz .LBB78_157
; %bb.158:
	s_or_b64 exec, exec, s[8:9]
.LBB78_159:
	s_or_b64 exec, exec, s[6:7]
.LBB78_160:
	s_or_b64 exec, exec, s[4:5]
	v_mov_b32_e32 v40, 0
	ds_read_b64 v[40:41], v40 offset:24
	s_waitcnt lgkmcnt(0)
	v_mul_f64 v[40:41], v[96:97], v[40:41]
.LBB78_161:
	s_or_b64 exec, exec, s[34:35]
	v_cmp_lt_u32_e64 s[0:1], 2, v0
	ds_write_b64 v98, v[38:39]
	s_waitcnt lgkmcnt(0)
	; wave barrier
	s_and_saveexec_b64 s[34:35], s[0:1]
	s_cbranch_execz .LBB78_177
; %bb.162:
	s_andn2_b64 vcc, exec, s[30:31]
	s_cbranch_vccnz .LBB78_164
; %bb.163:
	v_cmp_eq_u32_e32 vcc, 1, v0
	v_cndmask_b32_e32 v96, v35, v37, vcc
	v_cmp_eq_u32_e64 s[4:5], 2, v0
	v_cndmask_b32_e64 v96, v96, v39, s[4:5]
	v_cmp_eq_u32_e64 s[6:7], 3, v0
	v_cndmask_b32_e64 v96, v96, v41, s[6:7]
	;; [unrolled: 2-line block ×13, first 2 shown]
	v_cndmask_b32_e32 v96, v34, v36, vcc
	v_cndmask_b32_e64 v96, v96, v38, s[4:5]
	v_cndmask_b32_e64 v96, v96, v40, s[6:7]
	;; [unrolled: 1-line block ×9, first 2 shown]
	ds_read_b64 v[99:100], v98
	v_cndmask_b32_e64 v96, v96, v56, s[22:23]
	v_cndmask_b32_e64 v96, v96, v58, s[24:25]
	;; [unrolled: 1-line block ×4, first 2 shown]
	s_waitcnt lgkmcnt(0)
	v_mul_f64 v[96:97], v[96:97], v[99:100]
	s_cbranch_execz .LBB78_165
	s_branch .LBB78_166
.LBB78_164:
                                        ; implicit-def: $vgpr96_vgpr97
.LBB78_165:
	ds_read_b64 v[96:97], v98
.LBB78_166:
	s_and_saveexec_b64 s[4:5], s[2:3]
	s_cbranch_execz .LBB78_176
; %bb.167:
	v_add_u32_e32 v99, -4, v0
	v_add_u32_e32 v100, -3, v0
	v_cmp_lt_u32_e32 vcc, 6, v99
	v_mov_b32_e32 v99, 3
	s_and_saveexec_b64 s[2:3], vcc
	s_cbranch_execz .LBB78_171
; %bb.168:
	v_and_b32_e32 v99, -8, v100
	v_sub_u32_e32 v101, 0, v99
	s_mov_b64 s[6:7], 10
	s_movk_i32 s10, 0x98
	s_mov_b64 s[8:9], 0
.LBB78_169:                             ; =>This Inner Loop Header: Depth=1
	s_lshl_b32 s11, s6, 1
	s_add_i32 s12, s11, -13
	v_mov_b32_e32 v99, s10
	s_add_i32 s13, s11, -14
	s_set_gpr_idx_on s12, gpr_idx(SRC0)
	v_mov_b32_e32 v107, v34
	s_set_gpr_idx_off
	s_set_gpr_idx_on s13, gpr_idx(SRC0)
	v_mov_b32_e32 v106, v34
	s_set_gpr_idx_off
	ds_read2_b64 v[102:105], v99 offset1:1
	s_add_i32 s12, s11, -11
	s_add_i32 s13, s11, -12
	;; [unrolled: 1-line block ×4, first 2 shown]
	s_waitcnt lgkmcnt(0)
	v_fma_f64 v[96:97], v[106:107], v[102:103], v[96:97]
	s_set_gpr_idx_on s12, gpr_idx(SRC0)
	v_mov_b32_e32 v103, v34
	s_set_gpr_idx_off
	s_set_gpr_idx_on s13, gpr_idx(SRC0)
	v_mov_b32_e32 v102, v34
	s_set_gpr_idx_off
	s_add_i32 s12, s11, -7
	s_add_i32 s13, s11, -8
	v_fma_f64 v[96:97], v[102:103], v[104:105], v[96:97]
	s_set_gpr_idx_on s14, gpr_idx(SRC0)
	v_mov_b32_e32 v107, v34
	s_set_gpr_idx_off
	s_set_gpr_idx_on s15, gpr_idx(SRC0)
	v_mov_b32_e32 v106, v34
	s_set_gpr_idx_off
	ds_read2_b64 v[102:105], v99 offset0:2 offset1:3
	s_add_i32 s14, s11, -5
	s_add_i32 s15, s11, -6
	s_waitcnt lgkmcnt(0)
	v_fma_f64 v[96:97], v[106:107], v[102:103], v[96:97]
	s_set_gpr_idx_on s12, gpr_idx(SRC0)
	v_mov_b32_e32 v103, v34
	s_set_gpr_idx_off
	s_set_gpr_idx_on s13, gpr_idx(SRC0)
	v_mov_b32_e32 v102, v34
	s_set_gpr_idx_off
	s_add_i32 s12, s11, -3
	s_add_i32 s13, s11, -4
	v_fma_f64 v[96:97], v[102:103], v[104:105], v[96:97]
	s_set_gpr_idx_on s14, gpr_idx(SRC0)
	v_mov_b32_e32 v107, v34
	s_set_gpr_idx_off
	s_set_gpr_idx_on s15, gpr_idx(SRC0)
	v_mov_b32_e32 v106, v34
	s_set_gpr_idx_off
	ds_read2_b64 v[102:105], v99 offset0:4 offset1:5
	s_add_i32 s14, s11, -1
	s_add_i32 s15, s11, -2
	s_add_u32 s6, s6, 8
	s_addc_u32 s7, s7, 0
	s_waitcnt lgkmcnt(0)
	v_fma_f64 v[96:97], v[106:107], v[102:103], v[96:97]
	s_set_gpr_idx_on s12, gpr_idx(SRC0)
	v_mov_b32_e32 v103, v34
	s_set_gpr_idx_off
	s_set_gpr_idx_on s13, gpr_idx(SRC0)
	v_mov_b32_e32 v102, v34
	s_set_gpr_idx_off
	s_add_i32 s10, s10, 64
	v_fma_f64 v[96:97], v[102:103], v[104:105], v[96:97]
	s_set_gpr_idx_on s14, gpr_idx(SRC0)
	v_mov_b32_e32 v107, v34
	s_set_gpr_idx_off
	s_set_gpr_idx_on s15, gpr_idx(SRC0)
	v_mov_b32_e32 v106, v34
	s_set_gpr_idx_off
	ds_read2_b64 v[102:105], v99 offset0:6 offset1:7
	v_add_u32_e32 v99, s6, v101
	v_cmp_eq_u32_e32 vcc, 10, v99
	s_waitcnt lgkmcnt(0)
	v_fma_f64 v[96:97], v[106:107], v[102:103], v[96:97]
	s_set_gpr_idx_on s11, gpr_idx(SRC0)
	v_mov_b32_e32 v103, v35
	v_mov_b32_e32 v102, v34
	s_set_gpr_idx_off
	s_add_i32 s11, s6, -7
	s_or_b64 s[8:9], vcc, s[8:9]
	v_mov_b32_e32 v99, s11
	v_fma_f64 v[96:97], v[102:103], v[104:105], v[96:97]
	s_andn2_b64 exec, exec, s[8:9]
	s_cbranch_execnz .LBB78_169
; %bb.170:
	s_or_b64 exec, exec, s[8:9]
.LBB78_171:
	s_or_b64 exec, exec, s[2:3]
	v_and_b32_e32 v64, 7, v100
	v_cmp_ne_u32_e32 vcc, 0, v64
	s_and_saveexec_b64 s[6:7], vcc
	s_cbranch_execz .LBB78_175
; %bb.172:
	v_mov_b32_e32 v65, 0x80
	v_lshl_add_u32 v65, v99, 3, v65
	v_mov_b32_e32 v100, 0
	s_mov_b64 s[8:9], 0
.LBB78_173:                             ; =>This Inner Loop Header: Depth=1
	v_cmp_eq_u32_e32 vcc, 1, v99
	v_cndmask_b32_e32 v103, v35, v37, vcc
	v_cmp_eq_u32_e64 s[2:3], 2, v99
	v_cndmask_b32_e64 v103, v103, v39, s[2:3]
	v_cndmask_b32_e32 v104, v34, v36, vcc
	v_cmp_eq_u32_e32 vcc, 3, v99
	v_cndmask_b32_e32 v103, v103, v41, vcc
	v_cndmask_b32_e64 v104, v104, v38, s[2:3]
	v_cmp_eq_u32_e64 s[2:3], 4, v99
	v_cndmask_b32_e64 v103, v103, v43, s[2:3]
	v_cndmask_b32_e32 v104, v104, v40, vcc
	v_cmp_eq_u32_e32 vcc, 5, v99
	v_cndmask_b32_e32 v103, v103, v45, vcc
	v_cndmask_b32_e64 v104, v104, v42, s[2:3]
	;; [unrolled: 6-line block ×4, first 2 shown]
	v_cmp_eq_u32_e64 s[2:3], 10, v99
	v_cndmask_b32_e64 v103, v103, v55, s[2:3]
	v_cndmask_b32_e32 v104, v104, v52, vcc
	v_cmp_eq_u32_e32 vcc, 11, v99
	ds_read_b64 v[101:102], v65
	v_cndmask_b32_e32 v103, v103, v57, vcc
	v_cndmask_b32_e64 v104, v104, v54, s[2:3]
	v_cmp_eq_u32_e64 s[2:3], 12, v99
	v_cndmask_b32_e64 v103, v103, v59, s[2:3]
	v_cndmask_b32_e32 v104, v104, v56, vcc
	v_cmp_eq_u32_e32 vcc, 13, v99
	v_cndmask_b32_e32 v103, v103, v61, vcc
	v_cndmask_b32_e64 v105, v104, v58, s[2:3]
	v_cmp_eq_u32_e64 s[2:3], 14, v99
	v_cndmask_b32_e64 v104, v103, v63, s[2:3]
	v_cndmask_b32_e32 v103, v105, v60, vcc
	v_cndmask_b32_e64 v103, v103, v62, s[2:3]
	s_waitcnt lgkmcnt(0)
	v_fma_f64 v[96:97], v[103:104], v[101:102], v[96:97]
	v_add_u32_e32 v64, -1, v64
	v_cmp_eq_u32_e32 vcc, 0, v64
	s_or_b64 s[8:9], vcc, s[8:9]
	v_add_co_u32_e32 v99, vcc, 1, v99
	v_add_u32_e32 v65, 8, v65
	v_addc_co_u32_e32 v100, vcc, 0, v100, vcc
	s_andn2_b64 exec, exec, s[8:9]
	s_cbranch_execnz .LBB78_173
; %bb.174:
	s_or_b64 exec, exec, s[8:9]
.LBB78_175:
	s_or_b64 exec, exec, s[6:7]
.LBB78_176:
	s_or_b64 exec, exec, s[4:5]
	v_mov_b32_e32 v38, 0
	ds_read_b64 v[38:39], v38 offset:16
	s_waitcnt lgkmcnt(0)
	v_mul_f64 v[38:39], v[96:97], v[38:39]
.LBB78_177:
	s_or_b64 exec, exec, s[34:35]
	v_cmp_lt_u32_e64 s[2:3], 1, v0
	ds_write_b64 v98, v[36:37]
	s_waitcnt lgkmcnt(0)
	; wave barrier
	s_and_saveexec_b64 s[34:35], s[2:3]
	s_cbranch_execz .LBB78_193
; %bb.178:
	s_andn2_b64 vcc, exec, s[30:31]
	s_cbranch_vccnz .LBB78_180
; %bb.179:
	v_cmp_eq_u32_e32 vcc, 1, v0
	v_cndmask_b32_e32 v96, v35, v37, vcc
	v_cmp_eq_u32_e64 s[4:5], 2, v0
	v_cndmask_b32_e64 v96, v96, v39, s[4:5]
	v_cmp_eq_u32_e64 s[6:7], 3, v0
	v_cndmask_b32_e64 v96, v96, v41, s[6:7]
	;; [unrolled: 2-line block ×13, first 2 shown]
	v_cndmask_b32_e32 v96, v34, v36, vcc
	v_cndmask_b32_e64 v96, v96, v38, s[4:5]
	v_cndmask_b32_e64 v96, v96, v40, s[6:7]
	v_cndmask_b32_e64 v96, v96, v42, s[8:9]
	v_cndmask_b32_e64 v96, v96, v44, s[10:11]
	v_cndmask_b32_e64 v96, v96, v46, s[12:13]
	v_cndmask_b32_e64 v96, v96, v48, s[14:15]
	v_cndmask_b32_e64 v96, v96, v50, s[16:17]
	v_cndmask_b32_e64 v96, v96, v52, s[18:19]
	v_cndmask_b32_e64 v96, v96, v54, s[20:21]
	ds_read_b64 v[99:100], v98
	v_cndmask_b32_e64 v96, v96, v56, s[22:23]
	v_cndmask_b32_e64 v96, v96, v58, s[24:25]
	;; [unrolled: 1-line block ×4, first 2 shown]
	s_waitcnt lgkmcnt(0)
	v_mul_f64 v[96:97], v[96:97], v[99:100]
	s_cbranch_execz .LBB78_181
	s_branch .LBB78_182
.LBB78_180:
                                        ; implicit-def: $vgpr96_vgpr97
.LBB78_181:
	ds_read_b64 v[96:97], v98
.LBB78_182:
	s_and_saveexec_b64 s[4:5], s[0:1]
	s_cbranch_execz .LBB78_192
; %bb.183:
	v_add_u32_e32 v99, -3, v0
	v_add_u32_e32 v100, -2, v0
	v_cmp_lt_u32_e32 vcc, 6, v99
	v_mov_b32_e32 v99, 2
	s_and_saveexec_b64 s[0:1], vcc
	s_cbranch_execz .LBB78_187
; %bb.184:
	v_and_b32_e32 v99, -8, v100
	v_sub_u32_e32 v101, 0, v99
	s_mov_b64 s[6:7], 9
	s_movk_i32 s10, 0x90
	s_mov_b64 s[8:9], 0
.LBB78_185:                             ; =>This Inner Loop Header: Depth=1
	s_lshl_b32 s11, s6, 1
	s_add_i32 s12, s11, -13
	v_mov_b32_e32 v99, s10
	s_add_i32 s13, s11, -14
	s_set_gpr_idx_on s12, gpr_idx(SRC0)
	v_mov_b32_e32 v111, v34
	s_set_gpr_idx_off
	s_set_gpr_idx_on s13, gpr_idx(SRC0)
	v_mov_b32_e32 v110, v34
	s_set_gpr_idx_off
	ds_read_b128 v[102:105], v99
	ds_read_b128 v[106:109], v99 offset:16
	s_add_i32 s12, s11, -11
	s_add_i32 s13, s11, -12
	s_waitcnt lgkmcnt(1)
	v_fma_f64 v[96:97], v[110:111], v[102:103], v[96:97]
	ds_read_b128 v[110:113], v99 offset:32
	ds_read_b128 v[114:117], v99 offset:48
	s_set_gpr_idx_on s12, gpr_idx(SRC0)
	v_mov_b32_e32 v103, v34
	s_set_gpr_idx_off
	s_set_gpr_idx_on s13, gpr_idx(SRC0)
	v_mov_b32_e32 v102, v34
	s_set_gpr_idx_off
	s_add_i32 s12, s11, -9
	s_add_i32 s13, s11, -10
	v_fma_f64 v[96:97], v[102:103], v[104:105], v[96:97]
	s_set_gpr_idx_on s12, gpr_idx(SRC0)
	v_mov_b32_e32 v103, v34
	s_set_gpr_idx_off
	s_set_gpr_idx_on s13, gpr_idx(SRC0)
	v_mov_b32_e32 v102, v34
	s_set_gpr_idx_off
	s_add_i32 s12, s11, -7
	s_add_i32 s13, s11, -8
	s_waitcnt lgkmcnt(2)
	v_fma_f64 v[96:97], v[102:103], v[106:107], v[96:97]
	s_set_gpr_idx_on s12, gpr_idx(SRC0)
	v_mov_b32_e32 v103, v34
	s_set_gpr_idx_off
	s_set_gpr_idx_on s13, gpr_idx(SRC0)
	v_mov_b32_e32 v102, v34
	s_set_gpr_idx_off
	s_add_i32 s12, s11, -5
	s_add_i32 s13, s11, -6
	v_fma_f64 v[96:97], v[102:103], v[108:109], v[96:97]
	s_set_gpr_idx_on s12, gpr_idx(SRC0)
	v_mov_b32_e32 v103, v34
	s_set_gpr_idx_off
	s_set_gpr_idx_on s13, gpr_idx(SRC0)
	v_mov_b32_e32 v102, v34
	s_set_gpr_idx_off
	s_add_i32 s12, s11, -3
	s_add_i32 s13, s11, -4
	s_waitcnt lgkmcnt(1)
	v_fma_f64 v[96:97], v[102:103], v[110:111], v[96:97]
	s_set_gpr_idx_on s12, gpr_idx(SRC0)
	v_mov_b32_e32 v103, v34
	s_set_gpr_idx_off
	s_set_gpr_idx_on s13, gpr_idx(SRC0)
	v_mov_b32_e32 v102, v34
	s_set_gpr_idx_off
	s_add_i32 s12, s11, -1
	s_add_i32 s13, s11, -2
	s_add_u32 s6, s6, 8
	v_add_u32_e32 v99, s6, v101
	s_addc_u32 s7, s7, 0
	v_fma_f64 v[96:97], v[102:103], v[112:113], v[96:97]
	s_set_gpr_idx_on s12, gpr_idx(SRC0)
	v_mov_b32_e32 v103, v34
	s_set_gpr_idx_off
	s_set_gpr_idx_on s13, gpr_idx(SRC0)
	v_mov_b32_e32 v102, v34
	s_set_gpr_idx_off
	s_add_i32 s10, s10, 64
	v_cmp_eq_u32_e32 vcc, 9, v99
	s_waitcnt lgkmcnt(0)
	v_fma_f64 v[96:97], v[102:103], v[114:115], v[96:97]
	s_set_gpr_idx_on s11, gpr_idx(SRC0)
	v_mov_b32_e32 v103, v35
	v_mov_b32_e32 v102, v34
	s_set_gpr_idx_off
	s_add_i32 s11, s6, -7
	s_or_b64 s[8:9], vcc, s[8:9]
	v_mov_b32_e32 v99, s11
	v_fma_f64 v[96:97], v[102:103], v[116:117], v[96:97]
	s_andn2_b64 exec, exec, s[8:9]
	s_cbranch_execnz .LBB78_185
; %bb.186:
	s_or_b64 exec, exec, s[8:9]
.LBB78_187:
	s_or_b64 exec, exec, s[0:1]
	v_and_b32_e32 v64, 7, v100
	v_cmp_ne_u32_e32 vcc, 0, v64
	s_and_saveexec_b64 s[6:7], vcc
	s_cbranch_execz .LBB78_191
; %bb.188:
	v_mov_b32_e32 v65, 0x80
	v_lshl_add_u32 v65, v99, 3, v65
	v_mov_b32_e32 v100, 0
	s_mov_b64 s[8:9], 0
.LBB78_189:                             ; =>This Inner Loop Header: Depth=1
	v_cmp_eq_u32_e32 vcc, 1, v99
	v_cndmask_b32_e32 v103, v35, v37, vcc
	v_cmp_eq_u32_e64 s[0:1], 2, v99
	v_cndmask_b32_e64 v103, v103, v39, s[0:1]
	v_cndmask_b32_e32 v104, v34, v36, vcc
	v_cmp_eq_u32_e32 vcc, 3, v99
	v_cndmask_b32_e32 v103, v103, v41, vcc
	v_cndmask_b32_e64 v104, v104, v38, s[0:1]
	v_cmp_eq_u32_e64 s[0:1], 4, v99
	v_cndmask_b32_e64 v103, v103, v43, s[0:1]
	v_cndmask_b32_e32 v104, v104, v40, vcc
	v_cmp_eq_u32_e32 vcc, 5, v99
	v_cndmask_b32_e32 v103, v103, v45, vcc
	v_cndmask_b32_e64 v104, v104, v42, s[0:1]
	;; [unrolled: 6-line block ×4, first 2 shown]
	v_cmp_eq_u32_e64 s[0:1], 10, v99
	v_cndmask_b32_e64 v103, v103, v55, s[0:1]
	v_cndmask_b32_e32 v104, v104, v52, vcc
	v_cmp_eq_u32_e32 vcc, 11, v99
	ds_read_b64 v[101:102], v65
	v_cndmask_b32_e32 v103, v103, v57, vcc
	v_cndmask_b32_e64 v104, v104, v54, s[0:1]
	v_cmp_eq_u32_e64 s[0:1], 12, v99
	v_cndmask_b32_e64 v103, v103, v59, s[0:1]
	v_cndmask_b32_e32 v104, v104, v56, vcc
	v_cmp_eq_u32_e32 vcc, 13, v99
	v_cndmask_b32_e32 v103, v103, v61, vcc
	v_cndmask_b32_e64 v105, v104, v58, s[0:1]
	v_cmp_eq_u32_e64 s[0:1], 14, v99
	v_cndmask_b32_e64 v104, v103, v63, s[0:1]
	v_cndmask_b32_e32 v103, v105, v60, vcc
	v_cndmask_b32_e64 v103, v103, v62, s[0:1]
	s_waitcnt lgkmcnt(0)
	v_fma_f64 v[96:97], v[103:104], v[101:102], v[96:97]
	v_add_u32_e32 v64, -1, v64
	v_cmp_eq_u32_e32 vcc, 0, v64
	s_or_b64 s[8:9], vcc, s[8:9]
	v_add_co_u32_e32 v99, vcc, 1, v99
	v_add_u32_e32 v65, 8, v65
	v_addc_co_u32_e32 v100, vcc, 0, v100, vcc
	s_andn2_b64 exec, exec, s[8:9]
	s_cbranch_execnz .LBB78_189
; %bb.190:
	s_or_b64 exec, exec, s[8:9]
.LBB78_191:
	s_or_b64 exec, exec, s[6:7]
.LBB78_192:
	s_or_b64 exec, exec, s[4:5]
	v_mov_b32_e32 v36, 0
	ds_read_b64 v[36:37], v36 offset:8
	s_waitcnt lgkmcnt(0)
	v_mul_f64 v[36:37], v[96:97], v[36:37]
.LBB78_193:
	s_or_b64 exec, exec, s[34:35]
	v_cmp_ne_u32_e32 vcc, 0, v0
	ds_write_b64 v98, v[34:35]
	s_waitcnt lgkmcnt(0)
	; wave barrier
	s_and_saveexec_b64 s[28:29], vcc
	s_cbranch_execz .LBB78_209
; %bb.194:
	s_andn2_b64 vcc, exec, s[30:31]
	s_cbranch_vccnz .LBB78_196
; %bb.195:
	v_cmp_eq_u32_e32 vcc, 1, v0
	v_cndmask_b32_e32 v96, v35, v37, vcc
	v_cmp_eq_u32_e64 s[0:1], 2, v0
	v_cndmask_b32_e64 v96, v96, v39, s[0:1]
	v_cmp_eq_u32_e64 s[4:5], 3, v0
	v_cndmask_b32_e64 v96, v96, v41, s[4:5]
	;; [unrolled: 2-line block ×13, first 2 shown]
	v_cndmask_b32_e32 v96, v34, v36, vcc
	v_cndmask_b32_e64 v96, v96, v38, s[0:1]
	v_cndmask_b32_e64 v96, v96, v40, s[4:5]
	;; [unrolled: 1-line block ×9, first 2 shown]
	ds_read_b64 v[99:100], v98
	v_cndmask_b32_e64 v96, v96, v56, s[20:21]
	v_cndmask_b32_e64 v96, v96, v58, s[22:23]
	;; [unrolled: 1-line block ×4, first 2 shown]
	s_waitcnt lgkmcnt(0)
	v_mul_f64 v[96:97], v[96:97], v[99:100]
	s_cbranch_execz .LBB78_197
	s_branch .LBB78_198
.LBB78_196:
                                        ; implicit-def: $vgpr96_vgpr97
.LBB78_197:
	ds_read_b64 v[96:97], v98
.LBB78_198:
	s_and_saveexec_b64 s[4:5], s[2:3]
	s_cbranch_execz .LBB78_208
; %bb.199:
	v_add_u32_e32 v99, -2, v0
	v_add_u32_e32 v100, -1, v0
	v_cmp_lt_u32_e32 vcc, 6, v99
	v_mov_b32_e32 v99, 1
	s_and_saveexec_b64 s[0:1], vcc
	s_cbranch_execz .LBB78_203
; %bb.200:
	v_and_b32_e32 v99, -8, v100
	v_sub_u32_e32 v101, 0, v99
	s_mov_b64 s[2:3], 8
	s_movk_i32 s8, 0x88
	s_mov_b64 s[6:7], 0
.LBB78_201:                             ; =>This Inner Loop Header: Depth=1
	s_lshl_b32 s9, s2, 1
	s_add_i32 s10, s9, -13
	v_mov_b32_e32 v99, s8
	s_add_i32 s11, s9, -14
	s_set_gpr_idx_on s10, gpr_idx(SRC0)
	v_mov_b32_e32 v107, v34
	s_set_gpr_idx_off
	s_set_gpr_idx_on s11, gpr_idx(SRC0)
	v_mov_b32_e32 v106, v34
	s_set_gpr_idx_off
	ds_read2_b64 v[102:105], v99 offset1:1
	s_add_i32 s10, s9, -11
	s_add_i32 s11, s9, -12
	s_add_i32 s12, s9, -9
	s_add_i32 s13, s9, -10
	s_waitcnt lgkmcnt(0)
	v_fma_f64 v[96:97], v[106:107], v[102:103], v[96:97]
	s_set_gpr_idx_on s10, gpr_idx(SRC0)
	v_mov_b32_e32 v103, v34
	s_set_gpr_idx_off
	s_set_gpr_idx_on s11, gpr_idx(SRC0)
	v_mov_b32_e32 v102, v34
	s_set_gpr_idx_off
	s_add_i32 s10, s9, -7
	s_add_i32 s11, s9, -8
	v_fma_f64 v[96:97], v[102:103], v[104:105], v[96:97]
	s_set_gpr_idx_on s12, gpr_idx(SRC0)
	v_mov_b32_e32 v107, v34
	s_set_gpr_idx_off
	s_set_gpr_idx_on s13, gpr_idx(SRC0)
	v_mov_b32_e32 v106, v34
	s_set_gpr_idx_off
	ds_read2_b64 v[102:105], v99 offset0:2 offset1:3
	s_add_i32 s12, s9, -5
	s_add_i32 s13, s9, -6
	s_waitcnt lgkmcnt(0)
	v_fma_f64 v[96:97], v[106:107], v[102:103], v[96:97]
	s_set_gpr_idx_on s10, gpr_idx(SRC0)
	v_mov_b32_e32 v103, v34
	s_set_gpr_idx_off
	s_set_gpr_idx_on s11, gpr_idx(SRC0)
	v_mov_b32_e32 v102, v34
	s_set_gpr_idx_off
	s_add_i32 s10, s9, -3
	s_add_i32 s11, s9, -4
	v_fma_f64 v[96:97], v[102:103], v[104:105], v[96:97]
	s_set_gpr_idx_on s12, gpr_idx(SRC0)
	v_mov_b32_e32 v107, v34
	s_set_gpr_idx_off
	s_set_gpr_idx_on s13, gpr_idx(SRC0)
	v_mov_b32_e32 v106, v34
	s_set_gpr_idx_off
	ds_read2_b64 v[102:105], v99 offset0:4 offset1:5
	s_add_i32 s12, s9, -1
	s_add_i32 s13, s9, -2
	s_add_u32 s2, s2, 8
	s_addc_u32 s3, s3, 0
	s_waitcnt lgkmcnt(0)
	v_fma_f64 v[96:97], v[106:107], v[102:103], v[96:97]
	s_set_gpr_idx_on s10, gpr_idx(SRC0)
	v_mov_b32_e32 v103, v34
	s_set_gpr_idx_off
	s_set_gpr_idx_on s11, gpr_idx(SRC0)
	v_mov_b32_e32 v102, v34
	s_set_gpr_idx_off
	s_add_i32 s8, s8, 64
	v_fma_f64 v[96:97], v[102:103], v[104:105], v[96:97]
	s_set_gpr_idx_on s12, gpr_idx(SRC0)
	v_mov_b32_e32 v107, v34
	s_set_gpr_idx_off
	s_set_gpr_idx_on s13, gpr_idx(SRC0)
	v_mov_b32_e32 v106, v34
	s_set_gpr_idx_off
	ds_read2_b64 v[102:105], v99 offset0:6 offset1:7
	v_add_u32_e32 v99, s2, v101
	v_cmp_eq_u32_e32 vcc, 8, v99
	s_waitcnt lgkmcnt(0)
	v_fma_f64 v[96:97], v[106:107], v[102:103], v[96:97]
	s_set_gpr_idx_on s9, gpr_idx(SRC0)
	v_mov_b32_e32 v103, v35
	v_mov_b32_e32 v102, v34
	s_set_gpr_idx_off
	s_add_i32 s9, s2, -7
	s_or_b64 s[6:7], vcc, s[6:7]
	v_mov_b32_e32 v99, s9
	v_fma_f64 v[96:97], v[102:103], v[104:105], v[96:97]
	s_andn2_b64 exec, exec, s[6:7]
	s_cbranch_execnz .LBB78_201
; %bb.202:
	s_or_b64 exec, exec, s[6:7]
.LBB78_203:
	s_or_b64 exec, exec, s[0:1]
	v_and_b32_e32 v64, 7, v100
	v_cmp_ne_u32_e32 vcc, 0, v64
	s_and_saveexec_b64 s[2:3], vcc
	s_cbranch_execz .LBB78_207
; %bb.204:
	v_mov_b32_e32 v65, 0x80
	v_lshl_add_u32 v65, v99, 3, v65
	v_mov_b32_e32 v100, 0
	s_mov_b64 s[6:7], 0
.LBB78_205:                             ; =>This Inner Loop Header: Depth=1
	v_cmp_eq_u32_e32 vcc, 1, v99
	v_cndmask_b32_e32 v103, v35, v37, vcc
	v_cmp_eq_u32_e64 s[0:1], 2, v99
	v_cndmask_b32_e64 v103, v103, v39, s[0:1]
	v_cndmask_b32_e32 v104, v34, v36, vcc
	v_cmp_eq_u32_e32 vcc, 3, v99
	v_cndmask_b32_e32 v103, v103, v41, vcc
	v_cndmask_b32_e64 v104, v104, v38, s[0:1]
	v_cmp_eq_u32_e64 s[0:1], 4, v99
	v_cndmask_b32_e64 v103, v103, v43, s[0:1]
	v_cndmask_b32_e32 v104, v104, v40, vcc
	v_cmp_eq_u32_e32 vcc, 5, v99
	v_cndmask_b32_e32 v103, v103, v45, vcc
	v_cndmask_b32_e64 v104, v104, v42, s[0:1]
	v_cmp_eq_u32_e64 s[0:1], 6, v99
	v_cndmask_b32_e64 v103, v103, v47, s[0:1]
	v_cndmask_b32_e32 v104, v104, v44, vcc
	v_cmp_eq_u32_e32 vcc, 7, v99
	v_cndmask_b32_e32 v103, v103, v49, vcc
	v_cndmask_b32_e64 v104, v104, v46, s[0:1]
	v_cmp_eq_u32_e64 s[0:1], 8, v99
	v_cndmask_b32_e64 v103, v103, v51, s[0:1]
	v_cndmask_b32_e32 v104, v104, v48, vcc
	v_cmp_eq_u32_e32 vcc, 9, v99
	v_cndmask_b32_e32 v103, v103, v53, vcc
	v_cndmask_b32_e64 v104, v104, v50, s[0:1]
	v_cmp_eq_u32_e64 s[0:1], 10, v99
	v_cndmask_b32_e64 v103, v103, v55, s[0:1]
	v_cndmask_b32_e32 v104, v104, v52, vcc
	v_cmp_eq_u32_e32 vcc, 11, v99
	ds_read_b64 v[101:102], v65
	v_cndmask_b32_e32 v103, v103, v57, vcc
	v_cndmask_b32_e64 v104, v104, v54, s[0:1]
	v_cmp_eq_u32_e64 s[0:1], 12, v99
	v_cndmask_b32_e64 v103, v103, v59, s[0:1]
	v_cndmask_b32_e32 v104, v104, v56, vcc
	v_cmp_eq_u32_e32 vcc, 13, v99
	v_cndmask_b32_e32 v103, v103, v61, vcc
	v_cndmask_b32_e64 v105, v104, v58, s[0:1]
	v_cmp_eq_u32_e64 s[0:1], 14, v99
	v_cndmask_b32_e64 v104, v103, v63, s[0:1]
	v_cndmask_b32_e32 v103, v105, v60, vcc
	v_cndmask_b32_e64 v103, v103, v62, s[0:1]
	s_waitcnt lgkmcnt(0)
	v_fma_f64 v[96:97], v[103:104], v[101:102], v[96:97]
	v_add_u32_e32 v64, -1, v64
	v_cmp_eq_u32_e32 vcc, 0, v64
	s_or_b64 s[6:7], vcc, s[6:7]
	v_add_co_u32_e32 v99, vcc, 1, v99
	v_add_u32_e32 v65, 8, v65
	v_addc_co_u32_e32 v100, vcc, 0, v100, vcc
	s_andn2_b64 exec, exec, s[6:7]
	s_cbranch_execnz .LBB78_205
; %bb.206:
	s_or_b64 exec, exec, s[6:7]
.LBB78_207:
	s_or_b64 exec, exec, s[2:3]
.LBB78_208:
	s_or_b64 exec, exec, s[4:5]
	v_mov_b32_e32 v34, 0
	ds_read_b64 v[34:35], v34
	s_waitcnt lgkmcnt(0)
	v_mul_f64 v[34:35], v[96:97], v[34:35]
.LBB78_209:
	s_or_b64 exec, exec, s[28:29]
	s_branch .LBB78_353
.LBB78_210:
	v_cmp_eq_u32_e64 s[2:3], 0, v0
	s_waitcnt vmcnt(0) lgkmcnt(0)
	ds_write_b64 v98, v[4:5]
	s_waitcnt lgkmcnt(0)
	; wave barrier
	s_and_saveexec_b64 s[28:29], s[2:3]
	s_cbranch_execz .LBB78_216
; %bb.211:
	s_and_b64 vcc, exec, s[30:31]
	s_cbranch_vccz .LBB78_213
; %bb.212:
	v_cmp_eq_u32_e32 vcc, 1, v0
	v_cndmask_b32_e32 v5, v3, v5, vcc
	v_cmp_eq_u32_e64 s[0:1], 2, v0
	v_cndmask_b32_e32 v4, v2, v4, vcc
	v_cndmask_b32_e64 v5, v5, v7, s[0:1]
	v_cmp_eq_u32_e64 s[4:5], 3, v0
	v_cndmask_b32_e64 v4, v4, v6, s[0:1]
	v_cndmask_b32_e64 v5, v5, v9, s[4:5]
	v_cmp_eq_u32_e64 s[6:7], 4, v0
	v_cndmask_b32_e64 v4, v4, v8, s[4:5]
	;; [unrolled: 3-line block ×9, first 2 shown]
	ds_read_b64 v[32:33], v98
	v_cndmask_b32_e64 v5, v5, v25, s[20:21]
	v_cmp_eq_u32_e64 s[22:23], 12, v0
	v_cndmask_b32_e64 v4, v4, v24, s[20:21]
	v_cndmask_b32_e64 v5, v5, v27, s[22:23]
	v_cmp_eq_u32_e64 s[24:25], 13, v0
	v_cndmask_b32_e64 v4, v4, v26, s[22:23]
	;; [unrolled: 3-line block ×3, first 2 shown]
	v_cndmask_b32_e64 v5, v5, v31, s[26:27]
	v_cndmask_b32_e64 v4, v4, v30, s[26:27]
	s_waitcnt lgkmcnt(0)
	v_mul_f64 v[4:5], v[4:5], v[32:33]
	s_cbranch_execz .LBB78_214
	s_branch .LBB78_215
.LBB78_213:
                                        ; implicit-def: $vgpr4_vgpr5
.LBB78_214:
	ds_read_b64 v[4:5], v98
.LBB78_215:
	v_mov_b32_e32 v32, 0
	ds_read_b64 v[32:33], v32 offset:8
	s_waitcnt lgkmcnt(0)
	v_mul_f64 v[4:5], v[4:5], v[32:33]
.LBB78_216:
	s_or_b64 exec, exec, s[28:29]
	v_cndmask_b32_e64 v34, 0, 1, s[30:31]
	v_cmp_gt_u32_e32 vcc, 2, v0
	v_cmp_ne_u32_e64 s[0:1], 1, v34
	ds_write_b64 v98, v[6:7]
	s_waitcnt lgkmcnt(0)
	; wave barrier
	s_and_saveexec_b64 s[30:31], vcc
	s_cbranch_execz .LBB78_222
; %bb.217:
	s_and_b64 vcc, exec, s[0:1]
	s_cbranch_vccnz .LBB78_219
; %bb.218:
	v_cmp_eq_u32_e32 vcc, 1, v0
	v_cndmask_b32_e32 v32, v3, v5, vcc
	v_cmp_eq_u32_e64 s[4:5], 2, v0
	v_cndmask_b32_e64 v7, v32, v7, s[4:5]
	v_cndmask_b32_e32 v32, v2, v4, vcc
	v_cmp_eq_u32_e64 s[6:7], 3, v0
	v_cndmask_b32_e64 v6, v32, v6, s[4:5]
	v_cndmask_b32_e64 v7, v7, v9, s[6:7]
	v_cmp_eq_u32_e64 s[8:9], 4, v0
	v_cndmask_b32_e64 v6, v6, v8, s[6:7]
	v_cndmask_b32_e64 v7, v7, v11, s[8:9]
	;; [unrolled: 3-line block ×8, first 2 shown]
	v_cmp_eq_u32_e64 s[22:23], 11, v0
	v_cndmask_b32_e64 v6, v6, v22, s[20:21]
	ds_read_b64 v[32:33], v98
	v_cndmask_b32_e64 v7, v7, v25, s[22:23]
	v_cmp_eq_u32_e64 s[24:25], 12, v0
	v_cndmask_b32_e64 v6, v6, v24, s[22:23]
	v_cndmask_b32_e64 v7, v7, v27, s[24:25]
	v_cmp_eq_u32_e64 s[26:27], 13, v0
	v_cndmask_b32_e64 v6, v6, v26, s[24:25]
	;; [unrolled: 3-line block ×3, first 2 shown]
	v_cndmask_b32_e64 v7, v7, v31, s[28:29]
	v_cndmask_b32_e64 v6, v6, v30, s[28:29]
	s_waitcnt lgkmcnt(0)
	v_mul_f64 v[6:7], v[6:7], v[32:33]
	s_cbranch_execz .LBB78_220
	s_branch .LBB78_221
.LBB78_219:
                                        ; implicit-def: $vgpr6_vgpr7
.LBB78_220:
	ds_read_b64 v[6:7], v98
.LBB78_221:
	v_mov_b32_e32 v32, 0
	ds_read2_b64 v[32:35], v32 offset0:2 offset1:17
	s_waitcnt lgkmcnt(0)
	v_fma_f64 v[34:35], v[4:5], v[34:35], v[6:7]
	v_cndmask_b32_e64 v7, v7, v35, s[2:3]
	v_cndmask_b32_e64 v6, v6, v34, s[2:3]
	v_mul_f64 v[6:7], v[6:7], v[32:33]
.LBB78_222:
	s_or_b64 exec, exec, s[30:31]
	v_add_u32_e32 v36, 1, v0
	v_cmp_gt_u32_e64 s[4:5], 3, v0
	ds_write_b64 v98, v[8:9]
	s_waitcnt lgkmcnt(0)
	; wave barrier
	s_and_saveexec_b64 s[34:35], s[4:5]
	s_cbranch_execz .LBB78_230
; %bb.223:
	s_and_b64 vcc, exec, s[0:1]
	s_cbranch_vccnz .LBB78_225
; %bb.224:
	v_cmp_eq_u32_e32 vcc, 1, v0
	v_cndmask_b32_e32 v32, v3, v5, vcc
	v_cmp_eq_u32_e64 s[6:7], 2, v0
	v_cndmask_b32_e64 v32, v32, v7, s[6:7]
	v_cmp_eq_u32_e64 s[8:9], 3, v0
	v_cndmask_b32_e64 v32, v32, v9, s[8:9]
	;; [unrolled: 2-line block ×13, first 2 shown]
	v_cndmask_b32_e32 v32, v2, v4, vcc
	v_cndmask_b32_e64 v32, v32, v6, s[6:7]
	v_cndmask_b32_e64 v32, v32, v8, s[8:9]
	;; [unrolled: 1-line block ×9, first 2 shown]
	ds_read_b64 v[34:35], v98
	v_cndmask_b32_e64 v32, v32, v24, s[24:25]
	v_cndmask_b32_e64 v32, v32, v26, s[26:27]
	;; [unrolled: 1-line block ×4, first 2 shown]
	s_waitcnt lgkmcnt(0)
	v_mul_f64 v[32:33], v[32:33], v[34:35]
	s_cbranch_execz .LBB78_226
	s_branch .LBB78_227
.LBB78_225:
                                        ; implicit-def: $vgpr32_vgpr33
.LBB78_226:
	ds_read_b64 v[32:33], v98
.LBB78_227:
	v_cmp_ne_u32_e32 vcc, 2, v0
	s_and_saveexec_b64 s[36:37], vcc
	s_cbranch_execz .LBB78_229
; %bb.228:
	v_cmp_eq_u32_e32 vcc, 1, v36
	v_cndmask_b32_e32 v34, v3, v5, vcc
	v_cmp_eq_u32_e64 s[6:7], 2, v36
	v_cndmask_b32_e64 v34, v34, v7, s[6:7]
	v_cmp_eq_u32_e64 s[8:9], 3, v36
	v_cndmask_b32_e64 v9, v34, v9, s[8:9]
	v_cndmask_b32_e32 v34, v2, v4, vcc
	v_cndmask_b32_e64 v34, v34, v6, s[6:7]
	v_cmp_eq_u32_e64 s[10:11], 4, v36
	v_cndmask_b32_e64 v8, v34, v8, s[8:9]
	v_cndmask_b32_e64 v9, v9, v11, s[10:11]
	v_cmp_eq_u32_e64 s[12:13], 5, v36
	v_cndmask_b32_e64 v8, v8, v10, s[10:11]
	;; [unrolled: 3-line block ×8, first 2 shown]
	ds_read_b64 v[34:35], v98 offset:8
	v_cndmask_b32_e64 v9, v9, v25, s[24:25]
	v_cmp_eq_u32_e64 s[26:27], 12, v36
	v_cndmask_b32_e64 v8, v8, v24, s[24:25]
	v_cndmask_b32_e64 v9, v9, v27, s[26:27]
	v_cmp_eq_u32_e64 s[28:29], 13, v36
	v_cndmask_b32_e64 v8, v8, v26, s[26:27]
	v_cndmask_b32_e64 v9, v9, v29, s[28:29]
	v_cmp_eq_u32_e64 s[30:31], 14, v36
	v_cndmask_b32_e64 v8, v8, v28, s[28:29]
	v_cndmask_b32_e64 v9, v9, v31, s[30:31]
	v_cndmask_b32_e64 v8, v8, v30, s[30:31]
	v_mov_b32_e32 v37, 0
	ds_read_b64 v[37:38], v37 offset:144
	s_waitcnt lgkmcnt(1)
	v_fma_f64 v[8:9], v[8:9], v[34:35], v[32:33]
	s_waitcnt lgkmcnt(0)
	v_fma_f64 v[32:33], v[6:7], v[37:38], v[8:9]
	v_cndmask_b32_e64 v33, v9, v33, s[2:3]
	v_cndmask_b32_e64 v32, v8, v32, s[2:3]
.LBB78_229:
	s_or_b64 exec, exec, s[36:37]
	v_mov_b32_e32 v8, 0
	ds_read_b64 v[8:9], v8 offset:24
	s_waitcnt lgkmcnt(0)
	v_mul_f64 v[8:9], v[32:33], v[8:9]
.LBB78_230:
	s_or_b64 exec, exec, s[34:35]
	v_cmp_gt_u32_e32 vcc, 4, v0
	ds_write_b64 v98, v[10:11]
	s_waitcnt lgkmcnt(0)
	; wave barrier
	s_and_saveexec_b64 s[34:35], vcc
	s_cbranch_execz .LBB78_240
; %bb.231:
	s_and_b64 vcc, exec, s[0:1]
	s_cbranch_vccnz .LBB78_233
; %bb.232:
	v_cmp_eq_u32_e32 vcc, 1, v0
	v_cndmask_b32_e32 v32, v3, v5, vcc
	v_cmp_eq_u32_e64 s[6:7], 2, v0
	v_cndmask_b32_e64 v32, v32, v7, s[6:7]
	v_cmp_eq_u32_e64 s[8:9], 3, v0
	v_cndmask_b32_e64 v32, v32, v9, s[8:9]
	;; [unrolled: 2-line block ×13, first 2 shown]
	v_cndmask_b32_e32 v32, v2, v4, vcc
	v_cndmask_b32_e64 v32, v32, v6, s[6:7]
	v_cndmask_b32_e64 v32, v32, v8, s[8:9]
	;; [unrolled: 1-line block ×9, first 2 shown]
	ds_read_b64 v[34:35], v98
	v_cndmask_b32_e64 v32, v32, v24, s[24:25]
	v_cndmask_b32_e64 v32, v32, v26, s[26:27]
	;; [unrolled: 1-line block ×4, first 2 shown]
	s_waitcnt lgkmcnt(0)
	v_mul_f64 v[32:33], v[32:33], v[34:35]
	s_cbranch_execz .LBB78_234
	s_branch .LBB78_235
.LBB78_233:
                                        ; implicit-def: $vgpr32_vgpr33
.LBB78_234:
	ds_read_b64 v[32:33], v98
.LBB78_235:
	v_cmp_ne_u32_e32 vcc, 3, v0
	s_and_saveexec_b64 s[8:9], vcc
	s_cbranch_execz .LBB78_239
; %bb.236:
	v_mov_b32_e32 v34, 0x88
	v_lshl_add_u32 v37, v0, 3, v34
	v_mov_b32_e32 v35, v1
	s_mov_b64 s[10:11], 0
	v_mov_b32_e32 v34, v0
.LBB78_237:                             ; =>This Inner Loop Header: Depth=1
	v_add_co_u32_e32 v34, vcc, 1, v34
	v_addc_co_u32_e32 v35, vcc, 0, v35, vcc
	v_cmp_eq_u32_e32 vcc, 1, v34
	v_cndmask_b32_e32 v40, v3, v5, vcc
	v_cmp_eq_u32_e64 s[6:7], 2, v34
	v_cndmask_b32_e64 v40, v40, v7, s[6:7]
	v_cndmask_b32_e32 v41, v2, v4, vcc
	v_cmp_eq_u32_e32 vcc, 3, v34
	v_cndmask_b32_e32 v40, v40, v9, vcc
	v_cndmask_b32_e64 v41, v41, v6, s[6:7]
	v_cmp_eq_u32_e64 s[6:7], 4, v34
	v_cndmask_b32_e64 v40, v40, v11, s[6:7]
	v_cndmask_b32_e32 v41, v41, v8, vcc
	v_cmp_eq_u32_e32 vcc, 5, v34
	v_cndmask_b32_e32 v40, v40, v13, vcc
	v_cndmask_b32_e64 v41, v41, v10, s[6:7]
	;; [unrolled: 6-line block ×4, first 2 shown]
	v_cmp_eq_u32_e64 s[6:7], 10, v34
	v_cndmask_b32_e64 v40, v40, v23, s[6:7]
	v_cndmask_b32_e32 v41, v41, v20, vcc
	v_cmp_eq_u32_e32 vcc, 11, v34
	ds_read_b64 v[38:39], v37
	v_cndmask_b32_e32 v40, v40, v25, vcc
	v_cndmask_b32_e64 v41, v41, v22, s[6:7]
	v_cmp_eq_u32_e64 s[6:7], 12, v34
	v_cndmask_b32_e64 v40, v40, v27, s[6:7]
	v_cndmask_b32_e32 v41, v41, v24, vcc
	v_cmp_eq_u32_e32 vcc, 13, v34
	v_cndmask_b32_e32 v40, v40, v29, vcc
	v_cndmask_b32_e64 v42, v41, v26, s[6:7]
	v_cmp_eq_u32_e64 s[6:7], 14, v34
	v_cndmask_b32_e64 v41, v40, v31, s[6:7]
	v_cndmask_b32_e32 v40, v42, v28, vcc
	v_cndmask_b32_e64 v40, v40, v30, s[6:7]
	s_waitcnt lgkmcnt(0)
	v_fma_f64 v[32:33], v[40:41], v[38:39], v[32:33]
	v_cmp_lt_u32_e32 vcc, 2, v34
	s_or_b64 s[10:11], vcc, s[10:11]
	v_add_u32_e32 v37, 8, v37
	s_andn2_b64 exec, exec, s[10:11]
	s_cbranch_execnz .LBB78_237
; %bb.238:
	s_or_b64 exec, exec, s[10:11]
.LBB78_239:
	s_or_b64 exec, exec, s[8:9]
	v_mov_b32_e32 v10, 0
	ds_read_b64 v[10:11], v10 offset:32
	s_waitcnt lgkmcnt(0)
	v_mul_f64 v[10:11], v[32:33], v[10:11]
.LBB78_240:
	s_or_b64 exec, exec, s[34:35]
	v_cmp_gt_u32_e64 s[6:7], 5, v0
	ds_write_b64 v98, v[12:13]
	s_waitcnt lgkmcnt(0)
	; wave barrier
	s_and_saveexec_b64 s[36:37], s[6:7]
	s_cbranch_execz .LBB78_250
; %bb.241:
	s_and_b64 vcc, exec, s[0:1]
	s_cbranch_vccnz .LBB78_243
; %bb.242:
	v_cmp_eq_u32_e32 vcc, 1, v0
	v_cndmask_b32_e32 v32, v3, v5, vcc
	v_cmp_eq_u32_e64 s[8:9], 2, v0
	v_cndmask_b32_e64 v32, v32, v7, s[8:9]
	v_cmp_eq_u32_e64 s[10:11], 3, v0
	v_cndmask_b32_e64 v32, v32, v9, s[10:11]
	;; [unrolled: 2-line block ×13, first 2 shown]
	v_cndmask_b32_e32 v32, v2, v4, vcc
	v_cndmask_b32_e64 v32, v32, v6, s[8:9]
	v_cndmask_b32_e64 v32, v32, v8, s[10:11]
	;; [unrolled: 1-line block ×9, first 2 shown]
	ds_read_b64 v[34:35], v98
	v_cndmask_b32_e64 v32, v32, v24, s[26:27]
	v_cndmask_b32_e64 v32, v32, v26, s[28:29]
	;; [unrolled: 1-line block ×4, first 2 shown]
	s_waitcnt lgkmcnt(0)
	v_mul_f64 v[32:33], v[32:33], v[34:35]
	s_cbranch_execz .LBB78_244
	s_branch .LBB78_245
.LBB78_243:
                                        ; implicit-def: $vgpr32_vgpr33
.LBB78_244:
	ds_read_b64 v[32:33], v98
.LBB78_245:
	v_cmp_ne_u32_e32 vcc, 4, v0
	s_and_saveexec_b64 s[10:11], vcc
	s_cbranch_execz .LBB78_249
; %bb.246:
	v_mov_b32_e32 v34, 0x88
	v_lshl_add_u32 v37, v0, 3, v34
	v_mov_b32_e32 v35, v1
	s_mov_b64 s[12:13], 0
	v_mov_b32_e32 v34, v0
.LBB78_247:                             ; =>This Inner Loop Header: Depth=1
	v_add_co_u32_e32 v34, vcc, 1, v34
	v_addc_co_u32_e32 v35, vcc, 0, v35, vcc
	v_cmp_eq_u32_e32 vcc, 1, v34
	v_cndmask_b32_e32 v40, v3, v5, vcc
	v_cmp_eq_u32_e64 s[8:9], 2, v34
	v_cndmask_b32_e64 v40, v40, v7, s[8:9]
	v_cndmask_b32_e32 v41, v2, v4, vcc
	v_cmp_eq_u32_e32 vcc, 3, v34
	v_cndmask_b32_e32 v40, v40, v9, vcc
	v_cndmask_b32_e64 v41, v41, v6, s[8:9]
	v_cmp_eq_u32_e64 s[8:9], 4, v34
	v_cndmask_b32_e64 v40, v40, v11, s[8:9]
	v_cndmask_b32_e32 v41, v41, v8, vcc
	v_cmp_eq_u32_e32 vcc, 5, v34
	v_cndmask_b32_e32 v40, v40, v13, vcc
	v_cndmask_b32_e64 v41, v41, v10, s[8:9]
	;; [unrolled: 6-line block ×4, first 2 shown]
	v_cmp_eq_u32_e64 s[8:9], 10, v34
	v_cndmask_b32_e64 v40, v40, v23, s[8:9]
	v_cndmask_b32_e32 v41, v41, v20, vcc
	v_cmp_eq_u32_e32 vcc, 11, v34
	ds_read_b64 v[38:39], v37
	v_cndmask_b32_e32 v40, v40, v25, vcc
	v_cndmask_b32_e64 v41, v41, v22, s[8:9]
	v_cmp_eq_u32_e64 s[8:9], 12, v34
	v_cndmask_b32_e64 v40, v40, v27, s[8:9]
	v_cndmask_b32_e32 v41, v41, v24, vcc
	v_cmp_eq_u32_e32 vcc, 13, v34
	v_cndmask_b32_e32 v40, v40, v29, vcc
	v_cndmask_b32_e64 v42, v41, v26, s[8:9]
	v_cmp_eq_u32_e64 s[8:9], 14, v34
	v_cndmask_b32_e64 v41, v40, v31, s[8:9]
	v_cndmask_b32_e32 v40, v42, v28, vcc
	v_cndmask_b32_e64 v40, v40, v30, s[8:9]
	s_waitcnt lgkmcnt(0)
	v_fma_f64 v[32:33], v[40:41], v[38:39], v[32:33]
	v_cmp_lt_u32_e32 vcc, 3, v34
	s_or_b64 s[12:13], vcc, s[12:13]
	v_add_u32_e32 v37, 8, v37
	s_andn2_b64 exec, exec, s[12:13]
	s_cbranch_execnz .LBB78_247
; %bb.248:
	s_or_b64 exec, exec, s[12:13]
.LBB78_249:
	s_or_b64 exec, exec, s[10:11]
	v_mov_b32_e32 v12, 0
	ds_read_b64 v[12:13], v12 offset:40
	s_waitcnt lgkmcnt(0)
	v_mul_f64 v[12:13], v[32:33], v[12:13]
.LBB78_250:
	s_or_b64 exec, exec, s[36:37]
	v_cmp_gt_u32_e32 vcc, 6, v0
	ds_write_b64 v98, v[14:15]
	s_waitcnt lgkmcnt(0)
	; wave barrier
	s_and_saveexec_b64 s[36:37], vcc
	s_cbranch_execz .LBB78_260
; %bb.251:
	s_and_b64 vcc, exec, s[0:1]
	s_cbranch_vccnz .LBB78_253
; %bb.252:
	v_cmp_eq_u32_e32 vcc, 1, v0
	v_cndmask_b32_e32 v32, v3, v5, vcc
	v_cmp_eq_u32_e64 s[8:9], 2, v0
	v_cndmask_b32_e64 v32, v32, v7, s[8:9]
	v_cmp_eq_u32_e64 s[10:11], 3, v0
	v_cndmask_b32_e64 v32, v32, v9, s[10:11]
	;; [unrolled: 2-line block ×13, first 2 shown]
	v_cndmask_b32_e32 v32, v2, v4, vcc
	v_cndmask_b32_e64 v32, v32, v6, s[8:9]
	v_cndmask_b32_e64 v32, v32, v8, s[10:11]
	;; [unrolled: 1-line block ×9, first 2 shown]
	ds_read_b64 v[34:35], v98
	v_cndmask_b32_e64 v32, v32, v24, s[26:27]
	v_cndmask_b32_e64 v32, v32, v26, s[28:29]
	;; [unrolled: 1-line block ×4, first 2 shown]
	s_waitcnt lgkmcnt(0)
	v_mul_f64 v[32:33], v[32:33], v[34:35]
	s_cbranch_execz .LBB78_254
	s_branch .LBB78_255
.LBB78_253:
                                        ; implicit-def: $vgpr32_vgpr33
.LBB78_254:
	ds_read_b64 v[32:33], v98
.LBB78_255:
	v_cmp_ne_u32_e32 vcc, 5, v0
	s_and_saveexec_b64 s[10:11], vcc
	s_cbranch_execz .LBB78_259
; %bb.256:
	v_mov_b32_e32 v34, 0x88
	v_lshl_add_u32 v37, v0, 3, v34
	v_mov_b32_e32 v35, v1
	s_mov_b64 s[12:13], 0
	v_mov_b32_e32 v34, v0
.LBB78_257:                             ; =>This Inner Loop Header: Depth=1
	v_add_co_u32_e32 v34, vcc, 1, v34
	v_addc_co_u32_e32 v35, vcc, 0, v35, vcc
	v_cmp_eq_u32_e32 vcc, 1, v34
	v_cndmask_b32_e32 v40, v3, v5, vcc
	v_cmp_eq_u32_e64 s[8:9], 2, v34
	v_cndmask_b32_e64 v40, v40, v7, s[8:9]
	v_cndmask_b32_e32 v41, v2, v4, vcc
	v_cmp_eq_u32_e32 vcc, 3, v34
	v_cndmask_b32_e32 v40, v40, v9, vcc
	v_cndmask_b32_e64 v41, v41, v6, s[8:9]
	v_cmp_eq_u32_e64 s[8:9], 4, v34
	v_cndmask_b32_e64 v40, v40, v11, s[8:9]
	v_cndmask_b32_e32 v41, v41, v8, vcc
	v_cmp_eq_u32_e32 vcc, 5, v34
	v_cndmask_b32_e32 v40, v40, v13, vcc
	v_cndmask_b32_e64 v41, v41, v10, s[8:9]
	;; [unrolled: 6-line block ×4, first 2 shown]
	v_cmp_eq_u32_e64 s[8:9], 10, v34
	v_cndmask_b32_e64 v40, v40, v23, s[8:9]
	v_cndmask_b32_e32 v41, v41, v20, vcc
	v_cmp_eq_u32_e32 vcc, 11, v34
	ds_read_b64 v[38:39], v37
	v_cndmask_b32_e32 v40, v40, v25, vcc
	v_cndmask_b32_e64 v41, v41, v22, s[8:9]
	v_cmp_eq_u32_e64 s[8:9], 12, v34
	v_cndmask_b32_e64 v40, v40, v27, s[8:9]
	v_cndmask_b32_e32 v41, v41, v24, vcc
	v_cmp_eq_u32_e32 vcc, 13, v34
	v_cndmask_b32_e32 v40, v40, v29, vcc
	v_cndmask_b32_e64 v42, v41, v26, s[8:9]
	v_cmp_eq_u32_e64 s[8:9], 14, v34
	v_cndmask_b32_e64 v41, v40, v31, s[8:9]
	v_cndmask_b32_e32 v40, v42, v28, vcc
	v_cndmask_b32_e64 v40, v40, v30, s[8:9]
	s_waitcnt lgkmcnt(0)
	v_fma_f64 v[32:33], v[40:41], v[38:39], v[32:33]
	v_cmp_lt_u32_e32 vcc, 4, v34
	s_or_b64 s[12:13], vcc, s[12:13]
	v_add_u32_e32 v37, 8, v37
	s_andn2_b64 exec, exec, s[12:13]
	s_cbranch_execnz .LBB78_257
; %bb.258:
	s_or_b64 exec, exec, s[12:13]
.LBB78_259:
	s_or_b64 exec, exec, s[10:11]
	v_mov_b32_e32 v14, 0
	ds_read_b64 v[14:15], v14 offset:48
	s_waitcnt lgkmcnt(0)
	v_mul_f64 v[14:15], v[32:33], v[14:15]
.LBB78_260:
	s_or_b64 exec, exec, s[36:37]
	v_cmp_gt_u32_e64 s[8:9], 7, v0
	ds_write_b64 v98, v[16:17]
	s_waitcnt lgkmcnt(0)
	; wave barrier
	s_and_saveexec_b64 s[38:39], s[8:9]
	s_cbranch_execz .LBB78_270
; %bb.261:
	s_and_b64 vcc, exec, s[0:1]
	s_cbranch_vccnz .LBB78_263
; %bb.262:
	v_cmp_eq_u32_e32 vcc, 1, v0
	v_cndmask_b32_e32 v32, v3, v5, vcc
	v_cmp_eq_u32_e64 s[10:11], 2, v0
	v_cndmask_b32_e64 v32, v32, v7, s[10:11]
	v_cmp_eq_u32_e64 s[12:13], 3, v0
	v_cndmask_b32_e64 v32, v32, v9, s[12:13]
	v_cmp_eq_u32_e64 s[14:15], 4, v0
	v_cndmask_b32_e64 v32, v32, v11, s[14:15]
	v_cmp_eq_u32_e64 s[16:17], 5, v0
	v_cndmask_b32_e64 v32, v32, v13, s[16:17]
	v_cmp_eq_u32_e64 s[18:19], 6, v0
	v_cndmask_b32_e64 v32, v32, v15, s[18:19]
	v_cmp_eq_u32_e64 s[20:21], 7, v0
	v_cndmask_b32_e64 v32, v32, v17, s[20:21]
	v_cmp_eq_u32_e64 s[22:23], 8, v0
	v_cndmask_b32_e64 v32, v32, v19, s[22:23]
	v_cmp_eq_u32_e64 s[24:25], 9, v0
	v_cndmask_b32_e64 v32, v32, v21, s[24:25]
	v_cmp_eq_u32_e64 s[26:27], 10, v0
	v_cndmask_b32_e64 v32, v32, v23, s[26:27]
	v_cmp_eq_u32_e64 s[28:29], 11, v0
	v_cndmask_b32_e64 v32, v32, v25, s[28:29]
	v_cmp_eq_u32_e64 s[30:31], 12, v0
	v_cndmask_b32_e64 v32, v32, v27, s[30:31]
	v_cmp_eq_u32_e64 s[34:35], 13, v0
	v_cndmask_b32_e64 v32, v32, v29, s[34:35]
	v_cmp_eq_u32_e64 s[36:37], 14, v0
	v_cndmask_b32_e64 v33, v32, v31, s[36:37]
	v_cndmask_b32_e32 v32, v2, v4, vcc
	v_cndmask_b32_e64 v32, v32, v6, s[10:11]
	v_cndmask_b32_e64 v32, v32, v8, s[12:13]
	;; [unrolled: 1-line block ×9, first 2 shown]
	ds_read_b64 v[34:35], v98
	v_cndmask_b32_e64 v32, v32, v24, s[28:29]
	v_cndmask_b32_e64 v32, v32, v26, s[30:31]
	v_cndmask_b32_e64 v32, v32, v28, s[34:35]
	v_cndmask_b32_e64 v32, v32, v30, s[36:37]
	s_waitcnt lgkmcnt(0)
	v_mul_f64 v[32:33], v[32:33], v[34:35]
	s_cbranch_execz .LBB78_264
	s_branch .LBB78_265
.LBB78_263:
                                        ; implicit-def: $vgpr32_vgpr33
.LBB78_264:
	ds_read_b64 v[32:33], v98
.LBB78_265:
	v_cmp_ne_u32_e32 vcc, 6, v0
	s_and_saveexec_b64 s[12:13], vcc
	s_cbranch_execz .LBB78_269
; %bb.266:
	v_mov_b32_e32 v34, 0x88
	v_lshl_add_u32 v37, v0, 3, v34
	v_mov_b32_e32 v35, v1
	s_mov_b64 s[14:15], 0
	v_mov_b32_e32 v34, v0
.LBB78_267:                             ; =>This Inner Loop Header: Depth=1
	v_add_co_u32_e32 v34, vcc, 1, v34
	v_addc_co_u32_e32 v35, vcc, 0, v35, vcc
	v_cmp_eq_u32_e32 vcc, 1, v34
	v_cndmask_b32_e32 v40, v3, v5, vcc
	v_cmp_eq_u32_e64 s[10:11], 2, v34
	v_cndmask_b32_e64 v40, v40, v7, s[10:11]
	v_cndmask_b32_e32 v41, v2, v4, vcc
	v_cmp_eq_u32_e32 vcc, 3, v34
	v_cndmask_b32_e32 v40, v40, v9, vcc
	v_cndmask_b32_e64 v41, v41, v6, s[10:11]
	v_cmp_eq_u32_e64 s[10:11], 4, v34
	v_cndmask_b32_e64 v40, v40, v11, s[10:11]
	v_cndmask_b32_e32 v41, v41, v8, vcc
	v_cmp_eq_u32_e32 vcc, 5, v34
	v_cndmask_b32_e32 v40, v40, v13, vcc
	v_cndmask_b32_e64 v41, v41, v10, s[10:11]
	;; [unrolled: 6-line block ×4, first 2 shown]
	v_cmp_eq_u32_e64 s[10:11], 10, v34
	v_cndmask_b32_e64 v40, v40, v23, s[10:11]
	v_cndmask_b32_e32 v41, v41, v20, vcc
	v_cmp_eq_u32_e32 vcc, 11, v34
	ds_read_b64 v[38:39], v37
	v_cndmask_b32_e32 v40, v40, v25, vcc
	v_cndmask_b32_e64 v41, v41, v22, s[10:11]
	v_cmp_eq_u32_e64 s[10:11], 12, v34
	v_cndmask_b32_e64 v40, v40, v27, s[10:11]
	v_cndmask_b32_e32 v41, v41, v24, vcc
	v_cmp_eq_u32_e32 vcc, 13, v34
	v_cndmask_b32_e32 v40, v40, v29, vcc
	v_cndmask_b32_e64 v42, v41, v26, s[10:11]
	v_cmp_eq_u32_e64 s[10:11], 14, v34
	v_cndmask_b32_e64 v41, v40, v31, s[10:11]
	v_cndmask_b32_e32 v40, v42, v28, vcc
	v_cndmask_b32_e64 v40, v40, v30, s[10:11]
	s_waitcnt lgkmcnt(0)
	v_fma_f64 v[32:33], v[40:41], v[38:39], v[32:33]
	v_cmp_lt_u32_e32 vcc, 5, v34
	s_or_b64 s[14:15], vcc, s[14:15]
	v_add_u32_e32 v37, 8, v37
	s_andn2_b64 exec, exec, s[14:15]
	s_cbranch_execnz .LBB78_267
; %bb.268:
	s_or_b64 exec, exec, s[14:15]
.LBB78_269:
	s_or_b64 exec, exec, s[12:13]
	v_mov_b32_e32 v16, 0
	ds_read_b64 v[16:17], v16 offset:56
	s_waitcnt lgkmcnt(0)
	v_mul_f64 v[16:17], v[32:33], v[16:17]
.LBB78_270:
	s_or_b64 exec, exec, s[38:39]
	v_cmp_gt_u32_e32 vcc, 8, v0
	ds_write_b64 v98, v[18:19]
	s_waitcnt lgkmcnt(0)
	; wave barrier
	s_and_saveexec_b64 s[38:39], vcc
	s_cbranch_execz .LBB78_280
; %bb.271:
	s_and_b64 vcc, exec, s[0:1]
	s_cbranch_vccnz .LBB78_273
; %bb.272:
	v_cmp_eq_u32_e32 vcc, 1, v0
	v_cndmask_b32_e32 v32, v3, v5, vcc
	v_cmp_eq_u32_e64 s[10:11], 2, v0
	v_cndmask_b32_e64 v32, v32, v7, s[10:11]
	v_cmp_eq_u32_e64 s[12:13], 3, v0
	v_cndmask_b32_e64 v32, v32, v9, s[12:13]
	;; [unrolled: 2-line block ×13, first 2 shown]
	v_cndmask_b32_e32 v32, v2, v4, vcc
	v_cndmask_b32_e64 v32, v32, v6, s[10:11]
	v_cndmask_b32_e64 v32, v32, v8, s[12:13]
	;; [unrolled: 1-line block ×9, first 2 shown]
	ds_read_b64 v[34:35], v98
	v_cndmask_b32_e64 v32, v32, v24, s[28:29]
	v_cndmask_b32_e64 v32, v32, v26, s[30:31]
	;; [unrolled: 1-line block ×4, first 2 shown]
	s_waitcnt lgkmcnt(0)
	v_mul_f64 v[32:33], v[32:33], v[34:35]
	s_cbranch_execz .LBB78_274
	s_branch .LBB78_275
.LBB78_273:
                                        ; implicit-def: $vgpr32_vgpr33
.LBB78_274:
	ds_read_b64 v[32:33], v98
.LBB78_275:
	v_cmp_ne_u32_e32 vcc, 7, v0
	s_and_saveexec_b64 s[12:13], vcc
	s_cbranch_execz .LBB78_279
; %bb.276:
	v_mov_b32_e32 v34, 0x88
	v_lshl_add_u32 v37, v0, 3, v34
	v_mov_b32_e32 v35, v1
	s_mov_b64 s[14:15], 0
	v_mov_b32_e32 v34, v0
.LBB78_277:                             ; =>This Inner Loop Header: Depth=1
	v_add_co_u32_e32 v34, vcc, 1, v34
	v_addc_co_u32_e32 v35, vcc, 0, v35, vcc
	v_cmp_eq_u32_e32 vcc, 1, v34
	v_cndmask_b32_e32 v40, v3, v5, vcc
	v_cmp_eq_u32_e64 s[10:11], 2, v34
	v_cndmask_b32_e64 v40, v40, v7, s[10:11]
	v_cndmask_b32_e32 v41, v2, v4, vcc
	v_cmp_eq_u32_e32 vcc, 3, v34
	v_cndmask_b32_e32 v40, v40, v9, vcc
	v_cndmask_b32_e64 v41, v41, v6, s[10:11]
	v_cmp_eq_u32_e64 s[10:11], 4, v34
	v_cndmask_b32_e64 v40, v40, v11, s[10:11]
	v_cndmask_b32_e32 v41, v41, v8, vcc
	v_cmp_eq_u32_e32 vcc, 5, v34
	v_cndmask_b32_e32 v40, v40, v13, vcc
	v_cndmask_b32_e64 v41, v41, v10, s[10:11]
	;; [unrolled: 6-line block ×4, first 2 shown]
	v_cmp_eq_u32_e64 s[10:11], 10, v34
	v_cndmask_b32_e64 v40, v40, v23, s[10:11]
	v_cndmask_b32_e32 v41, v41, v20, vcc
	v_cmp_eq_u32_e32 vcc, 11, v34
	ds_read_b64 v[38:39], v37
	v_cndmask_b32_e32 v40, v40, v25, vcc
	v_cndmask_b32_e64 v41, v41, v22, s[10:11]
	v_cmp_eq_u32_e64 s[10:11], 12, v34
	v_cndmask_b32_e64 v40, v40, v27, s[10:11]
	v_cndmask_b32_e32 v41, v41, v24, vcc
	v_cmp_eq_u32_e32 vcc, 13, v34
	v_cndmask_b32_e32 v40, v40, v29, vcc
	v_cndmask_b32_e64 v42, v41, v26, s[10:11]
	v_cmp_eq_u32_e64 s[10:11], 14, v34
	v_cndmask_b32_e64 v41, v40, v31, s[10:11]
	v_cndmask_b32_e32 v40, v42, v28, vcc
	v_cndmask_b32_e64 v40, v40, v30, s[10:11]
	s_waitcnt lgkmcnt(0)
	v_fma_f64 v[32:33], v[40:41], v[38:39], v[32:33]
	v_cmp_lt_u32_e32 vcc, 6, v34
	s_or_b64 s[14:15], vcc, s[14:15]
	v_add_u32_e32 v37, 8, v37
	s_andn2_b64 exec, exec, s[14:15]
	s_cbranch_execnz .LBB78_277
; %bb.278:
	s_or_b64 exec, exec, s[14:15]
.LBB78_279:
	s_or_b64 exec, exec, s[12:13]
	v_mov_b32_e32 v18, 0
	ds_read_b64 v[18:19], v18 offset:64
	s_waitcnt lgkmcnt(0)
	v_mul_f64 v[18:19], v[32:33], v[18:19]
.LBB78_280:
	s_or_b64 exec, exec, s[38:39]
	v_cmp_gt_u32_e32 vcc, 9, v0
	ds_write_b64 v98, v[20:21]
	s_waitcnt lgkmcnt(0)
	; wave barrier
	s_and_saveexec_b64 s[38:39], vcc
	s_cbranch_execz .LBB78_302
; %bb.281:
	s_and_b64 vcc, exec, s[0:1]
	s_cbranch_vccnz .LBB78_283
; %bb.282:
	v_cmp_eq_u32_e32 vcc, 1, v0
	v_cndmask_b32_e32 v32, v3, v5, vcc
	v_cmp_eq_u32_e64 s[10:11], 2, v0
	v_cndmask_b32_e64 v32, v32, v7, s[10:11]
	v_cmp_eq_u32_e64 s[12:13], 3, v0
	v_cndmask_b32_e64 v32, v32, v9, s[12:13]
	;; [unrolled: 2-line block ×13, first 2 shown]
	v_cndmask_b32_e32 v32, v2, v4, vcc
	v_cndmask_b32_e64 v32, v32, v6, s[10:11]
	v_cndmask_b32_e64 v32, v32, v8, s[12:13]
	;; [unrolled: 1-line block ×9, first 2 shown]
	ds_read_b64 v[34:35], v98
	v_cndmask_b32_e64 v32, v32, v24, s[28:29]
	v_cndmask_b32_e64 v32, v32, v26, s[30:31]
	;; [unrolled: 1-line block ×4, first 2 shown]
	s_waitcnt lgkmcnt(0)
	v_mul_f64 v[32:33], v[32:33], v[34:35]
	s_cbranch_execz .LBB78_284
	s_branch .LBB78_285
.LBB78_283:
                                        ; implicit-def: $vgpr32_vgpr33
.LBB78_284:
	ds_read_b64 v[32:33], v98
.LBB78_285:
	v_cmp_ne_u32_e32 vcc, 8, v0
	s_and_saveexec_b64 s[40:41], vcc
	s_cbranch_execz .LBB78_301
; %bb.286:
	v_cmp_eq_u32_e32 vcc, 1, v36
	v_cndmask_b32_e32 v34, v3, v5, vcc
	v_cmp_eq_u32_e64 s[10:11], 2, v36
	v_cndmask_b32_e64 v34, v34, v7, s[10:11]
	v_cmp_eq_u32_e64 s[12:13], 3, v36
	v_cndmask_b32_e64 v34, v34, v9, s[12:13]
	;; [unrolled: 2-line block ×13, first 2 shown]
	v_cndmask_b32_e32 v34, v2, v4, vcc
	v_cndmask_b32_e64 v34, v34, v6, s[10:11]
	v_cndmask_b32_e64 v34, v34, v8, s[12:13]
	;; [unrolled: 1-line block ×9, first 2 shown]
	ds_read_b64 v[36:37], v98 offset:8
	v_cndmask_b32_e64 v34, v34, v24, s[28:29]
	v_cndmask_b32_e64 v34, v34, v26, s[30:31]
	;; [unrolled: 1-line block ×4, first 2 shown]
	s_waitcnt lgkmcnt(0)
	v_fma_f64 v[32:33], v[34:35], v[36:37], v[32:33]
	s_and_saveexec_b64 s[36:37], s[8:9]
	s_cbranch_execz .LBB78_300
; %bb.287:
	v_add_u32_e32 v34, 2, v0
	v_cmp_eq_u32_e32 vcc, 1, v34
	v_cndmask_b32_e32 v35, v3, v5, vcc
	v_cmp_eq_u32_e64 s[8:9], 2, v34
	v_cmp_eq_u32_e64 s[10:11], 3, v34
	;; [unrolled: 1-line block ×13, first 2 shown]
	v_cndmask_b32_e32 v34, v2, v4, vcc
	v_cndmask_b32_e64 v35, v35, v7, s[8:9]
	v_cndmask_b32_e64 v34, v34, v6, s[8:9]
	;; [unrolled: 1-line block ×18, first 2 shown]
	ds_read_b64 v[36:37], v98 offset:16
	v_cndmask_b32_e64 v35, v35, v25, s[26:27]
	v_cndmask_b32_e64 v34, v34, v24, s[26:27]
	;; [unrolled: 1-line block ×8, first 2 shown]
	s_waitcnt lgkmcnt(0)
	v_fma_f64 v[32:33], v[34:35], v[36:37], v[32:33]
	v_cmp_ne_u32_e32 vcc, 6, v0
	s_and_saveexec_b64 s[42:43], vcc
	s_cbranch_execz .LBB78_299
; %bb.288:
	v_add_u32_e32 v34, 3, v0
	v_cmp_eq_u32_e32 vcc, 1, v34
	v_cndmask_b32_e32 v35, v3, v5, vcc
	v_cmp_eq_u32_e64 s[8:9], 2, v34
	v_cmp_eq_u32_e64 s[10:11], 3, v34
	;; [unrolled: 1-line block ×13, first 2 shown]
	v_cndmask_b32_e32 v34, v2, v4, vcc
	v_cndmask_b32_e64 v35, v35, v7, s[8:9]
	v_cndmask_b32_e64 v34, v34, v6, s[8:9]
	;; [unrolled: 1-line block ×18, first 2 shown]
	ds_read_b64 v[36:37], v98 offset:24
	v_cndmask_b32_e64 v35, v35, v25, s[26:27]
	v_cndmask_b32_e64 v34, v34, v24, s[26:27]
	;; [unrolled: 1-line block ×8, first 2 shown]
	s_waitcnt lgkmcnt(0)
	v_fma_f64 v[32:33], v[34:35], v[36:37], v[32:33]
	s_and_saveexec_b64 s[34:35], s[6:7]
	s_cbranch_execz .LBB78_298
; %bb.289:
	v_add_u32_e32 v34, 4, v0
	v_cmp_eq_u32_e32 vcc, 1, v34
	v_cndmask_b32_e32 v35, v3, v5, vcc
	v_cmp_eq_u32_e64 s[6:7], 2, v34
	v_cmp_eq_u32_e64 s[8:9], 3, v34
	;; [unrolled: 1-line block ×13, first 2 shown]
	v_cndmask_b32_e32 v34, v2, v4, vcc
	v_cndmask_b32_e64 v35, v35, v7, s[6:7]
	v_cndmask_b32_e64 v34, v34, v6, s[6:7]
	;; [unrolled: 1-line block ×18, first 2 shown]
	ds_read_b64 v[36:37], v98 offset:32
	v_cndmask_b32_e64 v35, v35, v25, s[24:25]
	v_cndmask_b32_e64 v34, v34, v24, s[24:25]
	;; [unrolled: 1-line block ×8, first 2 shown]
	s_waitcnt lgkmcnt(0)
	v_fma_f64 v[32:33], v[34:35], v[36:37], v[32:33]
	v_cmp_ne_u32_e32 vcc, 4, v0
	s_and_saveexec_b64 s[44:45], vcc
	s_cbranch_execz .LBB78_297
; %bb.290:
	v_add_u32_e32 v34, 5, v0
	v_cmp_eq_u32_e32 vcc, 1, v34
	v_cndmask_b32_e32 v35, v3, v5, vcc
	v_cmp_eq_u32_e64 s[6:7], 2, v34
	v_cmp_eq_u32_e64 s[8:9], 3, v34
	;; [unrolled: 1-line block ×13, first 2 shown]
	v_cndmask_b32_e32 v34, v2, v4, vcc
	v_cndmask_b32_e64 v35, v35, v7, s[6:7]
	v_cndmask_b32_e64 v34, v34, v6, s[6:7]
	;; [unrolled: 1-line block ×18, first 2 shown]
	ds_read_b64 v[36:37], v98 offset:40
	v_cndmask_b32_e64 v35, v35, v25, s[24:25]
	v_cndmask_b32_e64 v34, v34, v24, s[24:25]
	;; [unrolled: 1-line block ×8, first 2 shown]
	s_waitcnt lgkmcnt(0)
	v_fma_f64 v[32:33], v[34:35], v[36:37], v[32:33]
	s_and_saveexec_b64 s[30:31], s[4:5]
	s_cbranch_execz .LBB78_296
; %bb.291:
	v_add_u32_e32 v34, 6, v0
	v_cmp_eq_u32_e32 vcc, 1, v34
	v_cndmask_b32_e32 v35, v3, v5, vcc
	v_cmp_eq_u32_e64 s[4:5], 2, v34
	v_cmp_eq_u32_e64 s[6:7], 3, v34
	;; [unrolled: 1-line block ×13, first 2 shown]
	v_cndmask_b32_e32 v34, v2, v4, vcc
	v_cndmask_b32_e64 v35, v35, v7, s[4:5]
	v_cndmask_b32_e64 v34, v34, v6, s[4:5]
	;; [unrolled: 1-line block ×18, first 2 shown]
	ds_read_b64 v[36:37], v98 offset:48
	v_cndmask_b32_e64 v35, v35, v25, s[22:23]
	v_cndmask_b32_e64 v34, v34, v24, s[22:23]
	;; [unrolled: 1-line block ×8, first 2 shown]
	s_waitcnt lgkmcnt(0)
	v_fma_f64 v[32:33], v[34:35], v[36:37], v[32:33]
	v_cmp_ne_u32_e32 vcc, 2, v0
	s_and_saveexec_b64 s[46:47], vcc
	s_cbranch_execz .LBB78_295
; %bb.292:
	v_add_u32_e32 v34, 7, v0
	v_cmp_eq_u32_e32 vcc, 1, v34
	v_cndmask_b32_e32 v35, v3, v5, vcc
	v_cmp_eq_u32_e64 s[4:5], 2, v34
	v_cmp_eq_u32_e64 s[6:7], 3, v34
	;; [unrolled: 1-line block ×13, first 2 shown]
	v_cndmask_b32_e32 v34, v2, v4, vcc
	v_cndmask_b32_e64 v35, v35, v7, s[4:5]
	v_cndmask_b32_e64 v34, v34, v6, s[4:5]
	;; [unrolled: 1-line block ×18, first 2 shown]
	ds_read_b64 v[34:35], v98 offset:56
	v_cndmask_b32_e64 v21, v21, v25, s[22:23]
	v_cndmask_b32_e64 v20, v20, v24, s[22:23]
	;; [unrolled: 1-line block ×8, first 2 shown]
	s_waitcnt lgkmcnt(0)
	v_fma_f64 v[32:33], v[20:21], v[34:35], v[32:33]
	s_and_saveexec_b64 s[4:5], s[2:3]
	s_cbranch_execz .LBB78_294
; %bb.293:
	ds_read_b64 v[20:21], v98 offset:64
	s_waitcnt lgkmcnt(0)
	v_fma_f64 v[32:33], v[18:19], v[20:21], v[32:33]
.LBB78_294:
	s_or_b64 exec, exec, s[4:5]
.LBB78_295:
	s_or_b64 exec, exec, s[46:47]
.LBB78_296:
	s_or_b64 exec, exec, s[30:31]
.LBB78_297:
	s_or_b64 exec, exec, s[44:45]
.LBB78_298:
	s_or_b64 exec, exec, s[34:35]
.LBB78_299:
	s_or_b64 exec, exec, s[42:43]
.LBB78_300:
	s_or_b64 exec, exec, s[36:37]
.LBB78_301:
	s_or_b64 exec, exec, s[40:41]
	v_mov_b32_e32 v20, 0
	ds_read_b64 v[20:21], v20 offset:72
	s_waitcnt lgkmcnt(0)
	v_mul_f64 v[20:21], v[32:33], v[20:21]
.LBB78_302:
	s_or_b64 exec, exec, s[38:39]
	v_cmp_gt_u32_e32 vcc, 10, v0
	ds_write_b64 v98, v[22:23]
	s_waitcnt lgkmcnt(0)
	; wave barrier
	s_and_saveexec_b64 s[28:29], vcc
	s_cbranch_execz .LBB78_312
; %bb.303:
	s_and_b64 vcc, exec, s[0:1]
	s_cbranch_vccnz .LBB78_305
; %bb.304:
	v_cmp_eq_u32_e32 vcc, 1, v0
	v_cndmask_b32_e32 v32, v3, v5, vcc
	v_cmp_eq_u32_e64 s[2:3], 2, v0
	v_cndmask_b32_e64 v32, v32, v7, s[2:3]
	v_cmp_eq_u32_e64 s[4:5], 3, v0
	v_cndmask_b32_e64 v32, v32, v9, s[4:5]
	;; [unrolled: 2-line block ×13, first 2 shown]
	v_cndmask_b32_e32 v32, v2, v4, vcc
	v_cndmask_b32_e64 v32, v32, v6, s[2:3]
	v_cndmask_b32_e64 v32, v32, v8, s[4:5]
	;; [unrolled: 1-line block ×9, first 2 shown]
	ds_read_b64 v[34:35], v98
	v_cndmask_b32_e64 v32, v32, v24, s[20:21]
	v_cndmask_b32_e64 v32, v32, v26, s[22:23]
	;; [unrolled: 1-line block ×4, first 2 shown]
	s_waitcnt lgkmcnt(0)
	v_mul_f64 v[32:33], v[32:33], v[34:35]
	s_cbranch_execz .LBB78_306
	s_branch .LBB78_307
.LBB78_305:
                                        ; implicit-def: $vgpr32_vgpr33
.LBB78_306:
	ds_read_b64 v[32:33], v98
.LBB78_307:
	v_cmp_ne_u32_e32 vcc, 9, v0
	s_and_saveexec_b64 s[4:5], vcc
	s_cbranch_execz .LBB78_311
; %bb.308:
	v_mov_b32_e32 v34, 0x88
	v_lshl_add_u32 v36, v0, 3, v34
	v_mov_b32_e32 v35, v1
	s_mov_b64 s[6:7], 0
	v_mov_b32_e32 v34, v0
.LBB78_309:                             ; =>This Inner Loop Header: Depth=1
	v_add_co_u32_e32 v34, vcc, 1, v34
	v_addc_co_u32_e32 v35, vcc, 0, v35, vcc
	v_cmp_eq_u32_e32 vcc, 1, v34
	v_cndmask_b32_e32 v39, v3, v5, vcc
	v_cmp_eq_u32_e64 s[2:3], 2, v34
	v_cndmask_b32_e64 v39, v39, v7, s[2:3]
	v_cndmask_b32_e32 v40, v2, v4, vcc
	v_cmp_eq_u32_e32 vcc, 3, v34
	v_cndmask_b32_e32 v39, v39, v9, vcc
	v_cndmask_b32_e64 v40, v40, v6, s[2:3]
	v_cmp_eq_u32_e64 s[2:3], 4, v34
	v_cndmask_b32_e64 v39, v39, v11, s[2:3]
	v_cndmask_b32_e32 v40, v40, v8, vcc
	v_cmp_eq_u32_e32 vcc, 5, v34
	v_cndmask_b32_e32 v39, v39, v13, vcc
	v_cndmask_b32_e64 v40, v40, v10, s[2:3]
	;; [unrolled: 6-line block ×4, first 2 shown]
	v_cmp_eq_u32_e64 s[2:3], 10, v34
	v_cndmask_b32_e64 v39, v39, v23, s[2:3]
	v_cndmask_b32_e32 v40, v40, v20, vcc
	v_cmp_eq_u32_e32 vcc, 11, v34
	ds_read_b64 v[37:38], v36
	v_cndmask_b32_e32 v39, v39, v25, vcc
	v_cndmask_b32_e64 v40, v40, v22, s[2:3]
	v_cmp_eq_u32_e64 s[2:3], 12, v34
	v_cndmask_b32_e64 v39, v39, v27, s[2:3]
	v_cndmask_b32_e32 v40, v40, v24, vcc
	v_cmp_eq_u32_e32 vcc, 13, v34
	v_cndmask_b32_e32 v39, v39, v29, vcc
	v_cndmask_b32_e64 v41, v40, v26, s[2:3]
	v_cmp_eq_u32_e64 s[2:3], 14, v34
	v_cndmask_b32_e64 v40, v39, v31, s[2:3]
	v_cndmask_b32_e32 v39, v41, v28, vcc
	v_cndmask_b32_e64 v39, v39, v30, s[2:3]
	s_waitcnt lgkmcnt(0)
	v_fma_f64 v[32:33], v[39:40], v[37:38], v[32:33]
	v_cmp_lt_u32_e32 vcc, 8, v34
	s_or_b64 s[6:7], vcc, s[6:7]
	v_add_u32_e32 v36, 8, v36
	s_andn2_b64 exec, exec, s[6:7]
	s_cbranch_execnz .LBB78_309
; %bb.310:
	s_or_b64 exec, exec, s[6:7]
.LBB78_311:
	s_or_b64 exec, exec, s[4:5]
	v_mov_b32_e32 v22, 0
	ds_read_b64 v[22:23], v22 offset:80
	s_waitcnt lgkmcnt(0)
	v_mul_f64 v[22:23], v[32:33], v[22:23]
.LBB78_312:
	s_or_b64 exec, exec, s[28:29]
	v_cmp_gt_u32_e32 vcc, 11, v0
	ds_write_b64 v98, v[24:25]
	s_waitcnt lgkmcnt(0)
	; wave barrier
	s_and_saveexec_b64 s[28:29], vcc
	s_cbranch_execz .LBB78_322
; %bb.313:
	s_and_b64 vcc, exec, s[0:1]
	s_cbranch_vccnz .LBB78_315
; %bb.314:
	v_cmp_eq_u32_e32 vcc, 1, v0
	v_cndmask_b32_e32 v32, v3, v5, vcc
	v_cmp_eq_u32_e64 s[2:3], 2, v0
	v_cndmask_b32_e64 v32, v32, v7, s[2:3]
	v_cmp_eq_u32_e64 s[4:5], 3, v0
	v_cndmask_b32_e64 v32, v32, v9, s[4:5]
	;; [unrolled: 2-line block ×13, first 2 shown]
	v_cndmask_b32_e32 v32, v2, v4, vcc
	v_cndmask_b32_e64 v32, v32, v6, s[2:3]
	v_cndmask_b32_e64 v32, v32, v8, s[4:5]
	;; [unrolled: 1-line block ×9, first 2 shown]
	ds_read_b64 v[34:35], v98
	v_cndmask_b32_e64 v32, v32, v24, s[20:21]
	v_cndmask_b32_e64 v32, v32, v26, s[22:23]
	v_cndmask_b32_e64 v32, v32, v28, s[24:25]
	v_cndmask_b32_e64 v32, v32, v30, s[26:27]
	s_waitcnt lgkmcnt(0)
	v_mul_f64 v[32:33], v[32:33], v[34:35]
	s_cbranch_execz .LBB78_316
	s_branch .LBB78_317
.LBB78_315:
                                        ; implicit-def: $vgpr32_vgpr33
.LBB78_316:
	ds_read_b64 v[32:33], v98
.LBB78_317:
	v_cmp_ne_u32_e32 vcc, 10, v0
	s_and_saveexec_b64 s[4:5], vcc
	s_cbranch_execz .LBB78_321
; %bb.318:
	v_mov_b32_e32 v34, 0x88
	v_lshl_add_u32 v36, v0, 3, v34
	v_mov_b32_e32 v35, v1
	s_mov_b64 s[6:7], 0
	v_mov_b32_e32 v34, v0
.LBB78_319:                             ; =>This Inner Loop Header: Depth=1
	v_add_co_u32_e32 v34, vcc, 1, v34
	v_addc_co_u32_e32 v35, vcc, 0, v35, vcc
	v_cmp_eq_u32_e32 vcc, 1, v34
	v_cndmask_b32_e32 v39, v3, v5, vcc
	v_cmp_eq_u32_e64 s[2:3], 2, v34
	v_cndmask_b32_e64 v39, v39, v7, s[2:3]
	v_cndmask_b32_e32 v40, v2, v4, vcc
	v_cmp_eq_u32_e32 vcc, 3, v34
	v_cndmask_b32_e32 v39, v39, v9, vcc
	v_cndmask_b32_e64 v40, v40, v6, s[2:3]
	v_cmp_eq_u32_e64 s[2:3], 4, v34
	v_cndmask_b32_e64 v39, v39, v11, s[2:3]
	v_cndmask_b32_e32 v40, v40, v8, vcc
	v_cmp_eq_u32_e32 vcc, 5, v34
	v_cndmask_b32_e32 v39, v39, v13, vcc
	v_cndmask_b32_e64 v40, v40, v10, s[2:3]
	;; [unrolled: 6-line block ×4, first 2 shown]
	v_cmp_eq_u32_e64 s[2:3], 10, v34
	v_cndmask_b32_e64 v39, v39, v23, s[2:3]
	v_cndmask_b32_e32 v40, v40, v20, vcc
	v_cmp_eq_u32_e32 vcc, 11, v34
	ds_read_b64 v[37:38], v36
	v_cndmask_b32_e32 v39, v39, v25, vcc
	v_cndmask_b32_e64 v40, v40, v22, s[2:3]
	v_cmp_eq_u32_e64 s[2:3], 12, v34
	v_cndmask_b32_e64 v39, v39, v27, s[2:3]
	v_cndmask_b32_e32 v40, v40, v24, vcc
	v_cmp_eq_u32_e32 vcc, 13, v34
	v_cndmask_b32_e32 v39, v39, v29, vcc
	v_cndmask_b32_e64 v41, v40, v26, s[2:3]
	v_cmp_eq_u32_e64 s[2:3], 14, v34
	v_cndmask_b32_e64 v40, v39, v31, s[2:3]
	v_cndmask_b32_e32 v39, v41, v28, vcc
	v_cndmask_b32_e64 v39, v39, v30, s[2:3]
	s_waitcnt lgkmcnt(0)
	v_fma_f64 v[32:33], v[39:40], v[37:38], v[32:33]
	v_cmp_lt_u32_e32 vcc, 9, v34
	s_or_b64 s[6:7], vcc, s[6:7]
	v_add_u32_e32 v36, 8, v36
	s_andn2_b64 exec, exec, s[6:7]
	s_cbranch_execnz .LBB78_319
; %bb.320:
	s_or_b64 exec, exec, s[6:7]
.LBB78_321:
	s_or_b64 exec, exec, s[4:5]
	v_mov_b32_e32 v24, 0
	ds_read_b64 v[24:25], v24 offset:88
	s_waitcnt lgkmcnt(0)
	v_mul_f64 v[24:25], v[32:33], v[24:25]
.LBB78_322:
	s_or_b64 exec, exec, s[28:29]
	v_cmp_gt_u32_e32 vcc, 12, v0
	ds_write_b64 v98, v[26:27]
	s_waitcnt lgkmcnt(0)
	; wave barrier
	s_and_saveexec_b64 s[28:29], vcc
	s_cbranch_execz .LBB78_332
; %bb.323:
	s_and_b64 vcc, exec, s[0:1]
	s_cbranch_vccnz .LBB78_325
; %bb.324:
	v_cmp_eq_u32_e32 vcc, 1, v0
	v_cndmask_b32_e32 v32, v3, v5, vcc
	v_cmp_eq_u32_e64 s[2:3], 2, v0
	v_cndmask_b32_e64 v32, v32, v7, s[2:3]
	v_cmp_eq_u32_e64 s[4:5], 3, v0
	v_cndmask_b32_e64 v32, v32, v9, s[4:5]
	;; [unrolled: 2-line block ×13, first 2 shown]
	v_cndmask_b32_e32 v32, v2, v4, vcc
	v_cndmask_b32_e64 v32, v32, v6, s[2:3]
	v_cndmask_b32_e64 v32, v32, v8, s[4:5]
	;; [unrolled: 1-line block ×9, first 2 shown]
	ds_read_b64 v[34:35], v98
	v_cndmask_b32_e64 v32, v32, v24, s[20:21]
	v_cndmask_b32_e64 v32, v32, v26, s[22:23]
	;; [unrolled: 1-line block ×4, first 2 shown]
	s_waitcnt lgkmcnt(0)
	v_mul_f64 v[32:33], v[32:33], v[34:35]
	s_cbranch_execz .LBB78_326
	s_branch .LBB78_327
.LBB78_325:
                                        ; implicit-def: $vgpr32_vgpr33
.LBB78_326:
	ds_read_b64 v[32:33], v98
.LBB78_327:
	v_cmp_ne_u32_e32 vcc, 11, v0
	s_and_saveexec_b64 s[4:5], vcc
	s_cbranch_execz .LBB78_331
; %bb.328:
	v_mov_b32_e32 v34, 0x88
	v_lshl_add_u32 v36, v0, 3, v34
	v_mov_b32_e32 v35, v1
	s_mov_b64 s[6:7], 0
	v_mov_b32_e32 v34, v0
.LBB78_329:                             ; =>This Inner Loop Header: Depth=1
	v_add_co_u32_e32 v34, vcc, 1, v34
	v_addc_co_u32_e32 v35, vcc, 0, v35, vcc
	v_cmp_eq_u32_e32 vcc, 1, v34
	v_cndmask_b32_e32 v39, v3, v5, vcc
	v_cmp_eq_u32_e64 s[2:3], 2, v34
	v_cndmask_b32_e64 v39, v39, v7, s[2:3]
	v_cndmask_b32_e32 v40, v2, v4, vcc
	v_cmp_eq_u32_e32 vcc, 3, v34
	v_cndmask_b32_e32 v39, v39, v9, vcc
	v_cndmask_b32_e64 v40, v40, v6, s[2:3]
	v_cmp_eq_u32_e64 s[2:3], 4, v34
	v_cndmask_b32_e64 v39, v39, v11, s[2:3]
	v_cndmask_b32_e32 v40, v40, v8, vcc
	v_cmp_eq_u32_e32 vcc, 5, v34
	v_cndmask_b32_e32 v39, v39, v13, vcc
	v_cndmask_b32_e64 v40, v40, v10, s[2:3]
	;; [unrolled: 6-line block ×4, first 2 shown]
	v_cmp_eq_u32_e64 s[2:3], 10, v34
	v_cndmask_b32_e64 v39, v39, v23, s[2:3]
	v_cndmask_b32_e32 v40, v40, v20, vcc
	v_cmp_eq_u32_e32 vcc, 11, v34
	ds_read_b64 v[37:38], v36
	v_cndmask_b32_e32 v39, v39, v25, vcc
	v_cndmask_b32_e64 v40, v40, v22, s[2:3]
	v_cmp_eq_u32_e64 s[2:3], 12, v34
	v_cndmask_b32_e64 v39, v39, v27, s[2:3]
	v_cndmask_b32_e32 v40, v40, v24, vcc
	v_cmp_eq_u32_e32 vcc, 13, v34
	v_cndmask_b32_e32 v39, v39, v29, vcc
	v_cndmask_b32_e64 v41, v40, v26, s[2:3]
	v_cmp_eq_u32_e64 s[2:3], 14, v34
	v_cndmask_b32_e64 v40, v39, v31, s[2:3]
	v_cndmask_b32_e32 v39, v41, v28, vcc
	v_cndmask_b32_e64 v39, v39, v30, s[2:3]
	s_waitcnt lgkmcnt(0)
	v_fma_f64 v[32:33], v[39:40], v[37:38], v[32:33]
	v_cmp_lt_u32_e32 vcc, 10, v34
	s_or_b64 s[6:7], vcc, s[6:7]
	v_add_u32_e32 v36, 8, v36
	s_andn2_b64 exec, exec, s[6:7]
	s_cbranch_execnz .LBB78_329
; %bb.330:
	s_or_b64 exec, exec, s[6:7]
.LBB78_331:
	s_or_b64 exec, exec, s[4:5]
	v_mov_b32_e32 v26, 0
	ds_read_b64 v[26:27], v26 offset:96
	s_waitcnt lgkmcnt(0)
	v_mul_f64 v[26:27], v[32:33], v[26:27]
.LBB78_332:
	s_or_b64 exec, exec, s[28:29]
	v_cmp_gt_u32_e64 s[2:3], 13, v0
	ds_write_b64 v98, v[28:29]
	s_waitcnt lgkmcnt(0)
	; wave barrier
	s_and_saveexec_b64 s[30:31], s[2:3]
	s_cbranch_execz .LBB78_342
; %bb.333:
	s_and_b64 vcc, exec, s[0:1]
	s_cbranch_vccnz .LBB78_335
; %bb.334:
	v_cmp_eq_u32_e32 vcc, 1, v0
	v_cndmask_b32_e32 v32, v3, v5, vcc
	v_cmp_eq_u32_e64 s[4:5], 2, v0
	v_cndmask_b32_e64 v32, v32, v7, s[4:5]
	v_cmp_eq_u32_e64 s[6:7], 3, v0
	v_cndmask_b32_e64 v32, v32, v9, s[6:7]
	;; [unrolled: 2-line block ×13, first 2 shown]
	v_cndmask_b32_e32 v32, v2, v4, vcc
	v_cndmask_b32_e64 v32, v32, v6, s[4:5]
	v_cndmask_b32_e64 v32, v32, v8, s[6:7]
	;; [unrolled: 1-line block ×9, first 2 shown]
	ds_read_b64 v[34:35], v98
	v_cndmask_b32_e64 v32, v32, v24, s[22:23]
	v_cndmask_b32_e64 v32, v32, v26, s[24:25]
	;; [unrolled: 1-line block ×4, first 2 shown]
	s_waitcnt lgkmcnt(0)
	v_mul_f64 v[32:33], v[32:33], v[34:35]
	s_cbranch_execz .LBB78_336
	s_branch .LBB78_337
.LBB78_335:
                                        ; implicit-def: $vgpr32_vgpr33
.LBB78_336:
	ds_read_b64 v[32:33], v98
.LBB78_337:
	v_cmp_ne_u32_e32 vcc, 12, v0
	s_and_saveexec_b64 s[6:7], vcc
	s_cbranch_execz .LBB78_341
; %bb.338:
	v_mov_b32_e32 v34, 0x88
	v_lshl_add_u32 v36, v0, 3, v34
	v_mov_b32_e32 v35, v1
	s_mov_b64 s[8:9], 0
	v_mov_b32_e32 v34, v0
.LBB78_339:                             ; =>This Inner Loop Header: Depth=1
	v_add_co_u32_e32 v34, vcc, 1, v34
	v_addc_co_u32_e32 v35, vcc, 0, v35, vcc
	v_cmp_eq_u32_e32 vcc, 1, v34
	v_cndmask_b32_e32 v39, v3, v5, vcc
	v_cmp_eq_u32_e64 s[4:5], 2, v34
	v_cndmask_b32_e64 v39, v39, v7, s[4:5]
	v_cndmask_b32_e32 v40, v2, v4, vcc
	v_cmp_eq_u32_e32 vcc, 3, v34
	v_cndmask_b32_e32 v39, v39, v9, vcc
	v_cndmask_b32_e64 v40, v40, v6, s[4:5]
	v_cmp_eq_u32_e64 s[4:5], 4, v34
	v_cndmask_b32_e64 v39, v39, v11, s[4:5]
	v_cndmask_b32_e32 v40, v40, v8, vcc
	v_cmp_eq_u32_e32 vcc, 5, v34
	v_cndmask_b32_e32 v39, v39, v13, vcc
	v_cndmask_b32_e64 v40, v40, v10, s[4:5]
	v_cmp_eq_u32_e64 s[4:5], 6, v34
	v_cndmask_b32_e64 v39, v39, v15, s[4:5]
	v_cndmask_b32_e32 v40, v40, v12, vcc
	v_cmp_eq_u32_e32 vcc, 7, v34
	v_cndmask_b32_e32 v39, v39, v17, vcc
	v_cndmask_b32_e64 v40, v40, v14, s[4:5]
	v_cmp_eq_u32_e64 s[4:5], 8, v34
	v_cndmask_b32_e64 v39, v39, v19, s[4:5]
	v_cndmask_b32_e32 v40, v40, v16, vcc
	v_cmp_eq_u32_e32 vcc, 9, v34
	v_cndmask_b32_e32 v39, v39, v21, vcc
	v_cndmask_b32_e64 v40, v40, v18, s[4:5]
	v_cmp_eq_u32_e64 s[4:5], 10, v34
	v_cndmask_b32_e64 v39, v39, v23, s[4:5]
	v_cndmask_b32_e32 v40, v40, v20, vcc
	v_cmp_eq_u32_e32 vcc, 11, v34
	ds_read_b64 v[37:38], v36
	v_cndmask_b32_e32 v39, v39, v25, vcc
	v_cndmask_b32_e64 v40, v40, v22, s[4:5]
	v_cmp_eq_u32_e64 s[4:5], 12, v34
	v_cndmask_b32_e64 v39, v39, v27, s[4:5]
	v_cndmask_b32_e32 v40, v40, v24, vcc
	v_cmp_eq_u32_e32 vcc, 13, v34
	v_cndmask_b32_e32 v39, v39, v29, vcc
	v_cndmask_b32_e64 v41, v40, v26, s[4:5]
	v_cmp_eq_u32_e64 s[4:5], 14, v34
	v_cndmask_b32_e64 v40, v39, v31, s[4:5]
	v_cndmask_b32_e32 v39, v41, v28, vcc
	v_cndmask_b32_e64 v39, v39, v30, s[4:5]
	s_waitcnt lgkmcnt(0)
	v_fma_f64 v[32:33], v[39:40], v[37:38], v[32:33]
	v_cmp_lt_u32_e32 vcc, 11, v34
	s_or_b64 s[8:9], vcc, s[8:9]
	v_add_u32_e32 v36, 8, v36
	s_andn2_b64 exec, exec, s[8:9]
	s_cbranch_execnz .LBB78_339
; %bb.340:
	s_or_b64 exec, exec, s[8:9]
.LBB78_341:
	s_or_b64 exec, exec, s[6:7]
	v_mov_b32_e32 v28, 0
	ds_read_b64 v[28:29], v28 offset:104
	s_waitcnt lgkmcnt(0)
	v_mul_f64 v[28:29], v[32:33], v[28:29]
.LBB78_342:
	s_or_b64 exec, exec, s[30:31]
	v_cmp_ne_u32_e32 vcc, 14, v0
	ds_write_b64 v98, v[30:31]
	s_waitcnt lgkmcnt(0)
	; wave barrier
	s_and_saveexec_b64 s[28:29], vcc
	s_cbranch_execz .LBB78_352
; %bb.343:
	s_and_b64 vcc, exec, s[0:1]
	s_cbranch_vccnz .LBB78_345
; %bb.344:
	v_cmp_eq_u32_e32 vcc, 1, v0
	v_cndmask_b32_e32 v32, v3, v5, vcc
	v_cmp_eq_u32_e64 s[0:1], 2, v0
	v_cndmask_b32_e64 v32, v32, v7, s[0:1]
	v_cmp_eq_u32_e64 s[4:5], 3, v0
	v_cndmask_b32_e64 v32, v32, v9, s[4:5]
	;; [unrolled: 2-line block ×13, first 2 shown]
	v_cndmask_b32_e32 v32, v2, v4, vcc
	v_cndmask_b32_e64 v32, v32, v6, s[0:1]
	v_cndmask_b32_e64 v32, v32, v8, s[4:5]
	;; [unrolled: 1-line block ×9, first 2 shown]
	ds_read_b64 v[34:35], v98
	v_cndmask_b32_e64 v32, v32, v24, s[20:21]
	v_cndmask_b32_e64 v32, v32, v26, s[22:23]
	;; [unrolled: 1-line block ×4, first 2 shown]
	s_waitcnt lgkmcnt(0)
	v_mul_f64 v[32:33], v[32:33], v[34:35]
	s_cbranch_execz .LBB78_346
	s_branch .LBB78_347
.LBB78_345:
                                        ; implicit-def: $vgpr32_vgpr33
.LBB78_346:
	ds_read_b64 v[32:33], v98
.LBB78_347:
	s_and_saveexec_b64 s[4:5], s[2:3]
	s_cbranch_execz .LBB78_351
; %bb.348:
	v_mov_b32_e32 v34, 0x88
	v_lshl_add_u32 v34, v0, 3, v34
	s_mov_b64 s[2:3], 0
.LBB78_349:                             ; =>This Inner Loop Header: Depth=1
	v_add_co_u32_e32 v0, vcc, 1, v0
	v_addc_co_u32_e32 v1, vcc, 0, v1, vcc
	v_cmp_eq_u32_e32 vcc, 1, v0
	v_cndmask_b32_e32 v37, v3, v5, vcc
	v_cmp_eq_u32_e64 s[0:1], 2, v0
	v_cndmask_b32_e64 v37, v37, v7, s[0:1]
	v_cndmask_b32_e32 v38, v2, v4, vcc
	v_cmp_eq_u32_e32 vcc, 3, v0
	v_cndmask_b32_e32 v37, v37, v9, vcc
	v_cndmask_b32_e64 v38, v38, v6, s[0:1]
	v_cmp_eq_u32_e64 s[0:1], 4, v0
	v_cndmask_b32_e64 v37, v37, v11, s[0:1]
	v_cndmask_b32_e32 v38, v38, v8, vcc
	v_cmp_eq_u32_e32 vcc, 5, v0
	v_cndmask_b32_e32 v37, v37, v13, vcc
	v_cndmask_b32_e64 v38, v38, v10, s[0:1]
	;; [unrolled: 6-line block ×4, first 2 shown]
	v_cmp_eq_u32_e64 s[0:1], 10, v0
	v_cndmask_b32_e64 v37, v37, v23, s[0:1]
	v_cndmask_b32_e32 v38, v38, v20, vcc
	v_cmp_eq_u32_e32 vcc, 11, v0
	ds_read_b64 v[35:36], v34
	v_cndmask_b32_e32 v37, v37, v25, vcc
	v_cndmask_b32_e64 v38, v38, v22, s[0:1]
	v_cmp_eq_u32_e64 s[0:1], 12, v0
	v_cndmask_b32_e64 v37, v37, v27, s[0:1]
	v_cndmask_b32_e32 v38, v38, v24, vcc
	v_cmp_eq_u32_e32 vcc, 13, v0
	v_cndmask_b32_e32 v37, v37, v29, vcc
	v_cndmask_b32_e64 v39, v38, v26, s[0:1]
	v_cmp_eq_u32_e64 s[0:1], 14, v0
	v_cndmask_b32_e64 v38, v37, v31, s[0:1]
	v_cndmask_b32_e32 v37, v39, v28, vcc
	v_cndmask_b32_e64 v37, v37, v30, s[0:1]
	s_waitcnt lgkmcnt(0)
	v_fma_f64 v[32:33], v[37:38], v[35:36], v[32:33]
	v_cmp_lt_u32_e32 vcc, 12, v0
	s_or_b64 s[2:3], vcc, s[2:3]
	v_add_u32_e32 v34, 8, v34
	s_andn2_b64 exec, exec, s[2:3]
	s_cbranch_execnz .LBB78_349
; %bb.350:
	s_or_b64 exec, exec, s[2:3]
.LBB78_351:
	s_or_b64 exec, exec, s[4:5]
	v_mov_b32_e32 v0, 0
	ds_read_b64 v[0:1], v0 offset:112
	s_waitcnt lgkmcnt(0)
	v_mul_f64 v[30:31], v[32:33], v[0:1]
.LBB78_352:
	s_or_b64 exec, exec, s[28:29]
	v_mov_b32_e32 v65, v33
	v_mov_b32_e32 v64, v32
	;; [unrolled: 1-line block ×32, first 2 shown]
.LBB78_353:
	flat_store_dwordx2 v[92:93], v[34:35]
	flat_store_dwordx2 v[94:95], v[36:37]
	;; [unrolled: 1-line block ×15, first 2 shown]
.LBB78_354:
	s_endpgm
	.section	.rodata,"a",@progbits
	.p2align	6, 0x0
	.amdhsa_kernel _ZN9rocsolver6v33100L18trti2_kernel_smallILi15EdPKPdEEv13rocblas_fill_17rocblas_diagonal_T1_iil
		.amdhsa_group_segment_fixed_size 248
		.amdhsa_private_segment_fixed_size 0
		.amdhsa_kernarg_size 32
		.amdhsa_user_sgpr_count 6
		.amdhsa_user_sgpr_private_segment_buffer 1
		.amdhsa_user_sgpr_dispatch_ptr 0
		.amdhsa_user_sgpr_queue_ptr 0
		.amdhsa_user_sgpr_kernarg_segment_ptr 1
		.amdhsa_user_sgpr_dispatch_id 0
		.amdhsa_user_sgpr_flat_scratch_init 0
		.amdhsa_user_sgpr_private_segment_size 0
		.amdhsa_uses_dynamic_stack 0
		.amdhsa_system_sgpr_private_segment_wavefront_offset 0
		.amdhsa_system_sgpr_workgroup_id_x 1
		.amdhsa_system_sgpr_workgroup_id_y 0
		.amdhsa_system_sgpr_workgroup_id_z 0
		.amdhsa_system_sgpr_workgroup_info 0
		.amdhsa_system_vgpr_workitem_id 0
		.amdhsa_next_free_vgpr 118
		.amdhsa_next_free_sgpr 48
		.amdhsa_reserve_vcc 1
		.amdhsa_reserve_flat_scratch 0
		.amdhsa_float_round_mode_32 0
		.amdhsa_float_round_mode_16_64 0
		.amdhsa_float_denorm_mode_32 3
		.amdhsa_float_denorm_mode_16_64 3
		.amdhsa_dx10_clamp 1
		.amdhsa_ieee_mode 1
		.amdhsa_fp16_overflow 0
		.amdhsa_exception_fp_ieee_invalid_op 0
		.amdhsa_exception_fp_denorm_src 0
		.amdhsa_exception_fp_ieee_div_zero 0
		.amdhsa_exception_fp_ieee_overflow 0
		.amdhsa_exception_fp_ieee_underflow 0
		.amdhsa_exception_fp_ieee_inexact 0
		.amdhsa_exception_int_div_zero 0
	.end_amdhsa_kernel
	.section	.text._ZN9rocsolver6v33100L18trti2_kernel_smallILi15EdPKPdEEv13rocblas_fill_17rocblas_diagonal_T1_iil,"axG",@progbits,_ZN9rocsolver6v33100L18trti2_kernel_smallILi15EdPKPdEEv13rocblas_fill_17rocblas_diagonal_T1_iil,comdat
.Lfunc_end78:
	.size	_ZN9rocsolver6v33100L18trti2_kernel_smallILi15EdPKPdEEv13rocblas_fill_17rocblas_diagonal_T1_iil, .Lfunc_end78-_ZN9rocsolver6v33100L18trti2_kernel_smallILi15EdPKPdEEv13rocblas_fill_17rocblas_diagonal_T1_iil
                                        ; -- End function
	.set _ZN9rocsolver6v33100L18trti2_kernel_smallILi15EdPKPdEEv13rocblas_fill_17rocblas_diagonal_T1_iil.num_vgpr, 118
	.set _ZN9rocsolver6v33100L18trti2_kernel_smallILi15EdPKPdEEv13rocblas_fill_17rocblas_diagonal_T1_iil.num_agpr, 0
	.set _ZN9rocsolver6v33100L18trti2_kernel_smallILi15EdPKPdEEv13rocblas_fill_17rocblas_diagonal_T1_iil.numbered_sgpr, 48
	.set _ZN9rocsolver6v33100L18trti2_kernel_smallILi15EdPKPdEEv13rocblas_fill_17rocblas_diagonal_T1_iil.num_named_barrier, 0
	.set _ZN9rocsolver6v33100L18trti2_kernel_smallILi15EdPKPdEEv13rocblas_fill_17rocblas_diagonal_T1_iil.private_seg_size, 0
	.set _ZN9rocsolver6v33100L18trti2_kernel_smallILi15EdPKPdEEv13rocblas_fill_17rocblas_diagonal_T1_iil.uses_vcc, 1
	.set _ZN9rocsolver6v33100L18trti2_kernel_smallILi15EdPKPdEEv13rocblas_fill_17rocblas_diagonal_T1_iil.uses_flat_scratch, 0
	.set _ZN9rocsolver6v33100L18trti2_kernel_smallILi15EdPKPdEEv13rocblas_fill_17rocblas_diagonal_T1_iil.has_dyn_sized_stack, 0
	.set _ZN9rocsolver6v33100L18trti2_kernel_smallILi15EdPKPdEEv13rocblas_fill_17rocblas_diagonal_T1_iil.has_recursion, 0
	.set _ZN9rocsolver6v33100L18trti2_kernel_smallILi15EdPKPdEEv13rocblas_fill_17rocblas_diagonal_T1_iil.has_indirect_call, 0
	.section	.AMDGPU.csdata,"",@progbits
; Kernel info:
; codeLenInByte = 29920
; TotalNumSgprs: 52
; NumVgprs: 118
; ScratchSize: 0
; MemoryBound: 0
; FloatMode: 240
; IeeeMode: 1
; LDSByteSize: 248 bytes/workgroup (compile time only)
; SGPRBlocks: 6
; VGPRBlocks: 29
; NumSGPRsForWavesPerEU: 52
; NumVGPRsForWavesPerEU: 118
; Occupancy: 2
; WaveLimiterHint : 1
; COMPUTE_PGM_RSRC2:SCRATCH_EN: 0
; COMPUTE_PGM_RSRC2:USER_SGPR: 6
; COMPUTE_PGM_RSRC2:TRAP_HANDLER: 0
; COMPUTE_PGM_RSRC2:TGID_X_EN: 1
; COMPUTE_PGM_RSRC2:TGID_Y_EN: 0
; COMPUTE_PGM_RSRC2:TGID_Z_EN: 0
; COMPUTE_PGM_RSRC2:TIDIG_COMP_CNT: 0
	.section	.text._ZN9rocsolver6v33100L18trti2_kernel_smallILi16EdPKPdEEv13rocblas_fill_17rocblas_diagonal_T1_iil,"axG",@progbits,_ZN9rocsolver6v33100L18trti2_kernel_smallILi16EdPKPdEEv13rocblas_fill_17rocblas_diagonal_T1_iil,comdat
	.globl	_ZN9rocsolver6v33100L18trti2_kernel_smallILi16EdPKPdEEv13rocblas_fill_17rocblas_diagonal_T1_iil ; -- Begin function _ZN9rocsolver6v33100L18trti2_kernel_smallILi16EdPKPdEEv13rocblas_fill_17rocblas_diagonal_T1_iil
	.p2align	8
	.type	_ZN9rocsolver6v33100L18trti2_kernel_smallILi16EdPKPdEEv13rocblas_fill_17rocblas_diagonal_T1_iil,@function
_ZN9rocsolver6v33100L18trti2_kernel_smallILi16EdPKPdEEv13rocblas_fill_17rocblas_diagonal_T1_iil: ; @_ZN9rocsolver6v33100L18trti2_kernel_smallILi16EdPKPdEEv13rocblas_fill_17rocblas_diagonal_T1_iil
; %bb.0:
	v_cmp_gt_u32_e32 vcc, 16, v0
	s_and_saveexec_b64 s[0:1], vcc
	s_cbranch_execz .LBB79_380
; %bb.1:
	s_load_dwordx2 s[0:1], s[4:5], 0x10
	s_load_dwordx4 s[36:39], s[4:5], 0x0
	s_ashr_i32 s7, s6, 31
	s_lshl_b64 s[2:3], s[6:7], 3
	v_lshlrev_b32_e32 v36, 3, v0
	s_waitcnt lgkmcnt(0)
	s_ashr_i32 s5, s0, 31
	s_add_u32 s2, s38, s2
	s_addc_u32 s3, s39, s3
	s_load_dwordx2 s[2:3], s[2:3], 0x0
	s_mov_b32 s4, s0
	s_lshl_b64 s[4:5], s[4:5], 3
	v_mov_b32_e32 v34, 0
	v_mov_b32_e32 v35, 0xbff00000
	s_waitcnt lgkmcnt(0)
	s_add_u32 s0, s2, s4
	s_addc_u32 s2, s3, s5
	s_add_i32 s3, s1, s1
	v_add_u32_e32 v1, s3, v0
	v_ashrrev_i32_e32 v2, 31, v1
	v_lshlrev_b64 v[2:3], 3, v[1:2]
	v_add_u32_e32 v1, s1, v1
	v_mov_b32_e32 v4, s2
	v_add_co_u32_e32 v66, vcc, s0, v2
	v_ashrrev_i32_e32 v2, 31, v1
	v_addc_co_u32_e32 v67, vcc, v4, v3, vcc
	v_lshlrev_b64 v[2:3], 3, v[1:2]
	v_add_u32_e32 v1, s1, v1
	v_add_co_u32_e32 v68, vcc, s0, v2
	v_ashrrev_i32_e32 v2, 31, v1
	v_addc_co_u32_e32 v69, vcc, v4, v3, vcc
	v_lshlrev_b64 v[2:3], 3, v[1:2]
	v_add_u32_e32 v1, s1, v1
	;; [unrolled: 5-line block ×12, first 2 shown]
	v_add_co_u32_e32 v90, vcc, s0, v2
	v_ashrrev_i32_e32 v2, 31, v1
	v_lshlrev_b64 v[1:2], 3, v[1:2]
	v_addc_co_u32_e32 v91, vcc, v4, v3, vcc
	v_mov_b32_e32 v3, s2
	v_add_co_u32_e32 v92, vcc, s0, v1
	v_addc_co_u32_e32 v93, vcc, v3, v2, vcc
	v_mov_b32_e32 v1, s2
	v_add_co_u32_e32 v94, vcc, s0, v36
	s_ashr_i32 s3, s1, 31
	s_mov_b32 s2, s1
	v_addc_co_u32_e32 v95, vcc, 0, v1, vcc
	s_lshl_b64 s[0:1], s[2:3], 3
	v_mov_b32_e32 v1, s1
	v_add_co_u32_e32 v96, vcc, s0, v94
	v_addc_co_u32_e32 v97, vcc, v95, v1, vcc
	flat_load_dwordx2 v[2:3], v[94:95]
	flat_load_dwordx2 v[4:5], v[96:97]
	;; [unrolled: 1-line block ×16, first 2 shown]
	s_cmpk_lg_i32 s37, 0x84
	s_cselect_b64 s[34:35], -1, 0
	s_cmpk_eq_i32 s37, 0x84
	v_mov_b32_e32 v1, 0
	s_cbranch_scc1 .LBB79_3
; %bb.2:
	v_cmp_eq_u32_e64 s[0:1], 1, v0
	s_waitcnt vmcnt(0) lgkmcnt(0)
	v_cndmask_b32_e64 v34, v3, v5, s[0:1]
	v_cmp_eq_u32_e64 s[2:3], 2, v0
	v_cndmask_b32_e64 v34, v34, v7, s[2:3]
	v_cmp_eq_u32_e64 s[4:5], 3, v0
	;; [unrolled: 2-line block ×14, first 2 shown]
	v_cndmask_b32_e64 v35, v34, v33, s[28:29]
	v_cndmask_b32_e64 v34, v2, v4, s[0:1]
	;; [unrolled: 1-line block ×16, first 2 shown]
	v_div_scale_f64 v[37:38], s[30:31], v[34:35], v[34:35], 1.0
	v_rcp_f64_e32 v[39:40], v[37:38]
	v_fma_f64 v[41:42], -v[37:38], v[39:40], 1.0
	v_fma_f64 v[39:40], v[39:40], v[41:42], v[39:40]
	v_div_scale_f64 v[41:42], vcc, 1.0, v[34:35], 1.0
	v_fma_f64 v[43:44], -v[37:38], v[39:40], 1.0
	v_fma_f64 v[39:40], v[39:40], v[43:44], v[39:40]
	v_mul_f64 v[43:44], v[41:42], v[39:40]
	v_fma_f64 v[37:38], -v[37:38], v[43:44], v[41:42]
	v_div_fmas_f64 v[37:38], v[37:38], v[39:40], v[43:44]
	v_cmp_eq_u32_e32 vcc, 0, v0
	v_div_fixup_f64 v[34:35], v[37:38], v[34:35], 1.0
	v_cndmask_b32_e64 v33, v33, v35, s[28:29]
	v_cndmask_b32_e64 v32, v32, v34, s[28:29]
	;; [unrolled: 1-line block ×30, first 2 shown]
	v_cndmask_b32_e32 v3, v3, v35, vcc
	v_cndmask_b32_e32 v2, v2, v34, vcc
	v_xor_b32_e32 v35, 0x80000000, v35
.LBB79_3:
	s_cmpk_eq_i32 s36, 0x79
	v_add_u32_e32 v100, 0x80, v36
	ds_write_b64 v36, v[34:35]
	s_cbranch_scc1 .LBB79_7
; %bb.4:
	s_waitcnt vmcnt(0) lgkmcnt(0)
	v_mov_b32_e32 v65, v33
	v_mov_b32_e32 v64, v32
	;; [unrolled: 1-line block ×32, first 2 shown]
	v_cmp_eq_u32_e64 s[0:1], 15, v0
	ds_write_b64 v100, v[30:31]
	s_waitcnt lgkmcnt(0)
	; wave barrier
	s_and_saveexec_b64 s[30:31], s[0:1]
	s_cbranch_execz .LBB79_11
; %bb.5:
	s_and_b64 vcc, exec, s[34:35]
	s_cbranch_vccz .LBB79_8
; %bb.6:
	v_cmp_eq_u32_e32 vcc, 1, v0
	v_cndmask_b32_e32 v34, v3, v5, vcc
	v_cmp_eq_u32_e64 s[2:3], 2, v0
	v_cndmask_b32_e64 v34, v34, v7, s[2:3]
	v_cmp_eq_u32_e64 s[4:5], 3, v0
	v_cndmask_b32_e64 v34, v34, v9, s[4:5]
	;; [unrolled: 2-line block ×14, first 2 shown]
	v_cndmask_b32_e32 v34, v2, v4, vcc
	v_cndmask_b32_e64 v34, v34, v6, s[2:3]
	v_cndmask_b32_e64 v34, v34, v8, s[4:5]
	;; [unrolled: 1-line block ×10, first 2 shown]
	ds_read_b64 v[36:37], v100
	v_cndmask_b32_e64 v34, v34, v26, s[22:23]
	v_cndmask_b32_e64 v34, v34, v28, s[24:25]
	;; [unrolled: 1-line block ×4, first 2 shown]
	s_waitcnt lgkmcnt(0)
	v_mul_f64 v[34:35], v[34:35], v[36:37]
	s_cbranch_execz .LBB79_9
	s_branch .LBB79_10
.LBB79_7:
                                        ; implicit-def: $vgpr34_vgpr35_vgpr36_vgpr37_vgpr38_vgpr39_vgpr40_vgpr41_vgpr42_vgpr43_vgpr44_vgpr45_vgpr46_vgpr47_vgpr48_vgpr49_vgpr50_vgpr51_vgpr52_vgpr53_vgpr54_vgpr55_vgpr56_vgpr57_vgpr58_vgpr59_vgpr60_vgpr61_vgpr62_vgpr63_vgpr64_vgpr65
	s_cbranch_execnz .LBB79_226
	s_branch .LBB79_379
.LBB79_8:
                                        ; implicit-def: $vgpr34_vgpr35
.LBB79_9:
	ds_read_b64 v[34:35], v100
.LBB79_10:
	v_mov_b32_e32 v36, 0
	ds_read_b64 v[36:37], v36 offset:112
	s_waitcnt lgkmcnt(0)
	v_mul_f64 v[98:99], v[34:35], v[36:37]
	v_mov_b32_e32 v65, v33
	v_mov_b32_e32 v63, v31
	;; [unrolled: 1-line block ×34, first 2 shown]
.LBB79_11:
	s_or_b64 exec, exec, s[30:31]
	v_cmp_lt_u32_e64 s[2:3], 13, v0
	ds_write_b64 v100, v[60:61]
	s_waitcnt lgkmcnt(0)
	; wave barrier
	s_and_saveexec_b64 s[36:37], s[2:3]
	s_cbranch_execz .LBB79_17
; %bb.12:
	s_andn2_b64 vcc, exec, s[34:35]
	s_cbranch_vccnz .LBB79_14
; %bb.13:
	v_cmp_eq_u32_e32 vcc, 1, v0
	v_cndmask_b32_e32 v98, v35, v37, vcc
	v_cmp_eq_u32_e64 s[4:5], 2, v0
	v_cndmask_b32_e64 v98, v98, v39, s[4:5]
	v_cmp_eq_u32_e64 s[6:7], 3, v0
	v_cndmask_b32_e64 v98, v98, v41, s[6:7]
	;; [unrolled: 2-line block ×12, first 2 shown]
	v_cndmask_b32_e32 v98, v34, v36, vcc
	v_cndmask_b32_e64 v98, v98, v38, s[4:5]
	v_cndmask_b32_e64 v98, v98, v40, s[6:7]
	;; [unrolled: 1-line block ×10, first 2 shown]
	ds_read_b64 v[98:99], v100
	v_cndmask_b32_e64 v101, v101, v58, s[24:25]
	v_cmp_eq_u32_e64 s[28:29], 14, v0
	v_cndmask_b32_e64 v60, v101, v60, s[26:27]
	v_cndmask_b32_e64 v61, v61, v63, s[28:29]
	v_cmp_eq_u32_e64 s[30:31], 15, v0
	v_cndmask_b32_e64 v60, v60, v62, s[28:29]
	v_cndmask_b32_e64 v61, v61, v65, s[30:31]
	;; [unrolled: 1-line block ×3, first 2 shown]
	s_waitcnt lgkmcnt(0)
	v_mul_f64 v[60:61], v[60:61], v[98:99]
	s_cbranch_execz .LBB79_15
	s_branch .LBB79_16
.LBB79_14:
                                        ; implicit-def: $vgpr60_vgpr61
.LBB79_15:
	ds_read_b64 v[60:61], v100
.LBB79_16:
	v_mov_b32_e32 v98, 0
	ds_read2_b64 v[101:104], v98 offset0:13 offset1:30
	s_waitcnt lgkmcnt(0)
	v_fma_f64 v[98:99], v[62:63], v[103:104], v[60:61]
	v_cndmask_b32_e64 v61, v61, v99, s[0:1]
	v_cndmask_b32_e64 v60, v60, v98, s[0:1]
	v_mul_f64 v[60:61], v[60:61], v[101:102]
.LBB79_17:
	s_or_b64 exec, exec, s[36:37]
	v_cmp_lt_u32_e64 s[0:1], 12, v0
	ds_write_b64 v100, v[58:59]
	s_waitcnt lgkmcnt(0)
	; wave barrier
	s_and_saveexec_b64 s[36:37], s[0:1]
	s_cbranch_execz .LBB79_33
; %bb.18:
	s_andn2_b64 vcc, exec, s[34:35]
	s_cbranch_vccnz .LBB79_20
; %bb.19:
	v_cmp_eq_u32_e32 vcc, 1, v0
	v_cndmask_b32_e32 v98, v35, v37, vcc
	v_cmp_eq_u32_e64 s[4:5], 2, v0
	v_cndmask_b32_e64 v98, v98, v39, s[4:5]
	v_cmp_eq_u32_e64 s[6:7], 3, v0
	v_cndmask_b32_e64 v98, v98, v41, s[6:7]
	;; [unrolled: 2-line block ×14, first 2 shown]
	v_cndmask_b32_e32 v98, v34, v36, vcc
	v_cndmask_b32_e64 v98, v98, v38, s[4:5]
	v_cndmask_b32_e64 v98, v98, v40, s[6:7]
	;; [unrolled: 1-line block ×10, first 2 shown]
	ds_read_b64 v[101:102], v100
	v_cndmask_b32_e64 v98, v98, v58, s[24:25]
	v_cndmask_b32_e64 v98, v98, v60, s[26:27]
	;; [unrolled: 1-line block ×4, first 2 shown]
	s_waitcnt lgkmcnt(0)
	v_mul_f64 v[98:99], v[98:99], v[101:102]
	s_cbranch_execz .LBB79_21
	s_branch .LBB79_22
.LBB79_20:
                                        ; implicit-def: $vgpr98_vgpr99
.LBB79_21:
	ds_read_b64 v[98:99], v100
.LBB79_22:
	s_and_saveexec_b64 s[4:5], s[2:3]
	s_cbranch_execz .LBB79_32
; %bb.23:
	v_add_u32_e32 v101, -14, v0
	v_add_u32_e32 v102, -13, v0
	v_cmp_lt_u32_e32 vcc, 6, v101
	v_mov_b32_e32 v101, 13
	s_and_saveexec_b64 s[2:3], vcc
	s_cbranch_execz .LBB79_27
; %bb.24:
	v_and_b32_e32 v101, -8, v102
	v_sub_u32_e32 v103, 0, v101
	s_mov_b64 s[6:7], 20
	s_movk_i32 s10, 0xe8
	s_mov_b64 s[8:9], 0
.LBB79_25:                              ; =>This Inner Loop Header: Depth=1
	s_lshl_b32 s11, s6, 1
	s_add_i32 s12, s11, -13
	v_mov_b32_e32 v101, s10
	s_add_i32 s13, s11, -14
	s_set_gpr_idx_on s12, gpr_idx(SRC0)
	v_mov_b32_e32 v109, v34
	s_set_gpr_idx_off
	s_set_gpr_idx_on s13, gpr_idx(SRC0)
	v_mov_b32_e32 v108, v34
	s_set_gpr_idx_off
	ds_read2_b64 v[104:107], v101 offset1:1
	s_add_i32 s12, s11, -11
	s_add_i32 s13, s11, -12
	;; [unrolled: 1-line block ×4, first 2 shown]
	s_waitcnt lgkmcnt(0)
	v_fma_f64 v[98:99], v[108:109], v[104:105], v[98:99]
	s_set_gpr_idx_on s12, gpr_idx(SRC0)
	v_mov_b32_e32 v105, v34
	s_set_gpr_idx_off
	s_set_gpr_idx_on s13, gpr_idx(SRC0)
	v_mov_b32_e32 v104, v34
	s_set_gpr_idx_off
	s_add_i32 s12, s11, -7
	s_add_i32 s13, s11, -8
	v_fma_f64 v[98:99], v[104:105], v[106:107], v[98:99]
	s_set_gpr_idx_on s14, gpr_idx(SRC0)
	v_mov_b32_e32 v109, v34
	s_set_gpr_idx_off
	s_set_gpr_idx_on s15, gpr_idx(SRC0)
	v_mov_b32_e32 v108, v34
	s_set_gpr_idx_off
	ds_read2_b64 v[104:107], v101 offset0:2 offset1:3
	s_add_i32 s14, s11, -5
	s_add_i32 s15, s11, -6
	s_waitcnt lgkmcnt(0)
	v_fma_f64 v[98:99], v[108:109], v[104:105], v[98:99]
	s_set_gpr_idx_on s12, gpr_idx(SRC0)
	v_mov_b32_e32 v105, v34
	s_set_gpr_idx_off
	s_set_gpr_idx_on s13, gpr_idx(SRC0)
	v_mov_b32_e32 v104, v34
	s_set_gpr_idx_off
	s_add_i32 s12, s11, -3
	s_add_i32 s13, s11, -4
	v_fma_f64 v[98:99], v[104:105], v[106:107], v[98:99]
	s_set_gpr_idx_on s14, gpr_idx(SRC0)
	v_mov_b32_e32 v109, v34
	s_set_gpr_idx_off
	s_set_gpr_idx_on s15, gpr_idx(SRC0)
	v_mov_b32_e32 v108, v34
	s_set_gpr_idx_off
	ds_read2_b64 v[104:107], v101 offset0:4 offset1:5
	s_add_i32 s14, s11, -1
	s_add_i32 s15, s11, -2
	s_add_u32 s6, s6, 8
	s_addc_u32 s7, s7, 0
	s_waitcnt lgkmcnt(0)
	v_fma_f64 v[98:99], v[108:109], v[104:105], v[98:99]
	s_set_gpr_idx_on s12, gpr_idx(SRC0)
	v_mov_b32_e32 v105, v34
	s_set_gpr_idx_off
	s_set_gpr_idx_on s13, gpr_idx(SRC0)
	v_mov_b32_e32 v104, v34
	s_set_gpr_idx_off
	s_add_i32 s10, s10, 64
	v_fma_f64 v[98:99], v[104:105], v[106:107], v[98:99]
	s_set_gpr_idx_on s14, gpr_idx(SRC0)
	v_mov_b32_e32 v109, v34
	s_set_gpr_idx_off
	s_set_gpr_idx_on s15, gpr_idx(SRC0)
	v_mov_b32_e32 v108, v34
	s_set_gpr_idx_off
	ds_read2_b64 v[104:107], v101 offset0:6 offset1:7
	v_add_u32_e32 v101, s6, v103
	v_cmp_eq_u32_e32 vcc, 20, v101
	s_waitcnt lgkmcnt(0)
	v_fma_f64 v[98:99], v[108:109], v[104:105], v[98:99]
	s_set_gpr_idx_on s11, gpr_idx(SRC0)
	v_mov_b32_e32 v105, v35
	v_mov_b32_e32 v104, v34
	s_set_gpr_idx_off
	s_add_i32 s11, s6, -7
	s_or_b64 s[8:9], vcc, s[8:9]
	v_mov_b32_e32 v101, s11
	v_fma_f64 v[98:99], v[104:105], v[106:107], v[98:99]
	s_andn2_b64 exec, exec, s[8:9]
	s_cbranch_execnz .LBB79_25
; %bb.26:
	s_or_b64 exec, exec, s[8:9]
.LBB79_27:
	s_or_b64 exec, exec, s[2:3]
	v_and_b32_e32 v102, 7, v102
	v_cmp_ne_u32_e32 vcc, 0, v102
	s_and_saveexec_b64 s[6:7], vcc
	s_cbranch_execz .LBB79_31
; %bb.28:
	v_mov_b32_e32 v103, 0x80
	v_lshl_add_u32 v103, v101, 3, v103
	v_mov_b32_e32 v104, 0
	s_mov_b64 s[8:9], 0
.LBB79_29:                              ; =>This Inner Loop Header: Depth=1
	v_cmp_eq_u32_e32 vcc, 1, v101
	v_cndmask_b32_e32 v107, v35, v37, vcc
	v_cmp_eq_u32_e64 s[2:3], 2, v101
	v_cndmask_b32_e64 v107, v107, v39, s[2:3]
	v_cndmask_b32_e32 v108, v34, v36, vcc
	v_cmp_eq_u32_e32 vcc, 3, v101
	v_cndmask_b32_e32 v107, v107, v41, vcc
	v_cndmask_b32_e64 v108, v108, v38, s[2:3]
	v_cmp_eq_u32_e64 s[2:3], 4, v101
	v_cndmask_b32_e64 v107, v107, v43, s[2:3]
	v_cndmask_b32_e32 v108, v108, v40, vcc
	v_cmp_eq_u32_e32 vcc, 5, v101
	v_cndmask_b32_e32 v107, v107, v45, vcc
	v_cndmask_b32_e64 v108, v108, v42, s[2:3]
	;; [unrolled: 6-line block ×5, first 2 shown]
	v_cmp_eq_u32_e64 s[2:3], 12, v101
	ds_read_b64 v[105:106], v103
	v_cndmask_b32_e64 v107, v107, v59, s[2:3]
	v_cndmask_b32_e32 v108, v108, v56, vcc
	v_cmp_eq_u32_e32 vcc, 13, v101
	v_cndmask_b32_e32 v107, v107, v61, vcc
	v_cndmask_b32_e64 v108, v108, v58, s[2:3]
	v_cmp_eq_u32_e64 s[2:3], 14, v101
	v_cndmask_b32_e64 v107, v107, v63, s[2:3]
	v_cndmask_b32_e32 v109, v108, v60, vcc
	v_cmp_eq_u32_e32 vcc, 15, v101
	v_cndmask_b32_e32 v108, v107, v65, vcc
	v_cndmask_b32_e64 v107, v109, v62, s[2:3]
	v_cndmask_b32_e32 v107, v107, v64, vcc
	s_waitcnt lgkmcnt(0)
	v_fma_f64 v[98:99], v[107:108], v[105:106], v[98:99]
	v_add_u32_e32 v102, -1, v102
	v_cmp_eq_u32_e32 vcc, 0, v102
	s_or_b64 s[8:9], vcc, s[8:9]
	v_add_co_u32_e32 v101, vcc, 1, v101
	v_add_u32_e32 v103, 8, v103
	v_addc_co_u32_e32 v104, vcc, 0, v104, vcc
	s_andn2_b64 exec, exec, s[8:9]
	s_cbranch_execnz .LBB79_29
; %bb.30:
	s_or_b64 exec, exec, s[8:9]
.LBB79_31:
	s_or_b64 exec, exec, s[6:7]
.LBB79_32:
	s_or_b64 exec, exec, s[4:5]
	v_mov_b32_e32 v58, 0
	ds_read_b64 v[58:59], v58 offset:96
	s_waitcnt lgkmcnt(0)
	v_mul_f64 v[58:59], v[98:99], v[58:59]
.LBB79_33:
	s_or_b64 exec, exec, s[36:37]
	v_cmp_lt_u32_e64 s[2:3], 11, v0
	ds_write_b64 v100, v[56:57]
	s_waitcnt lgkmcnt(0)
	; wave barrier
	s_and_saveexec_b64 s[36:37], s[2:3]
	s_cbranch_execz .LBB79_49
; %bb.34:
	s_andn2_b64 vcc, exec, s[34:35]
	s_cbranch_vccnz .LBB79_36
; %bb.35:
	v_cmp_eq_u32_e32 vcc, 1, v0
	v_cndmask_b32_e32 v98, v35, v37, vcc
	v_cmp_eq_u32_e64 s[4:5], 2, v0
	v_cndmask_b32_e64 v98, v98, v39, s[4:5]
	v_cmp_eq_u32_e64 s[6:7], 3, v0
	v_cndmask_b32_e64 v98, v98, v41, s[6:7]
	v_cmp_eq_u32_e64 s[8:9], 4, v0
	v_cndmask_b32_e64 v98, v98, v43, s[8:9]
	v_cmp_eq_u32_e64 s[10:11], 5, v0
	v_cndmask_b32_e64 v98, v98, v45, s[10:11]
	v_cmp_eq_u32_e64 s[12:13], 6, v0
	v_cndmask_b32_e64 v98, v98, v47, s[12:13]
	v_cmp_eq_u32_e64 s[14:15], 7, v0
	v_cndmask_b32_e64 v98, v98, v49, s[14:15]
	v_cmp_eq_u32_e64 s[16:17], 8, v0
	v_cndmask_b32_e64 v98, v98, v51, s[16:17]
	v_cmp_eq_u32_e64 s[18:19], 9, v0
	v_cndmask_b32_e64 v98, v98, v53, s[18:19]
	v_cmp_eq_u32_e64 s[20:21], 10, v0
	v_cndmask_b32_e64 v98, v98, v55, s[20:21]
	v_cmp_eq_u32_e64 s[22:23], 11, v0
	v_cndmask_b32_e64 v98, v98, v57, s[22:23]
	v_cmp_eq_u32_e64 s[24:25], 12, v0
	v_cndmask_b32_e64 v98, v98, v59, s[24:25]
	v_cmp_eq_u32_e64 s[26:27], 13, v0
	v_cndmask_b32_e64 v98, v98, v61, s[26:27]
	v_cmp_eq_u32_e64 s[28:29], 14, v0
	v_cndmask_b32_e64 v98, v98, v63, s[28:29]
	v_cmp_eq_u32_e64 s[30:31], 15, v0
	v_cndmask_b32_e64 v99, v98, v65, s[30:31]
	v_cndmask_b32_e32 v98, v34, v36, vcc
	v_cndmask_b32_e64 v98, v98, v38, s[4:5]
	v_cndmask_b32_e64 v98, v98, v40, s[6:7]
	v_cndmask_b32_e64 v98, v98, v42, s[8:9]
	v_cndmask_b32_e64 v98, v98, v44, s[10:11]
	v_cndmask_b32_e64 v98, v98, v46, s[12:13]
	v_cndmask_b32_e64 v98, v98, v48, s[14:15]
	v_cndmask_b32_e64 v98, v98, v50, s[16:17]
	v_cndmask_b32_e64 v98, v98, v52, s[18:19]
	v_cndmask_b32_e64 v98, v98, v54, s[20:21]
	v_cndmask_b32_e64 v98, v98, v56, s[22:23]
	ds_read_b64 v[101:102], v100
	v_cndmask_b32_e64 v98, v98, v58, s[24:25]
	v_cndmask_b32_e64 v98, v98, v60, s[26:27]
	;; [unrolled: 1-line block ×4, first 2 shown]
	s_waitcnt lgkmcnt(0)
	v_mul_f64 v[98:99], v[98:99], v[101:102]
	s_cbranch_execz .LBB79_37
	s_branch .LBB79_38
.LBB79_36:
                                        ; implicit-def: $vgpr98_vgpr99
.LBB79_37:
	ds_read_b64 v[98:99], v100
.LBB79_38:
	s_and_saveexec_b64 s[4:5], s[0:1]
	s_cbranch_execz .LBB79_48
; %bb.39:
	v_add_u32_e32 v101, -13, v0
	v_add_u32_e32 v102, -12, v0
	v_cmp_lt_u32_e32 vcc, 6, v101
	v_mov_b32_e32 v101, 12
	s_and_saveexec_b64 s[0:1], vcc
	s_cbranch_execz .LBB79_43
; %bb.40:
	v_and_b32_e32 v101, -8, v102
	v_sub_u32_e32 v103, 0, v101
	s_mov_b64 s[6:7], 19
	s_movk_i32 s10, 0xe0
	s_mov_b64 s[8:9], 0
.LBB79_41:                              ; =>This Inner Loop Header: Depth=1
	s_lshl_b32 s11, s6, 1
	s_add_i32 s12, s11, -13
	v_mov_b32_e32 v101, s10
	s_add_i32 s13, s11, -14
	s_set_gpr_idx_on s12, gpr_idx(SRC0)
	v_mov_b32_e32 v113, v34
	s_set_gpr_idx_off
	s_set_gpr_idx_on s13, gpr_idx(SRC0)
	v_mov_b32_e32 v112, v34
	s_set_gpr_idx_off
	ds_read_b128 v[104:107], v101
	ds_read_b128 v[108:111], v101 offset:16
	s_add_i32 s12, s11, -11
	s_add_i32 s13, s11, -12
	s_waitcnt lgkmcnt(1)
	v_fma_f64 v[98:99], v[112:113], v[104:105], v[98:99]
	ds_read_b128 v[112:115], v101 offset:32
	ds_read_b128 v[116:119], v101 offset:48
	s_set_gpr_idx_on s12, gpr_idx(SRC0)
	v_mov_b32_e32 v105, v34
	s_set_gpr_idx_off
	s_set_gpr_idx_on s13, gpr_idx(SRC0)
	v_mov_b32_e32 v104, v34
	s_set_gpr_idx_off
	s_add_i32 s12, s11, -9
	s_add_i32 s13, s11, -10
	v_fma_f64 v[98:99], v[104:105], v[106:107], v[98:99]
	s_set_gpr_idx_on s12, gpr_idx(SRC0)
	v_mov_b32_e32 v105, v34
	s_set_gpr_idx_off
	s_set_gpr_idx_on s13, gpr_idx(SRC0)
	v_mov_b32_e32 v104, v34
	s_set_gpr_idx_off
	s_add_i32 s12, s11, -7
	s_add_i32 s13, s11, -8
	s_waitcnt lgkmcnt(2)
	v_fma_f64 v[98:99], v[104:105], v[108:109], v[98:99]
	s_set_gpr_idx_on s12, gpr_idx(SRC0)
	v_mov_b32_e32 v105, v34
	s_set_gpr_idx_off
	s_set_gpr_idx_on s13, gpr_idx(SRC0)
	v_mov_b32_e32 v104, v34
	s_set_gpr_idx_off
	s_add_i32 s12, s11, -5
	s_add_i32 s13, s11, -6
	v_fma_f64 v[98:99], v[104:105], v[110:111], v[98:99]
	s_set_gpr_idx_on s12, gpr_idx(SRC0)
	v_mov_b32_e32 v105, v34
	s_set_gpr_idx_off
	s_set_gpr_idx_on s13, gpr_idx(SRC0)
	v_mov_b32_e32 v104, v34
	s_set_gpr_idx_off
	s_add_i32 s12, s11, -3
	s_add_i32 s13, s11, -4
	s_waitcnt lgkmcnt(1)
	v_fma_f64 v[98:99], v[104:105], v[112:113], v[98:99]
	s_set_gpr_idx_on s12, gpr_idx(SRC0)
	v_mov_b32_e32 v105, v34
	s_set_gpr_idx_off
	s_set_gpr_idx_on s13, gpr_idx(SRC0)
	v_mov_b32_e32 v104, v34
	s_set_gpr_idx_off
	s_add_i32 s12, s11, -1
	s_add_i32 s13, s11, -2
	s_add_u32 s6, s6, 8
	v_add_u32_e32 v101, s6, v103
	s_addc_u32 s7, s7, 0
	v_fma_f64 v[98:99], v[104:105], v[114:115], v[98:99]
	s_set_gpr_idx_on s12, gpr_idx(SRC0)
	v_mov_b32_e32 v105, v34
	s_set_gpr_idx_off
	s_set_gpr_idx_on s13, gpr_idx(SRC0)
	v_mov_b32_e32 v104, v34
	s_set_gpr_idx_off
	s_add_i32 s10, s10, 64
	v_cmp_eq_u32_e32 vcc, 19, v101
	s_waitcnt lgkmcnt(0)
	v_fma_f64 v[98:99], v[104:105], v[116:117], v[98:99]
	s_set_gpr_idx_on s11, gpr_idx(SRC0)
	v_mov_b32_e32 v105, v35
	v_mov_b32_e32 v104, v34
	s_set_gpr_idx_off
	s_add_i32 s11, s6, -7
	s_or_b64 s[8:9], vcc, s[8:9]
	v_mov_b32_e32 v101, s11
	v_fma_f64 v[98:99], v[104:105], v[118:119], v[98:99]
	s_andn2_b64 exec, exec, s[8:9]
	s_cbranch_execnz .LBB79_41
; %bb.42:
	s_or_b64 exec, exec, s[8:9]
.LBB79_43:
	s_or_b64 exec, exec, s[0:1]
	v_and_b32_e32 v102, 7, v102
	v_cmp_ne_u32_e32 vcc, 0, v102
	s_and_saveexec_b64 s[6:7], vcc
	s_cbranch_execz .LBB79_47
; %bb.44:
	v_mov_b32_e32 v103, 0x80
	v_lshl_add_u32 v103, v101, 3, v103
	v_mov_b32_e32 v104, 0
	s_mov_b64 s[8:9], 0
.LBB79_45:                              ; =>This Inner Loop Header: Depth=1
	v_cmp_eq_u32_e32 vcc, 1, v101
	v_cndmask_b32_e32 v107, v35, v37, vcc
	v_cmp_eq_u32_e64 s[0:1], 2, v101
	v_cndmask_b32_e64 v107, v107, v39, s[0:1]
	v_cndmask_b32_e32 v108, v34, v36, vcc
	v_cmp_eq_u32_e32 vcc, 3, v101
	v_cndmask_b32_e32 v107, v107, v41, vcc
	v_cndmask_b32_e64 v108, v108, v38, s[0:1]
	v_cmp_eq_u32_e64 s[0:1], 4, v101
	v_cndmask_b32_e64 v107, v107, v43, s[0:1]
	v_cndmask_b32_e32 v108, v108, v40, vcc
	v_cmp_eq_u32_e32 vcc, 5, v101
	v_cndmask_b32_e32 v107, v107, v45, vcc
	v_cndmask_b32_e64 v108, v108, v42, s[0:1]
	;; [unrolled: 6-line block ×5, first 2 shown]
	v_cmp_eq_u32_e64 s[0:1], 12, v101
	ds_read_b64 v[105:106], v103
	v_cndmask_b32_e64 v107, v107, v59, s[0:1]
	v_cndmask_b32_e32 v108, v108, v56, vcc
	v_cmp_eq_u32_e32 vcc, 13, v101
	v_cndmask_b32_e32 v107, v107, v61, vcc
	v_cndmask_b32_e64 v108, v108, v58, s[0:1]
	v_cmp_eq_u32_e64 s[0:1], 14, v101
	v_cndmask_b32_e64 v107, v107, v63, s[0:1]
	v_cndmask_b32_e32 v109, v108, v60, vcc
	v_cmp_eq_u32_e32 vcc, 15, v101
	v_cndmask_b32_e32 v108, v107, v65, vcc
	v_cndmask_b32_e64 v107, v109, v62, s[0:1]
	v_cndmask_b32_e32 v107, v107, v64, vcc
	s_waitcnt lgkmcnt(0)
	v_fma_f64 v[98:99], v[107:108], v[105:106], v[98:99]
	v_add_u32_e32 v102, -1, v102
	v_cmp_eq_u32_e32 vcc, 0, v102
	s_or_b64 s[8:9], vcc, s[8:9]
	v_add_co_u32_e32 v101, vcc, 1, v101
	v_add_u32_e32 v103, 8, v103
	v_addc_co_u32_e32 v104, vcc, 0, v104, vcc
	s_andn2_b64 exec, exec, s[8:9]
	s_cbranch_execnz .LBB79_45
; %bb.46:
	s_or_b64 exec, exec, s[8:9]
.LBB79_47:
	s_or_b64 exec, exec, s[6:7]
.LBB79_48:
	s_or_b64 exec, exec, s[4:5]
	v_mov_b32_e32 v56, 0
	ds_read_b64 v[56:57], v56 offset:88
	s_waitcnt lgkmcnt(0)
	v_mul_f64 v[56:57], v[98:99], v[56:57]
.LBB79_49:
	s_or_b64 exec, exec, s[36:37]
	v_cmp_lt_u32_e64 s[0:1], 10, v0
	ds_write_b64 v100, v[54:55]
	s_waitcnt lgkmcnt(0)
	; wave barrier
	s_and_saveexec_b64 s[36:37], s[0:1]
	s_cbranch_execz .LBB79_65
; %bb.50:
	s_andn2_b64 vcc, exec, s[34:35]
	s_cbranch_vccnz .LBB79_52
; %bb.51:
	v_cmp_eq_u32_e32 vcc, 1, v0
	v_cndmask_b32_e32 v98, v35, v37, vcc
	v_cmp_eq_u32_e64 s[4:5], 2, v0
	v_cndmask_b32_e64 v98, v98, v39, s[4:5]
	v_cmp_eq_u32_e64 s[6:7], 3, v0
	v_cndmask_b32_e64 v98, v98, v41, s[6:7]
	;; [unrolled: 2-line block ×14, first 2 shown]
	v_cndmask_b32_e32 v98, v34, v36, vcc
	v_cndmask_b32_e64 v98, v98, v38, s[4:5]
	v_cndmask_b32_e64 v98, v98, v40, s[6:7]
	;; [unrolled: 1-line block ×10, first 2 shown]
	ds_read_b64 v[101:102], v100
	v_cndmask_b32_e64 v98, v98, v58, s[24:25]
	v_cndmask_b32_e64 v98, v98, v60, s[26:27]
	;; [unrolled: 1-line block ×4, first 2 shown]
	s_waitcnt lgkmcnt(0)
	v_mul_f64 v[98:99], v[98:99], v[101:102]
	s_cbranch_execz .LBB79_53
	s_branch .LBB79_54
.LBB79_52:
                                        ; implicit-def: $vgpr98_vgpr99
.LBB79_53:
	ds_read_b64 v[98:99], v100
.LBB79_54:
	s_and_saveexec_b64 s[4:5], s[2:3]
	s_cbranch_execz .LBB79_64
; %bb.55:
	v_add_u32_e32 v101, -12, v0
	v_add_u32_e32 v102, -11, v0
	v_cmp_lt_u32_e32 vcc, 6, v101
	v_mov_b32_e32 v101, 11
	s_and_saveexec_b64 s[2:3], vcc
	s_cbranch_execz .LBB79_59
; %bb.56:
	v_and_b32_e32 v101, -8, v102
	v_sub_u32_e32 v103, 0, v101
	s_mov_b64 s[6:7], 18
	s_movk_i32 s10, 0xd8
	s_mov_b64 s[8:9], 0
.LBB79_57:                              ; =>This Inner Loop Header: Depth=1
	s_lshl_b32 s11, s6, 1
	s_add_i32 s12, s11, -13
	v_mov_b32_e32 v101, s10
	s_add_i32 s13, s11, -14
	s_set_gpr_idx_on s12, gpr_idx(SRC0)
	v_mov_b32_e32 v109, v34
	s_set_gpr_idx_off
	s_set_gpr_idx_on s13, gpr_idx(SRC0)
	v_mov_b32_e32 v108, v34
	s_set_gpr_idx_off
	ds_read2_b64 v[104:107], v101 offset1:1
	s_add_i32 s12, s11, -11
	s_add_i32 s13, s11, -12
	;; [unrolled: 1-line block ×4, first 2 shown]
	s_waitcnt lgkmcnt(0)
	v_fma_f64 v[98:99], v[108:109], v[104:105], v[98:99]
	s_set_gpr_idx_on s12, gpr_idx(SRC0)
	v_mov_b32_e32 v105, v34
	s_set_gpr_idx_off
	s_set_gpr_idx_on s13, gpr_idx(SRC0)
	v_mov_b32_e32 v104, v34
	s_set_gpr_idx_off
	s_add_i32 s12, s11, -7
	s_add_i32 s13, s11, -8
	v_fma_f64 v[98:99], v[104:105], v[106:107], v[98:99]
	s_set_gpr_idx_on s14, gpr_idx(SRC0)
	v_mov_b32_e32 v109, v34
	s_set_gpr_idx_off
	s_set_gpr_idx_on s15, gpr_idx(SRC0)
	v_mov_b32_e32 v108, v34
	s_set_gpr_idx_off
	ds_read2_b64 v[104:107], v101 offset0:2 offset1:3
	s_add_i32 s14, s11, -5
	s_add_i32 s15, s11, -6
	s_waitcnt lgkmcnt(0)
	v_fma_f64 v[98:99], v[108:109], v[104:105], v[98:99]
	s_set_gpr_idx_on s12, gpr_idx(SRC0)
	v_mov_b32_e32 v105, v34
	s_set_gpr_idx_off
	s_set_gpr_idx_on s13, gpr_idx(SRC0)
	v_mov_b32_e32 v104, v34
	s_set_gpr_idx_off
	s_add_i32 s12, s11, -3
	s_add_i32 s13, s11, -4
	v_fma_f64 v[98:99], v[104:105], v[106:107], v[98:99]
	s_set_gpr_idx_on s14, gpr_idx(SRC0)
	v_mov_b32_e32 v109, v34
	s_set_gpr_idx_off
	s_set_gpr_idx_on s15, gpr_idx(SRC0)
	v_mov_b32_e32 v108, v34
	s_set_gpr_idx_off
	ds_read2_b64 v[104:107], v101 offset0:4 offset1:5
	s_add_i32 s14, s11, -1
	s_add_i32 s15, s11, -2
	s_add_u32 s6, s6, 8
	s_addc_u32 s7, s7, 0
	s_waitcnt lgkmcnt(0)
	v_fma_f64 v[98:99], v[108:109], v[104:105], v[98:99]
	s_set_gpr_idx_on s12, gpr_idx(SRC0)
	v_mov_b32_e32 v105, v34
	s_set_gpr_idx_off
	s_set_gpr_idx_on s13, gpr_idx(SRC0)
	v_mov_b32_e32 v104, v34
	s_set_gpr_idx_off
	s_add_i32 s10, s10, 64
	v_fma_f64 v[98:99], v[104:105], v[106:107], v[98:99]
	s_set_gpr_idx_on s14, gpr_idx(SRC0)
	v_mov_b32_e32 v109, v34
	s_set_gpr_idx_off
	s_set_gpr_idx_on s15, gpr_idx(SRC0)
	v_mov_b32_e32 v108, v34
	s_set_gpr_idx_off
	ds_read2_b64 v[104:107], v101 offset0:6 offset1:7
	v_add_u32_e32 v101, s6, v103
	v_cmp_eq_u32_e32 vcc, 18, v101
	s_waitcnt lgkmcnt(0)
	v_fma_f64 v[98:99], v[108:109], v[104:105], v[98:99]
	s_set_gpr_idx_on s11, gpr_idx(SRC0)
	v_mov_b32_e32 v105, v35
	v_mov_b32_e32 v104, v34
	s_set_gpr_idx_off
	s_add_i32 s11, s6, -7
	s_or_b64 s[8:9], vcc, s[8:9]
	v_mov_b32_e32 v101, s11
	v_fma_f64 v[98:99], v[104:105], v[106:107], v[98:99]
	s_andn2_b64 exec, exec, s[8:9]
	s_cbranch_execnz .LBB79_57
; %bb.58:
	s_or_b64 exec, exec, s[8:9]
.LBB79_59:
	s_or_b64 exec, exec, s[2:3]
	v_and_b32_e32 v102, 7, v102
	v_cmp_ne_u32_e32 vcc, 0, v102
	s_and_saveexec_b64 s[6:7], vcc
	s_cbranch_execz .LBB79_63
; %bb.60:
	v_mov_b32_e32 v103, 0x80
	v_lshl_add_u32 v103, v101, 3, v103
	v_mov_b32_e32 v104, 0
	s_mov_b64 s[8:9], 0
.LBB79_61:                              ; =>This Inner Loop Header: Depth=1
	v_cmp_eq_u32_e32 vcc, 1, v101
	v_cndmask_b32_e32 v107, v35, v37, vcc
	v_cmp_eq_u32_e64 s[2:3], 2, v101
	v_cndmask_b32_e64 v107, v107, v39, s[2:3]
	v_cndmask_b32_e32 v108, v34, v36, vcc
	v_cmp_eq_u32_e32 vcc, 3, v101
	v_cndmask_b32_e32 v107, v107, v41, vcc
	v_cndmask_b32_e64 v108, v108, v38, s[2:3]
	v_cmp_eq_u32_e64 s[2:3], 4, v101
	v_cndmask_b32_e64 v107, v107, v43, s[2:3]
	v_cndmask_b32_e32 v108, v108, v40, vcc
	v_cmp_eq_u32_e32 vcc, 5, v101
	v_cndmask_b32_e32 v107, v107, v45, vcc
	v_cndmask_b32_e64 v108, v108, v42, s[2:3]
	;; [unrolled: 6-line block ×5, first 2 shown]
	v_cmp_eq_u32_e64 s[2:3], 12, v101
	ds_read_b64 v[105:106], v103
	v_cndmask_b32_e64 v107, v107, v59, s[2:3]
	v_cndmask_b32_e32 v108, v108, v56, vcc
	v_cmp_eq_u32_e32 vcc, 13, v101
	v_cndmask_b32_e32 v107, v107, v61, vcc
	v_cndmask_b32_e64 v108, v108, v58, s[2:3]
	v_cmp_eq_u32_e64 s[2:3], 14, v101
	v_cndmask_b32_e64 v107, v107, v63, s[2:3]
	v_cndmask_b32_e32 v109, v108, v60, vcc
	v_cmp_eq_u32_e32 vcc, 15, v101
	v_cndmask_b32_e32 v108, v107, v65, vcc
	v_cndmask_b32_e64 v107, v109, v62, s[2:3]
	v_cndmask_b32_e32 v107, v107, v64, vcc
	s_waitcnt lgkmcnt(0)
	v_fma_f64 v[98:99], v[107:108], v[105:106], v[98:99]
	v_add_u32_e32 v102, -1, v102
	v_cmp_eq_u32_e32 vcc, 0, v102
	s_or_b64 s[8:9], vcc, s[8:9]
	v_add_co_u32_e32 v101, vcc, 1, v101
	v_add_u32_e32 v103, 8, v103
	v_addc_co_u32_e32 v104, vcc, 0, v104, vcc
	s_andn2_b64 exec, exec, s[8:9]
	s_cbranch_execnz .LBB79_61
; %bb.62:
	s_or_b64 exec, exec, s[8:9]
.LBB79_63:
	s_or_b64 exec, exec, s[6:7]
.LBB79_64:
	s_or_b64 exec, exec, s[4:5]
	v_mov_b32_e32 v54, 0
	ds_read_b64 v[54:55], v54 offset:80
	s_waitcnt lgkmcnt(0)
	v_mul_f64 v[54:55], v[98:99], v[54:55]
.LBB79_65:
	s_or_b64 exec, exec, s[36:37]
	v_cmp_lt_u32_e64 s[2:3], 9, v0
	ds_write_b64 v100, v[52:53]
	s_waitcnt lgkmcnt(0)
	; wave barrier
	s_and_saveexec_b64 s[36:37], s[2:3]
	s_cbranch_execz .LBB79_81
; %bb.66:
	s_andn2_b64 vcc, exec, s[34:35]
	s_cbranch_vccnz .LBB79_68
; %bb.67:
	v_cmp_eq_u32_e32 vcc, 1, v0
	v_cndmask_b32_e32 v98, v35, v37, vcc
	v_cmp_eq_u32_e64 s[4:5], 2, v0
	v_cndmask_b32_e64 v98, v98, v39, s[4:5]
	v_cmp_eq_u32_e64 s[6:7], 3, v0
	v_cndmask_b32_e64 v98, v98, v41, s[6:7]
	;; [unrolled: 2-line block ×14, first 2 shown]
	v_cndmask_b32_e32 v98, v34, v36, vcc
	v_cndmask_b32_e64 v98, v98, v38, s[4:5]
	v_cndmask_b32_e64 v98, v98, v40, s[6:7]
	;; [unrolled: 1-line block ×10, first 2 shown]
	ds_read_b64 v[101:102], v100
	v_cndmask_b32_e64 v98, v98, v58, s[24:25]
	v_cndmask_b32_e64 v98, v98, v60, s[26:27]
	;; [unrolled: 1-line block ×4, first 2 shown]
	s_waitcnt lgkmcnt(0)
	v_mul_f64 v[98:99], v[98:99], v[101:102]
	s_cbranch_execz .LBB79_69
	s_branch .LBB79_70
.LBB79_68:
                                        ; implicit-def: $vgpr98_vgpr99
.LBB79_69:
	ds_read_b64 v[98:99], v100
.LBB79_70:
	s_and_saveexec_b64 s[4:5], s[0:1]
	s_cbranch_execz .LBB79_80
; %bb.71:
	v_add_u32_e32 v101, -11, v0
	v_add_u32_e32 v102, -10, v0
	v_cmp_lt_u32_e32 vcc, 6, v101
	v_mov_b32_e32 v101, 10
	s_and_saveexec_b64 s[0:1], vcc
	s_cbranch_execz .LBB79_75
; %bb.72:
	v_and_b32_e32 v101, -8, v102
	v_sub_u32_e32 v103, 0, v101
	s_mov_b64 s[6:7], 17
	s_movk_i32 s10, 0xd0
	s_mov_b64 s[8:9], 0
.LBB79_73:                              ; =>This Inner Loop Header: Depth=1
	s_lshl_b32 s11, s6, 1
	s_add_i32 s12, s11, -13
	v_mov_b32_e32 v101, s10
	s_add_i32 s13, s11, -14
	s_set_gpr_idx_on s12, gpr_idx(SRC0)
	v_mov_b32_e32 v113, v34
	s_set_gpr_idx_off
	s_set_gpr_idx_on s13, gpr_idx(SRC0)
	v_mov_b32_e32 v112, v34
	s_set_gpr_idx_off
	ds_read_b128 v[104:107], v101
	ds_read_b128 v[108:111], v101 offset:16
	s_add_i32 s12, s11, -11
	s_add_i32 s13, s11, -12
	s_waitcnt lgkmcnt(1)
	v_fma_f64 v[98:99], v[112:113], v[104:105], v[98:99]
	ds_read_b128 v[112:115], v101 offset:32
	ds_read_b128 v[116:119], v101 offset:48
	s_set_gpr_idx_on s12, gpr_idx(SRC0)
	v_mov_b32_e32 v105, v34
	s_set_gpr_idx_off
	s_set_gpr_idx_on s13, gpr_idx(SRC0)
	v_mov_b32_e32 v104, v34
	s_set_gpr_idx_off
	s_add_i32 s12, s11, -9
	s_add_i32 s13, s11, -10
	v_fma_f64 v[98:99], v[104:105], v[106:107], v[98:99]
	s_set_gpr_idx_on s12, gpr_idx(SRC0)
	v_mov_b32_e32 v105, v34
	s_set_gpr_idx_off
	s_set_gpr_idx_on s13, gpr_idx(SRC0)
	v_mov_b32_e32 v104, v34
	s_set_gpr_idx_off
	s_add_i32 s12, s11, -7
	s_add_i32 s13, s11, -8
	s_waitcnt lgkmcnt(2)
	v_fma_f64 v[98:99], v[104:105], v[108:109], v[98:99]
	s_set_gpr_idx_on s12, gpr_idx(SRC0)
	v_mov_b32_e32 v105, v34
	s_set_gpr_idx_off
	s_set_gpr_idx_on s13, gpr_idx(SRC0)
	v_mov_b32_e32 v104, v34
	s_set_gpr_idx_off
	s_add_i32 s12, s11, -5
	s_add_i32 s13, s11, -6
	v_fma_f64 v[98:99], v[104:105], v[110:111], v[98:99]
	s_set_gpr_idx_on s12, gpr_idx(SRC0)
	v_mov_b32_e32 v105, v34
	s_set_gpr_idx_off
	s_set_gpr_idx_on s13, gpr_idx(SRC0)
	v_mov_b32_e32 v104, v34
	s_set_gpr_idx_off
	s_add_i32 s12, s11, -3
	s_add_i32 s13, s11, -4
	s_waitcnt lgkmcnt(1)
	v_fma_f64 v[98:99], v[104:105], v[112:113], v[98:99]
	s_set_gpr_idx_on s12, gpr_idx(SRC0)
	v_mov_b32_e32 v105, v34
	s_set_gpr_idx_off
	s_set_gpr_idx_on s13, gpr_idx(SRC0)
	v_mov_b32_e32 v104, v34
	s_set_gpr_idx_off
	s_add_i32 s12, s11, -1
	s_add_i32 s13, s11, -2
	s_add_u32 s6, s6, 8
	v_add_u32_e32 v101, s6, v103
	s_addc_u32 s7, s7, 0
	v_fma_f64 v[98:99], v[104:105], v[114:115], v[98:99]
	s_set_gpr_idx_on s12, gpr_idx(SRC0)
	v_mov_b32_e32 v105, v34
	s_set_gpr_idx_off
	s_set_gpr_idx_on s13, gpr_idx(SRC0)
	v_mov_b32_e32 v104, v34
	s_set_gpr_idx_off
	s_add_i32 s10, s10, 64
	v_cmp_eq_u32_e32 vcc, 17, v101
	s_waitcnt lgkmcnt(0)
	v_fma_f64 v[98:99], v[104:105], v[116:117], v[98:99]
	s_set_gpr_idx_on s11, gpr_idx(SRC0)
	v_mov_b32_e32 v105, v35
	v_mov_b32_e32 v104, v34
	s_set_gpr_idx_off
	s_add_i32 s11, s6, -7
	s_or_b64 s[8:9], vcc, s[8:9]
	v_mov_b32_e32 v101, s11
	v_fma_f64 v[98:99], v[104:105], v[118:119], v[98:99]
	s_andn2_b64 exec, exec, s[8:9]
	s_cbranch_execnz .LBB79_73
; %bb.74:
	s_or_b64 exec, exec, s[8:9]
.LBB79_75:
	s_or_b64 exec, exec, s[0:1]
	v_and_b32_e32 v102, 7, v102
	v_cmp_ne_u32_e32 vcc, 0, v102
	s_and_saveexec_b64 s[6:7], vcc
	s_cbranch_execz .LBB79_79
; %bb.76:
	v_mov_b32_e32 v103, 0x80
	v_lshl_add_u32 v103, v101, 3, v103
	v_mov_b32_e32 v104, 0
	s_mov_b64 s[8:9], 0
.LBB79_77:                              ; =>This Inner Loop Header: Depth=1
	v_cmp_eq_u32_e32 vcc, 1, v101
	v_cndmask_b32_e32 v107, v35, v37, vcc
	v_cmp_eq_u32_e64 s[0:1], 2, v101
	v_cndmask_b32_e64 v107, v107, v39, s[0:1]
	v_cndmask_b32_e32 v108, v34, v36, vcc
	v_cmp_eq_u32_e32 vcc, 3, v101
	v_cndmask_b32_e32 v107, v107, v41, vcc
	v_cndmask_b32_e64 v108, v108, v38, s[0:1]
	v_cmp_eq_u32_e64 s[0:1], 4, v101
	v_cndmask_b32_e64 v107, v107, v43, s[0:1]
	v_cndmask_b32_e32 v108, v108, v40, vcc
	v_cmp_eq_u32_e32 vcc, 5, v101
	v_cndmask_b32_e32 v107, v107, v45, vcc
	v_cndmask_b32_e64 v108, v108, v42, s[0:1]
	;; [unrolled: 6-line block ×5, first 2 shown]
	v_cmp_eq_u32_e64 s[0:1], 12, v101
	ds_read_b64 v[105:106], v103
	v_cndmask_b32_e64 v107, v107, v59, s[0:1]
	v_cndmask_b32_e32 v108, v108, v56, vcc
	v_cmp_eq_u32_e32 vcc, 13, v101
	v_cndmask_b32_e32 v107, v107, v61, vcc
	v_cndmask_b32_e64 v108, v108, v58, s[0:1]
	v_cmp_eq_u32_e64 s[0:1], 14, v101
	v_cndmask_b32_e64 v107, v107, v63, s[0:1]
	v_cndmask_b32_e32 v109, v108, v60, vcc
	v_cmp_eq_u32_e32 vcc, 15, v101
	v_cndmask_b32_e32 v108, v107, v65, vcc
	v_cndmask_b32_e64 v107, v109, v62, s[0:1]
	v_cndmask_b32_e32 v107, v107, v64, vcc
	s_waitcnt lgkmcnt(0)
	v_fma_f64 v[98:99], v[107:108], v[105:106], v[98:99]
	v_add_u32_e32 v102, -1, v102
	v_cmp_eq_u32_e32 vcc, 0, v102
	s_or_b64 s[8:9], vcc, s[8:9]
	v_add_co_u32_e32 v101, vcc, 1, v101
	v_add_u32_e32 v103, 8, v103
	v_addc_co_u32_e32 v104, vcc, 0, v104, vcc
	s_andn2_b64 exec, exec, s[8:9]
	s_cbranch_execnz .LBB79_77
; %bb.78:
	s_or_b64 exec, exec, s[8:9]
.LBB79_79:
	s_or_b64 exec, exec, s[6:7]
.LBB79_80:
	s_or_b64 exec, exec, s[4:5]
	v_mov_b32_e32 v52, 0
	ds_read_b64 v[52:53], v52 offset:72
	s_waitcnt lgkmcnt(0)
	v_mul_f64 v[52:53], v[98:99], v[52:53]
.LBB79_81:
	s_or_b64 exec, exec, s[36:37]
	v_cmp_lt_u32_e64 s[0:1], 8, v0
	ds_write_b64 v100, v[50:51]
	s_waitcnt lgkmcnt(0)
	; wave barrier
	s_and_saveexec_b64 s[36:37], s[0:1]
	s_cbranch_execz .LBB79_97
; %bb.82:
	s_andn2_b64 vcc, exec, s[34:35]
	s_cbranch_vccnz .LBB79_84
; %bb.83:
	v_cmp_eq_u32_e32 vcc, 1, v0
	v_cndmask_b32_e32 v98, v35, v37, vcc
	v_cmp_eq_u32_e64 s[4:5], 2, v0
	v_cndmask_b32_e64 v98, v98, v39, s[4:5]
	v_cmp_eq_u32_e64 s[6:7], 3, v0
	v_cndmask_b32_e64 v98, v98, v41, s[6:7]
	;; [unrolled: 2-line block ×14, first 2 shown]
	v_cndmask_b32_e32 v98, v34, v36, vcc
	v_cndmask_b32_e64 v98, v98, v38, s[4:5]
	v_cndmask_b32_e64 v98, v98, v40, s[6:7]
	v_cndmask_b32_e64 v98, v98, v42, s[8:9]
	v_cndmask_b32_e64 v98, v98, v44, s[10:11]
	v_cndmask_b32_e64 v98, v98, v46, s[12:13]
	v_cndmask_b32_e64 v98, v98, v48, s[14:15]
	v_cndmask_b32_e64 v98, v98, v50, s[16:17]
	v_cndmask_b32_e64 v98, v98, v52, s[18:19]
	v_cndmask_b32_e64 v98, v98, v54, s[20:21]
	v_cndmask_b32_e64 v98, v98, v56, s[22:23]
	ds_read_b64 v[101:102], v100
	v_cndmask_b32_e64 v98, v98, v58, s[24:25]
	v_cndmask_b32_e64 v98, v98, v60, s[26:27]
	;; [unrolled: 1-line block ×4, first 2 shown]
	s_waitcnt lgkmcnt(0)
	v_mul_f64 v[98:99], v[98:99], v[101:102]
	s_cbranch_execz .LBB79_85
	s_branch .LBB79_86
.LBB79_84:
                                        ; implicit-def: $vgpr98_vgpr99
.LBB79_85:
	ds_read_b64 v[98:99], v100
.LBB79_86:
	s_and_saveexec_b64 s[4:5], s[2:3]
	s_cbranch_execz .LBB79_96
; %bb.87:
	v_add_u32_e32 v101, -10, v0
	v_add_u32_e32 v102, -9, v0
	v_cmp_lt_u32_e32 vcc, 6, v101
	v_mov_b32_e32 v101, 9
	s_and_saveexec_b64 s[2:3], vcc
	s_cbranch_execz .LBB79_91
; %bb.88:
	v_and_b32_e32 v101, -8, v102
	v_sub_u32_e32 v103, 0, v101
	s_mov_b64 s[6:7], 16
	s_movk_i32 s10, 0xc8
	s_mov_b64 s[8:9], 0
.LBB79_89:                              ; =>This Inner Loop Header: Depth=1
	s_lshl_b32 s11, s6, 1
	s_add_i32 s12, s11, -13
	v_mov_b32_e32 v101, s10
	s_add_i32 s13, s11, -14
	s_set_gpr_idx_on s12, gpr_idx(SRC0)
	v_mov_b32_e32 v109, v34
	s_set_gpr_idx_off
	s_set_gpr_idx_on s13, gpr_idx(SRC0)
	v_mov_b32_e32 v108, v34
	s_set_gpr_idx_off
	ds_read2_b64 v[104:107], v101 offset1:1
	s_add_i32 s12, s11, -11
	s_add_i32 s13, s11, -12
	;; [unrolled: 1-line block ×4, first 2 shown]
	s_waitcnt lgkmcnt(0)
	v_fma_f64 v[98:99], v[108:109], v[104:105], v[98:99]
	s_set_gpr_idx_on s12, gpr_idx(SRC0)
	v_mov_b32_e32 v105, v34
	s_set_gpr_idx_off
	s_set_gpr_idx_on s13, gpr_idx(SRC0)
	v_mov_b32_e32 v104, v34
	s_set_gpr_idx_off
	s_add_i32 s12, s11, -7
	s_add_i32 s13, s11, -8
	v_fma_f64 v[98:99], v[104:105], v[106:107], v[98:99]
	s_set_gpr_idx_on s14, gpr_idx(SRC0)
	v_mov_b32_e32 v109, v34
	s_set_gpr_idx_off
	s_set_gpr_idx_on s15, gpr_idx(SRC0)
	v_mov_b32_e32 v108, v34
	s_set_gpr_idx_off
	ds_read2_b64 v[104:107], v101 offset0:2 offset1:3
	s_add_i32 s14, s11, -5
	s_add_i32 s15, s11, -6
	s_waitcnt lgkmcnt(0)
	v_fma_f64 v[98:99], v[108:109], v[104:105], v[98:99]
	s_set_gpr_idx_on s12, gpr_idx(SRC0)
	v_mov_b32_e32 v105, v34
	s_set_gpr_idx_off
	s_set_gpr_idx_on s13, gpr_idx(SRC0)
	v_mov_b32_e32 v104, v34
	s_set_gpr_idx_off
	s_add_i32 s12, s11, -3
	s_add_i32 s13, s11, -4
	v_fma_f64 v[98:99], v[104:105], v[106:107], v[98:99]
	s_set_gpr_idx_on s14, gpr_idx(SRC0)
	v_mov_b32_e32 v109, v34
	s_set_gpr_idx_off
	s_set_gpr_idx_on s15, gpr_idx(SRC0)
	v_mov_b32_e32 v108, v34
	s_set_gpr_idx_off
	ds_read2_b64 v[104:107], v101 offset0:4 offset1:5
	s_add_i32 s14, s11, -1
	s_add_i32 s15, s11, -2
	s_add_u32 s6, s6, 8
	s_addc_u32 s7, s7, 0
	s_waitcnt lgkmcnt(0)
	v_fma_f64 v[98:99], v[108:109], v[104:105], v[98:99]
	s_set_gpr_idx_on s12, gpr_idx(SRC0)
	v_mov_b32_e32 v105, v34
	s_set_gpr_idx_off
	s_set_gpr_idx_on s13, gpr_idx(SRC0)
	v_mov_b32_e32 v104, v34
	s_set_gpr_idx_off
	s_add_i32 s10, s10, 64
	v_fma_f64 v[98:99], v[104:105], v[106:107], v[98:99]
	s_set_gpr_idx_on s14, gpr_idx(SRC0)
	v_mov_b32_e32 v109, v34
	s_set_gpr_idx_off
	s_set_gpr_idx_on s15, gpr_idx(SRC0)
	v_mov_b32_e32 v108, v34
	s_set_gpr_idx_off
	ds_read2_b64 v[104:107], v101 offset0:6 offset1:7
	v_add_u32_e32 v101, s6, v103
	v_cmp_eq_u32_e32 vcc, 16, v101
	s_waitcnt lgkmcnt(0)
	v_fma_f64 v[98:99], v[108:109], v[104:105], v[98:99]
	s_set_gpr_idx_on s11, gpr_idx(SRC0)
	v_mov_b32_e32 v105, v35
	v_mov_b32_e32 v104, v34
	s_set_gpr_idx_off
	s_add_i32 s11, s6, -7
	s_or_b64 s[8:9], vcc, s[8:9]
	v_mov_b32_e32 v101, s11
	v_fma_f64 v[98:99], v[104:105], v[106:107], v[98:99]
	s_andn2_b64 exec, exec, s[8:9]
	s_cbranch_execnz .LBB79_89
; %bb.90:
	s_or_b64 exec, exec, s[8:9]
.LBB79_91:
	s_or_b64 exec, exec, s[2:3]
	v_and_b32_e32 v102, 7, v102
	v_cmp_ne_u32_e32 vcc, 0, v102
	s_and_saveexec_b64 s[6:7], vcc
	s_cbranch_execz .LBB79_95
; %bb.92:
	v_mov_b32_e32 v103, 0x80
	v_lshl_add_u32 v103, v101, 3, v103
	v_mov_b32_e32 v104, 0
	s_mov_b64 s[8:9], 0
.LBB79_93:                              ; =>This Inner Loop Header: Depth=1
	v_cmp_eq_u32_e32 vcc, 1, v101
	v_cndmask_b32_e32 v107, v35, v37, vcc
	v_cmp_eq_u32_e64 s[2:3], 2, v101
	v_cndmask_b32_e64 v107, v107, v39, s[2:3]
	v_cndmask_b32_e32 v108, v34, v36, vcc
	v_cmp_eq_u32_e32 vcc, 3, v101
	v_cndmask_b32_e32 v107, v107, v41, vcc
	v_cndmask_b32_e64 v108, v108, v38, s[2:3]
	v_cmp_eq_u32_e64 s[2:3], 4, v101
	v_cndmask_b32_e64 v107, v107, v43, s[2:3]
	v_cndmask_b32_e32 v108, v108, v40, vcc
	v_cmp_eq_u32_e32 vcc, 5, v101
	v_cndmask_b32_e32 v107, v107, v45, vcc
	v_cndmask_b32_e64 v108, v108, v42, s[2:3]
	;; [unrolled: 6-line block ×5, first 2 shown]
	v_cmp_eq_u32_e64 s[2:3], 12, v101
	ds_read_b64 v[105:106], v103
	v_cndmask_b32_e64 v107, v107, v59, s[2:3]
	v_cndmask_b32_e32 v108, v108, v56, vcc
	v_cmp_eq_u32_e32 vcc, 13, v101
	v_cndmask_b32_e32 v107, v107, v61, vcc
	v_cndmask_b32_e64 v108, v108, v58, s[2:3]
	v_cmp_eq_u32_e64 s[2:3], 14, v101
	v_cndmask_b32_e64 v107, v107, v63, s[2:3]
	v_cndmask_b32_e32 v109, v108, v60, vcc
	v_cmp_eq_u32_e32 vcc, 15, v101
	v_cndmask_b32_e32 v108, v107, v65, vcc
	v_cndmask_b32_e64 v107, v109, v62, s[2:3]
	v_cndmask_b32_e32 v107, v107, v64, vcc
	s_waitcnt lgkmcnt(0)
	v_fma_f64 v[98:99], v[107:108], v[105:106], v[98:99]
	v_add_u32_e32 v102, -1, v102
	v_cmp_eq_u32_e32 vcc, 0, v102
	s_or_b64 s[8:9], vcc, s[8:9]
	v_add_co_u32_e32 v101, vcc, 1, v101
	v_add_u32_e32 v103, 8, v103
	v_addc_co_u32_e32 v104, vcc, 0, v104, vcc
	s_andn2_b64 exec, exec, s[8:9]
	s_cbranch_execnz .LBB79_93
; %bb.94:
	s_or_b64 exec, exec, s[8:9]
.LBB79_95:
	s_or_b64 exec, exec, s[6:7]
.LBB79_96:
	s_or_b64 exec, exec, s[4:5]
	v_mov_b32_e32 v50, 0
	ds_read_b64 v[50:51], v50 offset:64
	s_waitcnt lgkmcnt(0)
	v_mul_f64 v[50:51], v[98:99], v[50:51]
.LBB79_97:
	s_or_b64 exec, exec, s[36:37]
	v_cmp_lt_u32_e64 s[2:3], 7, v0
	ds_write_b64 v100, v[48:49]
	s_waitcnt lgkmcnt(0)
	; wave barrier
	s_and_saveexec_b64 s[36:37], s[2:3]
	s_cbranch_execz .LBB79_113
; %bb.98:
	s_andn2_b64 vcc, exec, s[34:35]
	s_cbranch_vccnz .LBB79_100
; %bb.99:
	v_cmp_eq_u32_e32 vcc, 1, v0
	v_cndmask_b32_e32 v98, v35, v37, vcc
	v_cmp_eq_u32_e64 s[4:5], 2, v0
	v_cndmask_b32_e64 v98, v98, v39, s[4:5]
	v_cmp_eq_u32_e64 s[6:7], 3, v0
	v_cndmask_b32_e64 v98, v98, v41, s[6:7]
	;; [unrolled: 2-line block ×14, first 2 shown]
	v_cndmask_b32_e32 v98, v34, v36, vcc
	v_cndmask_b32_e64 v98, v98, v38, s[4:5]
	v_cndmask_b32_e64 v98, v98, v40, s[6:7]
	;; [unrolled: 1-line block ×10, first 2 shown]
	ds_read_b64 v[101:102], v100
	v_cndmask_b32_e64 v98, v98, v58, s[24:25]
	v_cndmask_b32_e64 v98, v98, v60, s[26:27]
	;; [unrolled: 1-line block ×4, first 2 shown]
	s_waitcnt lgkmcnt(0)
	v_mul_f64 v[98:99], v[98:99], v[101:102]
	s_cbranch_execz .LBB79_101
	s_branch .LBB79_102
.LBB79_100:
                                        ; implicit-def: $vgpr98_vgpr99
.LBB79_101:
	ds_read_b64 v[98:99], v100
.LBB79_102:
	s_and_saveexec_b64 s[4:5], s[0:1]
	s_cbranch_execz .LBB79_112
; %bb.103:
	v_add_u32_e32 v101, -9, v0
	v_cmp_lt_u32_e32 vcc, 6, v101
	v_mov_b32_e32 v101, 8
	s_and_saveexec_b64 s[0:1], vcc
	s_cbranch_execz .LBB79_107
; %bb.104:
	v_and_b32_e32 v101, 8, v0
	v_sub_u32_e32 v102, 0, v101
	s_mov_b64 s[6:7], 15
	s_movk_i32 s10, 0xc0
	s_mov_b64 s[8:9], 0
.LBB79_105:                             ; =>This Inner Loop Header: Depth=1
	s_lshl_b32 s11, s6, 1
	s_add_i32 s12, s11, -13
	v_mov_b32_e32 v101, s10
	s_add_i32 s13, s11, -14
	s_set_gpr_idx_on s12, gpr_idx(SRC0)
	v_mov_b32_e32 v112, v34
	s_set_gpr_idx_off
	s_set_gpr_idx_on s13, gpr_idx(SRC0)
	v_mov_b32_e32 v111, v34
	s_set_gpr_idx_off
	ds_read_b128 v[103:106], v101
	ds_read_b128 v[107:110], v101 offset:16
	s_add_i32 s12, s11, -11
	s_add_i32 s13, s11, -12
	s_waitcnt lgkmcnt(1)
	v_fma_f64 v[98:99], v[111:112], v[103:104], v[98:99]
	ds_read_b128 v[111:114], v101 offset:32
	ds_read_b128 v[115:118], v101 offset:48
	s_set_gpr_idx_on s12, gpr_idx(SRC0)
	v_mov_b32_e32 v104, v34
	s_set_gpr_idx_off
	s_set_gpr_idx_on s13, gpr_idx(SRC0)
	v_mov_b32_e32 v103, v34
	s_set_gpr_idx_off
	s_add_i32 s12, s11, -9
	s_add_i32 s13, s11, -10
	v_fma_f64 v[98:99], v[103:104], v[105:106], v[98:99]
	s_set_gpr_idx_on s12, gpr_idx(SRC0)
	v_mov_b32_e32 v104, v34
	s_set_gpr_idx_off
	s_set_gpr_idx_on s13, gpr_idx(SRC0)
	v_mov_b32_e32 v103, v34
	s_set_gpr_idx_off
	s_add_i32 s12, s11, -7
	s_add_i32 s13, s11, -8
	s_waitcnt lgkmcnt(2)
	v_fma_f64 v[98:99], v[103:104], v[107:108], v[98:99]
	s_set_gpr_idx_on s12, gpr_idx(SRC0)
	v_mov_b32_e32 v104, v34
	s_set_gpr_idx_off
	s_set_gpr_idx_on s13, gpr_idx(SRC0)
	v_mov_b32_e32 v103, v34
	s_set_gpr_idx_off
	s_add_i32 s12, s11, -5
	s_add_i32 s13, s11, -6
	v_fma_f64 v[98:99], v[103:104], v[109:110], v[98:99]
	s_set_gpr_idx_on s12, gpr_idx(SRC0)
	v_mov_b32_e32 v104, v34
	s_set_gpr_idx_off
	s_set_gpr_idx_on s13, gpr_idx(SRC0)
	v_mov_b32_e32 v103, v34
	s_set_gpr_idx_off
	s_add_i32 s12, s11, -3
	s_add_i32 s13, s11, -4
	s_waitcnt lgkmcnt(1)
	v_fma_f64 v[98:99], v[103:104], v[111:112], v[98:99]
	s_set_gpr_idx_on s12, gpr_idx(SRC0)
	v_mov_b32_e32 v104, v34
	s_set_gpr_idx_off
	s_set_gpr_idx_on s13, gpr_idx(SRC0)
	v_mov_b32_e32 v103, v34
	s_set_gpr_idx_off
	s_add_i32 s12, s11, -1
	s_add_i32 s13, s11, -2
	s_add_u32 s6, s6, 8
	v_add_u32_e32 v101, s6, v102
	s_addc_u32 s7, s7, 0
	v_fma_f64 v[98:99], v[103:104], v[113:114], v[98:99]
	s_set_gpr_idx_on s12, gpr_idx(SRC0)
	v_mov_b32_e32 v104, v34
	s_set_gpr_idx_off
	s_set_gpr_idx_on s13, gpr_idx(SRC0)
	v_mov_b32_e32 v103, v34
	s_set_gpr_idx_off
	s_add_i32 s10, s10, 64
	v_cmp_eq_u32_e32 vcc, 7, v101
	s_waitcnt lgkmcnt(0)
	v_fma_f64 v[98:99], v[103:104], v[115:116], v[98:99]
	s_set_gpr_idx_on s11, gpr_idx(SRC0)
	v_mov_b32_e32 v104, v35
	v_mov_b32_e32 v103, v34
	s_set_gpr_idx_off
	s_add_i32 s11, s6, -7
	s_or_b64 s[8:9], vcc, s[8:9]
	v_mov_b32_e32 v101, s11
	v_fma_f64 v[98:99], v[103:104], v[117:118], v[98:99]
	s_andn2_b64 exec, exec, s[8:9]
	s_cbranch_execnz .LBB79_105
; %bb.106:
	s_or_b64 exec, exec, s[8:9]
.LBB79_107:
	s_or_b64 exec, exec, s[0:1]
	v_and_b32_e32 v102, 7, v0
	v_cmp_ne_u32_e32 vcc, 0, v102
	s_and_saveexec_b64 s[6:7], vcc
	s_cbranch_execz .LBB79_111
; %bb.108:
	v_mov_b32_e32 v103, 0x80
	v_lshl_add_u32 v103, v101, 3, v103
	v_mov_b32_e32 v104, 0
	s_mov_b64 s[8:9], 0
.LBB79_109:                             ; =>This Inner Loop Header: Depth=1
	v_cmp_eq_u32_e32 vcc, 1, v101
	v_cndmask_b32_e32 v107, v35, v37, vcc
	v_cmp_eq_u32_e64 s[0:1], 2, v101
	v_cndmask_b32_e64 v107, v107, v39, s[0:1]
	v_cndmask_b32_e32 v108, v34, v36, vcc
	v_cmp_eq_u32_e32 vcc, 3, v101
	v_cndmask_b32_e32 v107, v107, v41, vcc
	v_cndmask_b32_e64 v108, v108, v38, s[0:1]
	v_cmp_eq_u32_e64 s[0:1], 4, v101
	v_cndmask_b32_e64 v107, v107, v43, s[0:1]
	v_cndmask_b32_e32 v108, v108, v40, vcc
	v_cmp_eq_u32_e32 vcc, 5, v101
	v_cndmask_b32_e32 v107, v107, v45, vcc
	v_cndmask_b32_e64 v108, v108, v42, s[0:1]
	;; [unrolled: 6-line block ×5, first 2 shown]
	v_cmp_eq_u32_e64 s[0:1], 12, v101
	ds_read_b64 v[105:106], v103
	v_cndmask_b32_e64 v107, v107, v59, s[0:1]
	v_cndmask_b32_e32 v108, v108, v56, vcc
	v_cmp_eq_u32_e32 vcc, 13, v101
	v_cndmask_b32_e32 v107, v107, v61, vcc
	v_cndmask_b32_e64 v108, v108, v58, s[0:1]
	v_cmp_eq_u32_e64 s[0:1], 14, v101
	v_cndmask_b32_e64 v107, v107, v63, s[0:1]
	v_cndmask_b32_e32 v109, v108, v60, vcc
	v_cmp_eq_u32_e32 vcc, 15, v101
	v_cndmask_b32_e32 v108, v107, v65, vcc
	v_cndmask_b32_e64 v107, v109, v62, s[0:1]
	v_cndmask_b32_e32 v107, v107, v64, vcc
	s_waitcnt lgkmcnt(0)
	v_fma_f64 v[98:99], v[107:108], v[105:106], v[98:99]
	v_add_u32_e32 v102, -1, v102
	v_cmp_eq_u32_e32 vcc, 0, v102
	s_or_b64 s[8:9], vcc, s[8:9]
	v_add_co_u32_e32 v101, vcc, 1, v101
	v_add_u32_e32 v103, 8, v103
	v_addc_co_u32_e32 v104, vcc, 0, v104, vcc
	s_andn2_b64 exec, exec, s[8:9]
	s_cbranch_execnz .LBB79_109
; %bb.110:
	s_or_b64 exec, exec, s[8:9]
.LBB79_111:
	s_or_b64 exec, exec, s[6:7]
.LBB79_112:
	s_or_b64 exec, exec, s[4:5]
	v_mov_b32_e32 v48, 0
	ds_read_b64 v[48:49], v48 offset:56
	s_waitcnt lgkmcnt(0)
	v_mul_f64 v[48:49], v[98:99], v[48:49]
.LBB79_113:
	s_or_b64 exec, exec, s[36:37]
	v_cmp_lt_u32_e64 s[0:1], 6, v0
	ds_write_b64 v100, v[46:47]
	s_waitcnt lgkmcnt(0)
	; wave barrier
	s_and_saveexec_b64 s[36:37], s[0:1]
	s_cbranch_execz .LBB79_129
; %bb.114:
	s_andn2_b64 vcc, exec, s[34:35]
	s_cbranch_vccnz .LBB79_116
; %bb.115:
	v_cmp_eq_u32_e32 vcc, 1, v0
	v_cndmask_b32_e32 v98, v35, v37, vcc
	v_cmp_eq_u32_e64 s[4:5], 2, v0
	v_cndmask_b32_e64 v98, v98, v39, s[4:5]
	v_cmp_eq_u32_e64 s[6:7], 3, v0
	v_cndmask_b32_e64 v98, v98, v41, s[6:7]
	;; [unrolled: 2-line block ×14, first 2 shown]
	v_cndmask_b32_e32 v98, v34, v36, vcc
	v_cndmask_b32_e64 v98, v98, v38, s[4:5]
	v_cndmask_b32_e64 v98, v98, v40, s[6:7]
	;; [unrolled: 1-line block ×10, first 2 shown]
	ds_read_b64 v[101:102], v100
	v_cndmask_b32_e64 v98, v98, v58, s[24:25]
	v_cndmask_b32_e64 v98, v98, v60, s[26:27]
	;; [unrolled: 1-line block ×4, first 2 shown]
	s_waitcnt lgkmcnt(0)
	v_mul_f64 v[98:99], v[98:99], v[101:102]
	s_cbranch_execz .LBB79_117
	s_branch .LBB79_118
.LBB79_116:
                                        ; implicit-def: $vgpr98_vgpr99
.LBB79_117:
	ds_read_b64 v[98:99], v100
.LBB79_118:
	s_and_saveexec_b64 s[4:5], s[2:3]
	s_cbranch_execz .LBB79_128
; %bb.119:
	v_add_u32_e32 v101, -8, v0
	v_add_u32_e32 v102, -7, v0
	v_cmp_lt_u32_e32 vcc, 6, v101
	v_mov_b32_e32 v101, 7
	s_and_saveexec_b64 s[2:3], vcc
	s_cbranch_execz .LBB79_123
; %bb.120:
	v_and_b32_e32 v101, -8, v102
	v_sub_u32_e32 v103, 0, v101
	s_mov_b64 s[6:7], 14
	s_movk_i32 s10, 0xb8
	s_mov_b64 s[8:9], 0
.LBB79_121:                             ; =>This Inner Loop Header: Depth=1
	s_lshl_b32 s11, s6, 1
	s_add_i32 s12, s11, -13
	v_mov_b32_e32 v101, s10
	s_add_i32 s13, s11, -14
	s_set_gpr_idx_on s12, gpr_idx(SRC0)
	v_mov_b32_e32 v109, v34
	s_set_gpr_idx_off
	s_set_gpr_idx_on s13, gpr_idx(SRC0)
	v_mov_b32_e32 v108, v34
	s_set_gpr_idx_off
	ds_read2_b64 v[104:107], v101 offset1:1
	s_add_i32 s12, s11, -11
	s_add_i32 s13, s11, -12
	s_add_i32 s14, s11, -9
	s_add_i32 s15, s11, -10
	s_waitcnt lgkmcnt(0)
	v_fma_f64 v[98:99], v[108:109], v[104:105], v[98:99]
	s_set_gpr_idx_on s12, gpr_idx(SRC0)
	v_mov_b32_e32 v105, v34
	s_set_gpr_idx_off
	s_set_gpr_idx_on s13, gpr_idx(SRC0)
	v_mov_b32_e32 v104, v34
	s_set_gpr_idx_off
	s_add_i32 s12, s11, -7
	s_add_i32 s13, s11, -8
	v_fma_f64 v[98:99], v[104:105], v[106:107], v[98:99]
	s_set_gpr_idx_on s14, gpr_idx(SRC0)
	v_mov_b32_e32 v109, v34
	s_set_gpr_idx_off
	s_set_gpr_idx_on s15, gpr_idx(SRC0)
	v_mov_b32_e32 v108, v34
	s_set_gpr_idx_off
	ds_read2_b64 v[104:107], v101 offset0:2 offset1:3
	s_add_i32 s14, s11, -5
	s_add_i32 s15, s11, -6
	s_waitcnt lgkmcnt(0)
	v_fma_f64 v[98:99], v[108:109], v[104:105], v[98:99]
	s_set_gpr_idx_on s12, gpr_idx(SRC0)
	v_mov_b32_e32 v105, v34
	s_set_gpr_idx_off
	s_set_gpr_idx_on s13, gpr_idx(SRC0)
	v_mov_b32_e32 v104, v34
	s_set_gpr_idx_off
	s_add_i32 s12, s11, -3
	s_add_i32 s13, s11, -4
	v_fma_f64 v[98:99], v[104:105], v[106:107], v[98:99]
	s_set_gpr_idx_on s14, gpr_idx(SRC0)
	v_mov_b32_e32 v109, v34
	s_set_gpr_idx_off
	s_set_gpr_idx_on s15, gpr_idx(SRC0)
	v_mov_b32_e32 v108, v34
	s_set_gpr_idx_off
	ds_read2_b64 v[104:107], v101 offset0:4 offset1:5
	s_add_i32 s14, s11, -1
	s_add_i32 s15, s11, -2
	s_add_u32 s6, s6, 8
	s_addc_u32 s7, s7, 0
	s_waitcnt lgkmcnt(0)
	v_fma_f64 v[98:99], v[108:109], v[104:105], v[98:99]
	s_set_gpr_idx_on s12, gpr_idx(SRC0)
	v_mov_b32_e32 v105, v34
	s_set_gpr_idx_off
	s_set_gpr_idx_on s13, gpr_idx(SRC0)
	v_mov_b32_e32 v104, v34
	s_set_gpr_idx_off
	s_add_i32 s10, s10, 64
	v_fma_f64 v[98:99], v[104:105], v[106:107], v[98:99]
	s_set_gpr_idx_on s14, gpr_idx(SRC0)
	v_mov_b32_e32 v109, v34
	s_set_gpr_idx_off
	s_set_gpr_idx_on s15, gpr_idx(SRC0)
	v_mov_b32_e32 v108, v34
	s_set_gpr_idx_off
	ds_read2_b64 v[104:107], v101 offset0:6 offset1:7
	v_add_u32_e32 v101, s6, v103
	v_cmp_eq_u32_e32 vcc, 14, v101
	s_waitcnt lgkmcnt(0)
	v_fma_f64 v[98:99], v[108:109], v[104:105], v[98:99]
	s_set_gpr_idx_on s11, gpr_idx(SRC0)
	v_mov_b32_e32 v105, v35
	v_mov_b32_e32 v104, v34
	s_set_gpr_idx_off
	s_add_i32 s11, s6, -7
	s_or_b64 s[8:9], vcc, s[8:9]
	v_mov_b32_e32 v101, s11
	v_fma_f64 v[98:99], v[104:105], v[106:107], v[98:99]
	s_andn2_b64 exec, exec, s[8:9]
	s_cbranch_execnz .LBB79_121
; %bb.122:
	s_or_b64 exec, exec, s[8:9]
.LBB79_123:
	s_or_b64 exec, exec, s[2:3]
	v_and_b32_e32 v102, 7, v102
	v_cmp_ne_u32_e32 vcc, 0, v102
	s_and_saveexec_b64 s[6:7], vcc
	s_cbranch_execz .LBB79_127
; %bb.124:
	v_mov_b32_e32 v103, 0x80
	v_lshl_add_u32 v103, v101, 3, v103
	v_mov_b32_e32 v104, 0
	s_mov_b64 s[8:9], 0
.LBB79_125:                             ; =>This Inner Loop Header: Depth=1
	v_cmp_eq_u32_e32 vcc, 1, v101
	v_cndmask_b32_e32 v107, v35, v37, vcc
	v_cmp_eq_u32_e64 s[2:3], 2, v101
	v_cndmask_b32_e64 v107, v107, v39, s[2:3]
	v_cndmask_b32_e32 v108, v34, v36, vcc
	v_cmp_eq_u32_e32 vcc, 3, v101
	v_cndmask_b32_e32 v107, v107, v41, vcc
	v_cndmask_b32_e64 v108, v108, v38, s[2:3]
	v_cmp_eq_u32_e64 s[2:3], 4, v101
	v_cndmask_b32_e64 v107, v107, v43, s[2:3]
	v_cndmask_b32_e32 v108, v108, v40, vcc
	v_cmp_eq_u32_e32 vcc, 5, v101
	v_cndmask_b32_e32 v107, v107, v45, vcc
	v_cndmask_b32_e64 v108, v108, v42, s[2:3]
	;; [unrolled: 6-line block ×5, first 2 shown]
	v_cmp_eq_u32_e64 s[2:3], 12, v101
	ds_read_b64 v[105:106], v103
	v_cndmask_b32_e64 v107, v107, v59, s[2:3]
	v_cndmask_b32_e32 v108, v108, v56, vcc
	v_cmp_eq_u32_e32 vcc, 13, v101
	v_cndmask_b32_e32 v107, v107, v61, vcc
	v_cndmask_b32_e64 v108, v108, v58, s[2:3]
	v_cmp_eq_u32_e64 s[2:3], 14, v101
	v_cndmask_b32_e64 v107, v107, v63, s[2:3]
	v_cndmask_b32_e32 v109, v108, v60, vcc
	v_cmp_eq_u32_e32 vcc, 15, v101
	v_cndmask_b32_e32 v108, v107, v65, vcc
	v_cndmask_b32_e64 v107, v109, v62, s[2:3]
	v_cndmask_b32_e32 v107, v107, v64, vcc
	s_waitcnt lgkmcnt(0)
	v_fma_f64 v[98:99], v[107:108], v[105:106], v[98:99]
	v_add_u32_e32 v102, -1, v102
	v_cmp_eq_u32_e32 vcc, 0, v102
	s_or_b64 s[8:9], vcc, s[8:9]
	v_add_co_u32_e32 v101, vcc, 1, v101
	v_add_u32_e32 v103, 8, v103
	v_addc_co_u32_e32 v104, vcc, 0, v104, vcc
	s_andn2_b64 exec, exec, s[8:9]
	s_cbranch_execnz .LBB79_125
; %bb.126:
	s_or_b64 exec, exec, s[8:9]
.LBB79_127:
	s_or_b64 exec, exec, s[6:7]
.LBB79_128:
	s_or_b64 exec, exec, s[4:5]
	v_mov_b32_e32 v46, 0
	ds_read_b64 v[46:47], v46 offset:48
	s_waitcnt lgkmcnt(0)
	v_mul_f64 v[46:47], v[98:99], v[46:47]
.LBB79_129:
	s_or_b64 exec, exec, s[36:37]
	v_cmp_lt_u32_e64 s[2:3], 5, v0
	ds_write_b64 v100, v[44:45]
	s_waitcnt lgkmcnt(0)
	; wave barrier
	s_and_saveexec_b64 s[36:37], s[2:3]
	s_cbranch_execz .LBB79_145
; %bb.130:
	s_andn2_b64 vcc, exec, s[34:35]
	s_cbranch_vccnz .LBB79_132
; %bb.131:
	v_cmp_eq_u32_e32 vcc, 1, v0
	v_cndmask_b32_e32 v98, v35, v37, vcc
	v_cmp_eq_u32_e64 s[4:5], 2, v0
	v_cndmask_b32_e64 v98, v98, v39, s[4:5]
	v_cmp_eq_u32_e64 s[6:7], 3, v0
	v_cndmask_b32_e64 v98, v98, v41, s[6:7]
	;; [unrolled: 2-line block ×14, first 2 shown]
	v_cndmask_b32_e32 v98, v34, v36, vcc
	v_cndmask_b32_e64 v98, v98, v38, s[4:5]
	v_cndmask_b32_e64 v98, v98, v40, s[6:7]
	;; [unrolled: 1-line block ×10, first 2 shown]
	ds_read_b64 v[101:102], v100
	v_cndmask_b32_e64 v98, v98, v58, s[24:25]
	v_cndmask_b32_e64 v98, v98, v60, s[26:27]
	v_cndmask_b32_e64 v98, v98, v62, s[28:29]
	v_cndmask_b32_e64 v98, v98, v64, s[30:31]
	s_waitcnt lgkmcnt(0)
	v_mul_f64 v[98:99], v[98:99], v[101:102]
	s_cbranch_execz .LBB79_133
	s_branch .LBB79_134
.LBB79_132:
                                        ; implicit-def: $vgpr98_vgpr99
.LBB79_133:
	ds_read_b64 v[98:99], v100
.LBB79_134:
	s_and_saveexec_b64 s[4:5], s[0:1]
	s_cbranch_execz .LBB79_144
; %bb.135:
	v_add_u32_e32 v103, -7, v0
	v_add_u32_e32 v102, -6, v0
	v_mov_b32_e32 v101, 6
	v_cmp_lt_u32_e32 vcc, 6, v103
	s_and_saveexec_b64 s[0:1], vcc
	s_cbranch_execz .LBB79_139
; %bb.136:
	v_and_b32_e32 v101, -8, v102
	v_sub_u32_e32 v103, 0, v101
	s_mov_b64 s[6:7], 13
	s_movk_i32 s10, 0xb0
	s_mov_b64 s[8:9], 0
.LBB79_137:                             ; =>This Inner Loop Header: Depth=1
	s_lshl_b32 s11, s6, 1
	s_add_i32 s12, s11, -13
	v_mov_b32_e32 v101, s10
	s_add_i32 s13, s11, -14
	s_set_gpr_idx_on s12, gpr_idx(SRC0)
	v_mov_b32_e32 v113, v34
	s_set_gpr_idx_off
	s_set_gpr_idx_on s13, gpr_idx(SRC0)
	v_mov_b32_e32 v112, v34
	s_set_gpr_idx_off
	ds_read_b128 v[104:107], v101
	ds_read_b128 v[108:111], v101 offset:16
	s_add_i32 s12, s11, -11
	s_add_i32 s13, s11, -12
	s_waitcnt lgkmcnt(1)
	v_fma_f64 v[98:99], v[112:113], v[104:105], v[98:99]
	ds_read_b128 v[112:115], v101 offset:32
	ds_read_b128 v[116:119], v101 offset:48
	s_set_gpr_idx_on s12, gpr_idx(SRC0)
	v_mov_b32_e32 v105, v34
	s_set_gpr_idx_off
	s_set_gpr_idx_on s13, gpr_idx(SRC0)
	v_mov_b32_e32 v104, v34
	s_set_gpr_idx_off
	s_add_i32 s12, s11, -9
	s_add_i32 s13, s11, -10
	v_fma_f64 v[98:99], v[104:105], v[106:107], v[98:99]
	s_set_gpr_idx_on s12, gpr_idx(SRC0)
	v_mov_b32_e32 v105, v34
	s_set_gpr_idx_off
	s_set_gpr_idx_on s13, gpr_idx(SRC0)
	v_mov_b32_e32 v104, v34
	s_set_gpr_idx_off
	s_add_i32 s12, s11, -7
	s_add_i32 s13, s11, -8
	s_waitcnt lgkmcnt(2)
	v_fma_f64 v[98:99], v[104:105], v[108:109], v[98:99]
	s_set_gpr_idx_on s12, gpr_idx(SRC0)
	v_mov_b32_e32 v105, v34
	s_set_gpr_idx_off
	s_set_gpr_idx_on s13, gpr_idx(SRC0)
	v_mov_b32_e32 v104, v34
	s_set_gpr_idx_off
	s_add_i32 s12, s11, -5
	s_add_i32 s13, s11, -6
	v_fma_f64 v[98:99], v[104:105], v[110:111], v[98:99]
	s_set_gpr_idx_on s12, gpr_idx(SRC0)
	v_mov_b32_e32 v105, v34
	s_set_gpr_idx_off
	s_set_gpr_idx_on s13, gpr_idx(SRC0)
	v_mov_b32_e32 v104, v34
	s_set_gpr_idx_off
	s_add_i32 s12, s11, -3
	s_add_i32 s13, s11, -4
	s_waitcnt lgkmcnt(1)
	v_fma_f64 v[98:99], v[104:105], v[112:113], v[98:99]
	s_set_gpr_idx_on s12, gpr_idx(SRC0)
	v_mov_b32_e32 v105, v34
	s_set_gpr_idx_off
	s_set_gpr_idx_on s13, gpr_idx(SRC0)
	v_mov_b32_e32 v104, v34
	s_set_gpr_idx_off
	s_add_i32 s12, s11, -1
	s_add_i32 s13, s11, -2
	s_add_u32 s6, s6, 8
	v_add_u32_e32 v101, s6, v103
	s_addc_u32 s7, s7, 0
	v_fma_f64 v[98:99], v[104:105], v[114:115], v[98:99]
	s_set_gpr_idx_on s12, gpr_idx(SRC0)
	v_mov_b32_e32 v105, v34
	s_set_gpr_idx_off
	s_set_gpr_idx_on s13, gpr_idx(SRC0)
	v_mov_b32_e32 v104, v34
	s_set_gpr_idx_off
	s_add_i32 s10, s10, 64
	v_cmp_eq_u32_e32 vcc, 13, v101
	s_waitcnt lgkmcnt(0)
	v_fma_f64 v[98:99], v[104:105], v[116:117], v[98:99]
	s_set_gpr_idx_on s11, gpr_idx(SRC0)
	v_mov_b32_e32 v105, v35
	v_mov_b32_e32 v104, v34
	s_set_gpr_idx_off
	s_add_i32 s11, s6, -7
	s_or_b64 s[8:9], vcc, s[8:9]
	v_mov_b32_e32 v101, s11
	v_fma_f64 v[98:99], v[104:105], v[118:119], v[98:99]
	s_andn2_b64 exec, exec, s[8:9]
	s_cbranch_execnz .LBB79_137
; %bb.138:
	s_or_b64 exec, exec, s[8:9]
.LBB79_139:
	s_or_b64 exec, exec, s[0:1]
	v_and_b32_e32 v102, 7, v102
	v_cmp_ne_u32_e32 vcc, 0, v102
	s_and_saveexec_b64 s[6:7], vcc
	s_cbranch_execz .LBB79_143
; %bb.140:
	v_mov_b32_e32 v103, 0x80
	v_lshl_add_u32 v103, v101, 3, v103
	v_mov_b32_e32 v104, 0
	s_mov_b64 s[8:9], 0
.LBB79_141:                             ; =>This Inner Loop Header: Depth=1
	v_cmp_eq_u32_e32 vcc, 1, v101
	v_cndmask_b32_e32 v107, v35, v37, vcc
	v_cmp_eq_u32_e64 s[0:1], 2, v101
	v_cndmask_b32_e64 v107, v107, v39, s[0:1]
	v_cndmask_b32_e32 v108, v34, v36, vcc
	v_cmp_eq_u32_e32 vcc, 3, v101
	v_cndmask_b32_e32 v107, v107, v41, vcc
	v_cndmask_b32_e64 v108, v108, v38, s[0:1]
	v_cmp_eq_u32_e64 s[0:1], 4, v101
	v_cndmask_b32_e64 v107, v107, v43, s[0:1]
	v_cndmask_b32_e32 v108, v108, v40, vcc
	v_cmp_eq_u32_e32 vcc, 5, v101
	v_cndmask_b32_e32 v107, v107, v45, vcc
	v_cndmask_b32_e64 v108, v108, v42, s[0:1]
	v_cmp_eq_u32_e64 s[0:1], 6, v101
	v_cndmask_b32_e64 v107, v107, v47, s[0:1]
	v_cndmask_b32_e32 v108, v108, v44, vcc
	v_cmp_eq_u32_e32 vcc, 7, v101
	v_cndmask_b32_e32 v107, v107, v49, vcc
	v_cndmask_b32_e64 v108, v108, v46, s[0:1]
	v_cmp_eq_u32_e64 s[0:1], 8, v101
	v_cndmask_b32_e64 v107, v107, v51, s[0:1]
	v_cndmask_b32_e32 v108, v108, v48, vcc
	v_cmp_eq_u32_e32 vcc, 9, v101
	v_cndmask_b32_e32 v107, v107, v53, vcc
	v_cndmask_b32_e64 v108, v108, v50, s[0:1]
	v_cmp_eq_u32_e64 s[0:1], 10, v101
	v_cndmask_b32_e64 v107, v107, v55, s[0:1]
	v_cndmask_b32_e32 v108, v108, v52, vcc
	v_cmp_eq_u32_e32 vcc, 11, v101
	v_cndmask_b32_e32 v107, v107, v57, vcc
	v_cndmask_b32_e64 v108, v108, v54, s[0:1]
	v_cmp_eq_u32_e64 s[0:1], 12, v101
	ds_read_b64 v[105:106], v103
	v_cndmask_b32_e64 v107, v107, v59, s[0:1]
	v_cndmask_b32_e32 v108, v108, v56, vcc
	v_cmp_eq_u32_e32 vcc, 13, v101
	v_cndmask_b32_e32 v107, v107, v61, vcc
	v_cndmask_b32_e64 v108, v108, v58, s[0:1]
	v_cmp_eq_u32_e64 s[0:1], 14, v101
	v_cndmask_b32_e64 v107, v107, v63, s[0:1]
	v_cndmask_b32_e32 v109, v108, v60, vcc
	v_cmp_eq_u32_e32 vcc, 15, v101
	v_cndmask_b32_e32 v108, v107, v65, vcc
	v_cndmask_b32_e64 v107, v109, v62, s[0:1]
	v_cndmask_b32_e32 v107, v107, v64, vcc
	s_waitcnt lgkmcnt(0)
	v_fma_f64 v[98:99], v[107:108], v[105:106], v[98:99]
	v_add_u32_e32 v102, -1, v102
	v_cmp_eq_u32_e32 vcc, 0, v102
	s_or_b64 s[8:9], vcc, s[8:9]
	v_add_co_u32_e32 v101, vcc, 1, v101
	v_add_u32_e32 v103, 8, v103
	v_addc_co_u32_e32 v104, vcc, 0, v104, vcc
	s_andn2_b64 exec, exec, s[8:9]
	s_cbranch_execnz .LBB79_141
; %bb.142:
	s_or_b64 exec, exec, s[8:9]
.LBB79_143:
	s_or_b64 exec, exec, s[6:7]
.LBB79_144:
	s_or_b64 exec, exec, s[4:5]
	v_mov_b32_e32 v44, 0
	ds_read_b64 v[44:45], v44 offset:40
	s_waitcnt lgkmcnt(0)
	v_mul_f64 v[44:45], v[98:99], v[44:45]
.LBB79_145:
	s_or_b64 exec, exec, s[36:37]
	v_cmp_lt_u32_e64 s[0:1], 4, v0
	ds_write_b64 v100, v[42:43]
	s_waitcnt lgkmcnt(0)
	; wave barrier
	s_and_saveexec_b64 s[36:37], s[0:1]
	s_cbranch_execz .LBB79_161
; %bb.146:
	s_andn2_b64 vcc, exec, s[34:35]
	s_cbranch_vccnz .LBB79_148
; %bb.147:
	v_cmp_eq_u32_e32 vcc, 1, v0
	v_cndmask_b32_e32 v98, v35, v37, vcc
	v_cmp_eq_u32_e64 s[4:5], 2, v0
	v_cndmask_b32_e64 v98, v98, v39, s[4:5]
	v_cmp_eq_u32_e64 s[6:7], 3, v0
	v_cndmask_b32_e64 v98, v98, v41, s[6:7]
	;; [unrolled: 2-line block ×14, first 2 shown]
	v_cndmask_b32_e32 v98, v34, v36, vcc
	v_cndmask_b32_e64 v98, v98, v38, s[4:5]
	v_cndmask_b32_e64 v98, v98, v40, s[6:7]
	;; [unrolled: 1-line block ×10, first 2 shown]
	ds_read_b64 v[101:102], v100
	v_cndmask_b32_e64 v98, v98, v58, s[24:25]
	v_cndmask_b32_e64 v98, v98, v60, s[26:27]
	;; [unrolled: 1-line block ×4, first 2 shown]
	s_waitcnt lgkmcnt(0)
	v_mul_f64 v[98:99], v[98:99], v[101:102]
	s_cbranch_execz .LBB79_149
	s_branch .LBB79_150
.LBB79_148:
                                        ; implicit-def: $vgpr98_vgpr99
.LBB79_149:
	ds_read_b64 v[98:99], v100
.LBB79_150:
	s_and_saveexec_b64 s[4:5], s[2:3]
	s_cbranch_execz .LBB79_160
; %bb.151:
	v_add_u32_e32 v101, -6, v0
	v_add_u32_e32 v102, -5, v0
	v_cmp_lt_u32_e32 vcc, 6, v101
	v_mov_b32_e32 v101, 5
	s_and_saveexec_b64 s[2:3], vcc
	s_cbranch_execz .LBB79_155
; %bb.152:
	v_and_b32_e32 v101, -8, v102
	v_sub_u32_e32 v103, 0, v101
	s_mov_b64 s[6:7], 12
	s_movk_i32 s10, 0xa8
	s_mov_b64 s[8:9], 0
.LBB79_153:                             ; =>This Inner Loop Header: Depth=1
	s_lshl_b32 s11, s6, 1
	s_add_i32 s12, s11, -13
	v_mov_b32_e32 v101, s10
	s_add_i32 s13, s11, -14
	s_set_gpr_idx_on s12, gpr_idx(SRC0)
	v_mov_b32_e32 v109, v34
	s_set_gpr_idx_off
	s_set_gpr_idx_on s13, gpr_idx(SRC0)
	v_mov_b32_e32 v108, v34
	s_set_gpr_idx_off
	ds_read2_b64 v[104:107], v101 offset1:1
	s_add_i32 s12, s11, -11
	s_add_i32 s13, s11, -12
	;; [unrolled: 1-line block ×4, first 2 shown]
	s_waitcnt lgkmcnt(0)
	v_fma_f64 v[98:99], v[108:109], v[104:105], v[98:99]
	s_set_gpr_idx_on s12, gpr_idx(SRC0)
	v_mov_b32_e32 v105, v34
	s_set_gpr_idx_off
	s_set_gpr_idx_on s13, gpr_idx(SRC0)
	v_mov_b32_e32 v104, v34
	s_set_gpr_idx_off
	s_add_i32 s12, s11, -7
	s_add_i32 s13, s11, -8
	v_fma_f64 v[98:99], v[104:105], v[106:107], v[98:99]
	s_set_gpr_idx_on s14, gpr_idx(SRC0)
	v_mov_b32_e32 v109, v34
	s_set_gpr_idx_off
	s_set_gpr_idx_on s15, gpr_idx(SRC0)
	v_mov_b32_e32 v108, v34
	s_set_gpr_idx_off
	ds_read2_b64 v[104:107], v101 offset0:2 offset1:3
	s_add_i32 s14, s11, -5
	s_add_i32 s15, s11, -6
	s_waitcnt lgkmcnt(0)
	v_fma_f64 v[98:99], v[108:109], v[104:105], v[98:99]
	s_set_gpr_idx_on s12, gpr_idx(SRC0)
	v_mov_b32_e32 v105, v34
	s_set_gpr_idx_off
	s_set_gpr_idx_on s13, gpr_idx(SRC0)
	v_mov_b32_e32 v104, v34
	s_set_gpr_idx_off
	s_add_i32 s12, s11, -3
	s_add_i32 s13, s11, -4
	v_fma_f64 v[98:99], v[104:105], v[106:107], v[98:99]
	s_set_gpr_idx_on s14, gpr_idx(SRC0)
	v_mov_b32_e32 v109, v34
	s_set_gpr_idx_off
	s_set_gpr_idx_on s15, gpr_idx(SRC0)
	v_mov_b32_e32 v108, v34
	s_set_gpr_idx_off
	ds_read2_b64 v[104:107], v101 offset0:4 offset1:5
	s_add_i32 s14, s11, -1
	s_add_i32 s15, s11, -2
	s_add_u32 s6, s6, 8
	s_addc_u32 s7, s7, 0
	s_waitcnt lgkmcnt(0)
	v_fma_f64 v[98:99], v[108:109], v[104:105], v[98:99]
	s_set_gpr_idx_on s12, gpr_idx(SRC0)
	v_mov_b32_e32 v105, v34
	s_set_gpr_idx_off
	s_set_gpr_idx_on s13, gpr_idx(SRC0)
	v_mov_b32_e32 v104, v34
	s_set_gpr_idx_off
	s_add_i32 s10, s10, 64
	v_fma_f64 v[98:99], v[104:105], v[106:107], v[98:99]
	s_set_gpr_idx_on s14, gpr_idx(SRC0)
	v_mov_b32_e32 v109, v34
	s_set_gpr_idx_off
	s_set_gpr_idx_on s15, gpr_idx(SRC0)
	v_mov_b32_e32 v108, v34
	s_set_gpr_idx_off
	ds_read2_b64 v[104:107], v101 offset0:6 offset1:7
	v_add_u32_e32 v101, s6, v103
	v_cmp_eq_u32_e32 vcc, 12, v101
	s_waitcnt lgkmcnt(0)
	v_fma_f64 v[98:99], v[108:109], v[104:105], v[98:99]
	s_set_gpr_idx_on s11, gpr_idx(SRC0)
	v_mov_b32_e32 v105, v35
	v_mov_b32_e32 v104, v34
	s_set_gpr_idx_off
	s_add_i32 s11, s6, -7
	s_or_b64 s[8:9], vcc, s[8:9]
	v_mov_b32_e32 v101, s11
	v_fma_f64 v[98:99], v[104:105], v[106:107], v[98:99]
	s_andn2_b64 exec, exec, s[8:9]
	s_cbranch_execnz .LBB79_153
; %bb.154:
	s_or_b64 exec, exec, s[8:9]
.LBB79_155:
	s_or_b64 exec, exec, s[2:3]
	v_and_b32_e32 v102, 7, v102
	v_cmp_ne_u32_e32 vcc, 0, v102
	s_and_saveexec_b64 s[6:7], vcc
	s_cbranch_execz .LBB79_159
; %bb.156:
	v_mov_b32_e32 v103, 0x80
	v_lshl_add_u32 v103, v101, 3, v103
	v_mov_b32_e32 v104, 0
	s_mov_b64 s[8:9], 0
.LBB79_157:                             ; =>This Inner Loop Header: Depth=1
	v_cmp_eq_u32_e32 vcc, 1, v101
	v_cndmask_b32_e32 v107, v35, v37, vcc
	v_cmp_eq_u32_e64 s[2:3], 2, v101
	v_cndmask_b32_e64 v107, v107, v39, s[2:3]
	v_cndmask_b32_e32 v108, v34, v36, vcc
	v_cmp_eq_u32_e32 vcc, 3, v101
	v_cndmask_b32_e32 v107, v107, v41, vcc
	v_cndmask_b32_e64 v108, v108, v38, s[2:3]
	v_cmp_eq_u32_e64 s[2:3], 4, v101
	v_cndmask_b32_e64 v107, v107, v43, s[2:3]
	v_cndmask_b32_e32 v108, v108, v40, vcc
	v_cmp_eq_u32_e32 vcc, 5, v101
	v_cndmask_b32_e32 v107, v107, v45, vcc
	v_cndmask_b32_e64 v108, v108, v42, s[2:3]
	;; [unrolled: 6-line block ×5, first 2 shown]
	v_cmp_eq_u32_e64 s[2:3], 12, v101
	ds_read_b64 v[105:106], v103
	v_cndmask_b32_e64 v107, v107, v59, s[2:3]
	v_cndmask_b32_e32 v108, v108, v56, vcc
	v_cmp_eq_u32_e32 vcc, 13, v101
	v_cndmask_b32_e32 v107, v107, v61, vcc
	v_cndmask_b32_e64 v108, v108, v58, s[2:3]
	v_cmp_eq_u32_e64 s[2:3], 14, v101
	v_cndmask_b32_e64 v107, v107, v63, s[2:3]
	v_cndmask_b32_e32 v109, v108, v60, vcc
	v_cmp_eq_u32_e32 vcc, 15, v101
	v_cndmask_b32_e32 v108, v107, v65, vcc
	v_cndmask_b32_e64 v107, v109, v62, s[2:3]
	v_cndmask_b32_e32 v107, v107, v64, vcc
	s_waitcnt lgkmcnt(0)
	v_fma_f64 v[98:99], v[107:108], v[105:106], v[98:99]
	v_add_u32_e32 v102, -1, v102
	v_cmp_eq_u32_e32 vcc, 0, v102
	s_or_b64 s[8:9], vcc, s[8:9]
	v_add_co_u32_e32 v101, vcc, 1, v101
	v_add_u32_e32 v103, 8, v103
	v_addc_co_u32_e32 v104, vcc, 0, v104, vcc
	s_andn2_b64 exec, exec, s[8:9]
	s_cbranch_execnz .LBB79_157
; %bb.158:
	s_or_b64 exec, exec, s[8:9]
.LBB79_159:
	s_or_b64 exec, exec, s[6:7]
.LBB79_160:
	s_or_b64 exec, exec, s[4:5]
	v_mov_b32_e32 v42, 0
	ds_read_b64 v[42:43], v42 offset:32
	s_waitcnt lgkmcnt(0)
	v_mul_f64 v[42:43], v[98:99], v[42:43]
.LBB79_161:
	s_or_b64 exec, exec, s[36:37]
	v_cmp_lt_u32_e64 s[2:3], 3, v0
	ds_write_b64 v100, v[40:41]
	s_waitcnt lgkmcnt(0)
	; wave barrier
	s_and_saveexec_b64 s[36:37], s[2:3]
	s_cbranch_execz .LBB79_177
; %bb.162:
	s_andn2_b64 vcc, exec, s[34:35]
	s_cbranch_vccnz .LBB79_164
; %bb.163:
	v_cmp_eq_u32_e32 vcc, 1, v0
	v_cndmask_b32_e32 v98, v35, v37, vcc
	v_cmp_eq_u32_e64 s[4:5], 2, v0
	v_cndmask_b32_e64 v98, v98, v39, s[4:5]
	v_cmp_eq_u32_e64 s[6:7], 3, v0
	v_cndmask_b32_e64 v98, v98, v41, s[6:7]
	v_cmp_eq_u32_e64 s[8:9], 4, v0
	v_cndmask_b32_e64 v98, v98, v43, s[8:9]
	v_cmp_eq_u32_e64 s[10:11], 5, v0
	v_cndmask_b32_e64 v98, v98, v45, s[10:11]
	v_cmp_eq_u32_e64 s[12:13], 6, v0
	v_cndmask_b32_e64 v98, v98, v47, s[12:13]
	v_cmp_eq_u32_e64 s[14:15], 7, v0
	v_cndmask_b32_e64 v98, v98, v49, s[14:15]
	v_cmp_eq_u32_e64 s[16:17], 8, v0
	v_cndmask_b32_e64 v98, v98, v51, s[16:17]
	v_cmp_eq_u32_e64 s[18:19], 9, v0
	v_cndmask_b32_e64 v98, v98, v53, s[18:19]
	v_cmp_eq_u32_e64 s[20:21], 10, v0
	v_cndmask_b32_e64 v98, v98, v55, s[20:21]
	v_cmp_eq_u32_e64 s[22:23], 11, v0
	v_cndmask_b32_e64 v98, v98, v57, s[22:23]
	v_cmp_eq_u32_e64 s[24:25], 12, v0
	v_cndmask_b32_e64 v98, v98, v59, s[24:25]
	v_cmp_eq_u32_e64 s[26:27], 13, v0
	v_cndmask_b32_e64 v98, v98, v61, s[26:27]
	v_cmp_eq_u32_e64 s[28:29], 14, v0
	v_cndmask_b32_e64 v98, v98, v63, s[28:29]
	v_cmp_eq_u32_e64 s[30:31], 15, v0
	v_cndmask_b32_e64 v99, v98, v65, s[30:31]
	v_cndmask_b32_e32 v98, v34, v36, vcc
	v_cndmask_b32_e64 v98, v98, v38, s[4:5]
	v_cndmask_b32_e64 v98, v98, v40, s[6:7]
	;; [unrolled: 1-line block ×10, first 2 shown]
	ds_read_b64 v[101:102], v100
	v_cndmask_b32_e64 v98, v98, v58, s[24:25]
	v_cndmask_b32_e64 v98, v98, v60, s[26:27]
	;; [unrolled: 1-line block ×4, first 2 shown]
	s_waitcnt lgkmcnt(0)
	v_mul_f64 v[98:99], v[98:99], v[101:102]
	s_cbranch_execz .LBB79_165
	s_branch .LBB79_166
.LBB79_164:
                                        ; implicit-def: $vgpr98_vgpr99
.LBB79_165:
	ds_read_b64 v[98:99], v100
.LBB79_166:
	s_and_saveexec_b64 s[4:5], s[0:1]
	s_cbranch_execz .LBB79_176
; %bb.167:
	v_add_u32_e32 v101, -5, v0
	v_add_u32_e32 v102, -4, v0
	v_cmp_lt_u32_e32 vcc, 6, v101
	v_mov_b32_e32 v101, 4
	s_and_saveexec_b64 s[0:1], vcc
	s_cbranch_execz .LBB79_171
; %bb.168:
	v_and_b32_e32 v101, -8, v102
	v_sub_u32_e32 v103, 0, v101
	s_mov_b64 s[6:7], 5
	s_movk_i32 s10, 0xa0
	s_mov_b64 s[8:9], 0
.LBB79_169:                             ; =>This Inner Loop Header: Depth=1
	s_lshl_b32 s11, s6, 1
	s_add_i32 s12, s11, -1
	v_mov_b32_e32 v101, s10
	s_add_i32 s13, s11, -2
	s_set_gpr_idx_on s12, gpr_idx(SRC0)
	v_mov_b32_e32 v113, v34
	s_set_gpr_idx_off
	s_set_gpr_idx_on s13, gpr_idx(SRC0)
	v_mov_b32_e32 v112, v34
	s_set_gpr_idx_off
	ds_read_b128 v[104:107], v101
	ds_read_b128 v[108:111], v101 offset:16
	s_add_i32 s12, s11, 3
	s_add_i32 s13, s11, 2
	s_waitcnt lgkmcnt(1)
	v_fma_f64 v[98:99], v[112:113], v[104:105], v[98:99]
	ds_read_b128 v[112:115], v101 offset:32
	ds_read_b128 v[116:119], v101 offset:48
	s_set_gpr_idx_on s11, gpr_idx(SRC0)
	v_mov_b32_e32 v105, v35
	v_mov_b32_e32 v104, v34
	s_set_gpr_idx_off
	v_fma_f64 v[98:99], v[104:105], v[106:107], v[98:99]
	s_set_gpr_idx_on s12, gpr_idx(SRC0)
	v_mov_b32_e32 v105, v34
	s_set_gpr_idx_off
	s_set_gpr_idx_on s13, gpr_idx(SRC0)
	v_mov_b32_e32 v104, v34
	s_set_gpr_idx_off
	s_add_i32 s12, s11, 5
	s_add_i32 s13, s11, 4
	s_waitcnt lgkmcnt(2)
	v_fma_f64 v[98:99], v[104:105], v[108:109], v[98:99]
	s_set_gpr_idx_on s12, gpr_idx(SRC0)
	v_mov_b32_e32 v105, v34
	s_set_gpr_idx_off
	s_set_gpr_idx_on s13, gpr_idx(SRC0)
	v_mov_b32_e32 v104, v34
	s_set_gpr_idx_off
	s_add_i32 s12, s11, 7
	s_add_i32 s13, s11, 6
	v_fma_f64 v[98:99], v[104:105], v[110:111], v[98:99]
	s_set_gpr_idx_on s12, gpr_idx(SRC0)
	v_mov_b32_e32 v105, v34
	s_set_gpr_idx_off
	s_set_gpr_idx_on s13, gpr_idx(SRC0)
	v_mov_b32_e32 v104, v34
	s_set_gpr_idx_off
	s_add_i32 s12, s11, 9
	s_add_i32 s13, s11, 8
	s_waitcnt lgkmcnt(1)
	v_fma_f64 v[98:99], v[104:105], v[112:113], v[98:99]
	s_set_gpr_idx_on s12, gpr_idx(SRC0)
	v_mov_b32_e32 v105, v34
	s_set_gpr_idx_off
	s_set_gpr_idx_on s13, gpr_idx(SRC0)
	v_mov_b32_e32 v104, v34
	s_set_gpr_idx_off
	s_add_i32 s12, s11, 11
	s_add_i32 s13, s11, 10
	v_fma_f64 v[98:99], v[104:105], v[114:115], v[98:99]
	s_set_gpr_idx_on s12, gpr_idx(SRC0)
	v_mov_b32_e32 v105, v34
	s_set_gpr_idx_off
	s_set_gpr_idx_on s13, gpr_idx(SRC0)
	v_mov_b32_e32 v104, v34
	s_set_gpr_idx_off
	s_add_i32 s12, s11, 13
	s_add_i32 s11, s11, 12
	s_add_u32 s6, s6, 8
	v_add_u32_e32 v101, s6, v103
	s_addc_u32 s7, s7, 0
	s_waitcnt lgkmcnt(0)
	v_fma_f64 v[98:99], v[104:105], v[116:117], v[98:99]
	s_set_gpr_idx_on s12, gpr_idx(SRC0)
	v_mov_b32_e32 v105, v34
	s_set_gpr_idx_off
	s_set_gpr_idx_on s11, gpr_idx(SRC0)
	v_mov_b32_e32 v104, v34
	s_set_gpr_idx_off
	s_add_i32 s10, s10, 64
	s_add_i32 s11, s6, -1
	v_cmp_eq_u32_e32 vcc, 5, v101
	s_or_b64 s[8:9], vcc, s[8:9]
	v_mov_b32_e32 v101, s11
	v_fma_f64 v[98:99], v[104:105], v[118:119], v[98:99]
	s_andn2_b64 exec, exec, s[8:9]
	s_cbranch_execnz .LBB79_169
; %bb.170:
	s_or_b64 exec, exec, s[8:9]
.LBB79_171:
	s_or_b64 exec, exec, s[0:1]
	v_and_b32_e32 v102, 7, v102
	v_cmp_ne_u32_e32 vcc, 0, v102
	s_and_saveexec_b64 s[6:7], vcc
	s_cbranch_execz .LBB79_175
; %bb.172:
	v_mov_b32_e32 v103, 0x80
	v_lshl_add_u32 v103, v101, 3, v103
	v_mov_b32_e32 v104, 0
	s_mov_b64 s[8:9], 0
.LBB79_173:                             ; =>This Inner Loop Header: Depth=1
	v_cmp_eq_u32_e32 vcc, 1, v101
	v_cndmask_b32_e32 v107, v35, v37, vcc
	v_cmp_eq_u32_e64 s[0:1], 2, v101
	v_cndmask_b32_e64 v107, v107, v39, s[0:1]
	v_cndmask_b32_e32 v108, v34, v36, vcc
	v_cmp_eq_u32_e32 vcc, 3, v101
	v_cndmask_b32_e32 v107, v107, v41, vcc
	v_cndmask_b32_e64 v108, v108, v38, s[0:1]
	v_cmp_eq_u32_e64 s[0:1], 4, v101
	v_cndmask_b32_e64 v107, v107, v43, s[0:1]
	v_cndmask_b32_e32 v108, v108, v40, vcc
	v_cmp_eq_u32_e32 vcc, 5, v101
	v_cndmask_b32_e32 v107, v107, v45, vcc
	v_cndmask_b32_e64 v108, v108, v42, s[0:1]
	;; [unrolled: 6-line block ×5, first 2 shown]
	v_cmp_eq_u32_e64 s[0:1], 12, v101
	ds_read_b64 v[105:106], v103
	v_cndmask_b32_e64 v107, v107, v59, s[0:1]
	v_cndmask_b32_e32 v108, v108, v56, vcc
	v_cmp_eq_u32_e32 vcc, 13, v101
	v_cndmask_b32_e32 v107, v107, v61, vcc
	v_cndmask_b32_e64 v108, v108, v58, s[0:1]
	v_cmp_eq_u32_e64 s[0:1], 14, v101
	v_cndmask_b32_e64 v107, v107, v63, s[0:1]
	v_cndmask_b32_e32 v109, v108, v60, vcc
	v_cmp_eq_u32_e32 vcc, 15, v101
	v_cndmask_b32_e32 v108, v107, v65, vcc
	v_cndmask_b32_e64 v107, v109, v62, s[0:1]
	v_cndmask_b32_e32 v107, v107, v64, vcc
	s_waitcnt lgkmcnt(0)
	v_fma_f64 v[98:99], v[107:108], v[105:106], v[98:99]
	v_add_u32_e32 v102, -1, v102
	v_cmp_eq_u32_e32 vcc, 0, v102
	s_or_b64 s[8:9], vcc, s[8:9]
	v_add_co_u32_e32 v101, vcc, 1, v101
	v_add_u32_e32 v103, 8, v103
	v_addc_co_u32_e32 v104, vcc, 0, v104, vcc
	s_andn2_b64 exec, exec, s[8:9]
	s_cbranch_execnz .LBB79_173
; %bb.174:
	s_or_b64 exec, exec, s[8:9]
.LBB79_175:
	s_or_b64 exec, exec, s[6:7]
.LBB79_176:
	s_or_b64 exec, exec, s[4:5]
	v_mov_b32_e32 v40, 0
	ds_read_b64 v[40:41], v40 offset:24
	s_waitcnt lgkmcnt(0)
	v_mul_f64 v[40:41], v[98:99], v[40:41]
.LBB79_177:
	s_or_b64 exec, exec, s[36:37]
	v_cmp_lt_u32_e64 s[0:1], 2, v0
	ds_write_b64 v100, v[38:39]
	s_waitcnt lgkmcnt(0)
	; wave barrier
	s_and_saveexec_b64 s[36:37], s[0:1]
	s_cbranch_execz .LBB79_193
; %bb.178:
	s_andn2_b64 vcc, exec, s[34:35]
	s_cbranch_vccnz .LBB79_180
; %bb.179:
	v_cmp_eq_u32_e32 vcc, 1, v0
	v_cndmask_b32_e32 v98, v35, v37, vcc
	v_cmp_eq_u32_e64 s[4:5], 2, v0
	v_cndmask_b32_e64 v98, v98, v39, s[4:5]
	v_cmp_eq_u32_e64 s[6:7], 3, v0
	v_cndmask_b32_e64 v98, v98, v41, s[6:7]
	;; [unrolled: 2-line block ×14, first 2 shown]
	v_cndmask_b32_e32 v98, v34, v36, vcc
	v_cndmask_b32_e64 v98, v98, v38, s[4:5]
	v_cndmask_b32_e64 v98, v98, v40, s[6:7]
	;; [unrolled: 1-line block ×10, first 2 shown]
	ds_read_b64 v[101:102], v100
	v_cndmask_b32_e64 v98, v98, v58, s[24:25]
	v_cndmask_b32_e64 v98, v98, v60, s[26:27]
	;; [unrolled: 1-line block ×4, first 2 shown]
	s_waitcnt lgkmcnt(0)
	v_mul_f64 v[98:99], v[98:99], v[101:102]
	s_cbranch_execz .LBB79_181
	s_branch .LBB79_182
.LBB79_180:
                                        ; implicit-def: $vgpr98_vgpr99
.LBB79_181:
	ds_read_b64 v[98:99], v100
.LBB79_182:
	s_and_saveexec_b64 s[4:5], s[2:3]
	s_cbranch_execz .LBB79_192
; %bb.183:
	v_add_u32_e32 v101, -4, v0
	v_add_u32_e32 v102, -3, v0
	v_cmp_lt_u32_e32 vcc, 6, v101
	v_mov_b32_e32 v101, 3
	s_and_saveexec_b64 s[2:3], vcc
	s_cbranch_execz .LBB79_187
; %bb.184:
	v_and_b32_e32 v101, -8, v102
	v_sub_u32_e32 v103, 0, v101
	s_mov_b64 s[6:7], 10
	s_movk_i32 s10, 0x98
	s_mov_b64 s[8:9], 0
.LBB79_185:                             ; =>This Inner Loop Header: Depth=1
	s_lshl_b32 s11, s6, 1
	s_add_i32 s12, s11, -13
	v_mov_b32_e32 v101, s10
	s_add_i32 s13, s11, -14
	s_set_gpr_idx_on s12, gpr_idx(SRC0)
	v_mov_b32_e32 v109, v34
	s_set_gpr_idx_off
	s_set_gpr_idx_on s13, gpr_idx(SRC0)
	v_mov_b32_e32 v108, v34
	s_set_gpr_idx_off
	ds_read2_b64 v[104:107], v101 offset1:1
	s_add_i32 s12, s11, -11
	s_add_i32 s13, s11, -12
	;; [unrolled: 1-line block ×4, first 2 shown]
	s_waitcnt lgkmcnt(0)
	v_fma_f64 v[98:99], v[108:109], v[104:105], v[98:99]
	s_set_gpr_idx_on s12, gpr_idx(SRC0)
	v_mov_b32_e32 v105, v34
	s_set_gpr_idx_off
	s_set_gpr_idx_on s13, gpr_idx(SRC0)
	v_mov_b32_e32 v104, v34
	s_set_gpr_idx_off
	s_add_i32 s12, s11, -7
	s_add_i32 s13, s11, -8
	v_fma_f64 v[98:99], v[104:105], v[106:107], v[98:99]
	s_set_gpr_idx_on s14, gpr_idx(SRC0)
	v_mov_b32_e32 v109, v34
	s_set_gpr_idx_off
	s_set_gpr_idx_on s15, gpr_idx(SRC0)
	v_mov_b32_e32 v108, v34
	s_set_gpr_idx_off
	ds_read2_b64 v[104:107], v101 offset0:2 offset1:3
	s_add_i32 s14, s11, -5
	s_add_i32 s15, s11, -6
	s_waitcnt lgkmcnt(0)
	v_fma_f64 v[98:99], v[108:109], v[104:105], v[98:99]
	s_set_gpr_idx_on s12, gpr_idx(SRC0)
	v_mov_b32_e32 v105, v34
	s_set_gpr_idx_off
	s_set_gpr_idx_on s13, gpr_idx(SRC0)
	v_mov_b32_e32 v104, v34
	s_set_gpr_idx_off
	s_add_i32 s12, s11, -3
	s_add_i32 s13, s11, -4
	v_fma_f64 v[98:99], v[104:105], v[106:107], v[98:99]
	s_set_gpr_idx_on s14, gpr_idx(SRC0)
	v_mov_b32_e32 v109, v34
	s_set_gpr_idx_off
	s_set_gpr_idx_on s15, gpr_idx(SRC0)
	v_mov_b32_e32 v108, v34
	s_set_gpr_idx_off
	ds_read2_b64 v[104:107], v101 offset0:4 offset1:5
	s_add_i32 s14, s11, -1
	s_add_i32 s15, s11, -2
	s_add_u32 s6, s6, 8
	s_addc_u32 s7, s7, 0
	s_waitcnt lgkmcnt(0)
	v_fma_f64 v[98:99], v[108:109], v[104:105], v[98:99]
	s_set_gpr_idx_on s12, gpr_idx(SRC0)
	v_mov_b32_e32 v105, v34
	s_set_gpr_idx_off
	s_set_gpr_idx_on s13, gpr_idx(SRC0)
	v_mov_b32_e32 v104, v34
	s_set_gpr_idx_off
	s_add_i32 s10, s10, 64
	v_fma_f64 v[98:99], v[104:105], v[106:107], v[98:99]
	s_set_gpr_idx_on s14, gpr_idx(SRC0)
	v_mov_b32_e32 v109, v34
	s_set_gpr_idx_off
	s_set_gpr_idx_on s15, gpr_idx(SRC0)
	v_mov_b32_e32 v108, v34
	s_set_gpr_idx_off
	ds_read2_b64 v[104:107], v101 offset0:6 offset1:7
	v_add_u32_e32 v101, s6, v103
	v_cmp_eq_u32_e32 vcc, 10, v101
	s_waitcnt lgkmcnt(0)
	v_fma_f64 v[98:99], v[108:109], v[104:105], v[98:99]
	s_set_gpr_idx_on s11, gpr_idx(SRC0)
	v_mov_b32_e32 v105, v35
	v_mov_b32_e32 v104, v34
	s_set_gpr_idx_off
	s_add_i32 s11, s6, -7
	s_or_b64 s[8:9], vcc, s[8:9]
	v_mov_b32_e32 v101, s11
	v_fma_f64 v[98:99], v[104:105], v[106:107], v[98:99]
	s_andn2_b64 exec, exec, s[8:9]
	s_cbranch_execnz .LBB79_185
; %bb.186:
	s_or_b64 exec, exec, s[8:9]
.LBB79_187:
	s_or_b64 exec, exec, s[2:3]
	v_and_b32_e32 v102, 7, v102
	v_cmp_ne_u32_e32 vcc, 0, v102
	s_and_saveexec_b64 s[6:7], vcc
	s_cbranch_execz .LBB79_191
; %bb.188:
	v_mov_b32_e32 v103, 0x80
	v_lshl_add_u32 v103, v101, 3, v103
	v_mov_b32_e32 v104, 0
	s_mov_b64 s[8:9], 0
.LBB79_189:                             ; =>This Inner Loop Header: Depth=1
	v_cmp_eq_u32_e32 vcc, 1, v101
	v_cndmask_b32_e32 v107, v35, v37, vcc
	v_cmp_eq_u32_e64 s[2:3], 2, v101
	v_cndmask_b32_e64 v107, v107, v39, s[2:3]
	v_cndmask_b32_e32 v108, v34, v36, vcc
	v_cmp_eq_u32_e32 vcc, 3, v101
	v_cndmask_b32_e32 v107, v107, v41, vcc
	v_cndmask_b32_e64 v108, v108, v38, s[2:3]
	v_cmp_eq_u32_e64 s[2:3], 4, v101
	v_cndmask_b32_e64 v107, v107, v43, s[2:3]
	v_cndmask_b32_e32 v108, v108, v40, vcc
	v_cmp_eq_u32_e32 vcc, 5, v101
	v_cndmask_b32_e32 v107, v107, v45, vcc
	v_cndmask_b32_e64 v108, v108, v42, s[2:3]
	;; [unrolled: 6-line block ×5, first 2 shown]
	v_cmp_eq_u32_e64 s[2:3], 12, v101
	ds_read_b64 v[105:106], v103
	v_cndmask_b32_e64 v107, v107, v59, s[2:3]
	v_cndmask_b32_e32 v108, v108, v56, vcc
	v_cmp_eq_u32_e32 vcc, 13, v101
	v_cndmask_b32_e32 v107, v107, v61, vcc
	v_cndmask_b32_e64 v108, v108, v58, s[2:3]
	v_cmp_eq_u32_e64 s[2:3], 14, v101
	v_cndmask_b32_e64 v107, v107, v63, s[2:3]
	v_cndmask_b32_e32 v109, v108, v60, vcc
	v_cmp_eq_u32_e32 vcc, 15, v101
	v_cndmask_b32_e32 v108, v107, v65, vcc
	v_cndmask_b32_e64 v107, v109, v62, s[2:3]
	v_cndmask_b32_e32 v107, v107, v64, vcc
	s_waitcnt lgkmcnt(0)
	v_fma_f64 v[98:99], v[107:108], v[105:106], v[98:99]
	v_add_u32_e32 v102, -1, v102
	v_cmp_eq_u32_e32 vcc, 0, v102
	s_or_b64 s[8:9], vcc, s[8:9]
	v_add_co_u32_e32 v101, vcc, 1, v101
	v_add_u32_e32 v103, 8, v103
	v_addc_co_u32_e32 v104, vcc, 0, v104, vcc
	s_andn2_b64 exec, exec, s[8:9]
	s_cbranch_execnz .LBB79_189
; %bb.190:
	s_or_b64 exec, exec, s[8:9]
.LBB79_191:
	s_or_b64 exec, exec, s[6:7]
.LBB79_192:
	s_or_b64 exec, exec, s[4:5]
	v_mov_b32_e32 v38, 0
	ds_read_b64 v[38:39], v38 offset:16
	s_waitcnt lgkmcnt(0)
	v_mul_f64 v[38:39], v[98:99], v[38:39]
.LBB79_193:
	s_or_b64 exec, exec, s[36:37]
	v_cmp_lt_u32_e64 s[2:3], 1, v0
	ds_write_b64 v100, v[36:37]
	s_waitcnt lgkmcnt(0)
	; wave barrier
	s_and_saveexec_b64 s[36:37], s[2:3]
	s_cbranch_execz .LBB79_209
; %bb.194:
	s_andn2_b64 vcc, exec, s[34:35]
	s_cbranch_vccnz .LBB79_196
; %bb.195:
	v_cmp_eq_u32_e32 vcc, 1, v0
	v_cndmask_b32_e32 v98, v35, v37, vcc
	v_cmp_eq_u32_e64 s[4:5], 2, v0
	v_cndmask_b32_e64 v98, v98, v39, s[4:5]
	v_cmp_eq_u32_e64 s[6:7], 3, v0
	v_cndmask_b32_e64 v98, v98, v41, s[6:7]
	;; [unrolled: 2-line block ×14, first 2 shown]
	v_cndmask_b32_e32 v98, v34, v36, vcc
	v_cndmask_b32_e64 v98, v98, v38, s[4:5]
	v_cndmask_b32_e64 v98, v98, v40, s[6:7]
	v_cndmask_b32_e64 v98, v98, v42, s[8:9]
	v_cndmask_b32_e64 v98, v98, v44, s[10:11]
	v_cndmask_b32_e64 v98, v98, v46, s[12:13]
	v_cndmask_b32_e64 v98, v98, v48, s[14:15]
	v_cndmask_b32_e64 v98, v98, v50, s[16:17]
	v_cndmask_b32_e64 v98, v98, v52, s[18:19]
	v_cndmask_b32_e64 v98, v98, v54, s[20:21]
	v_cndmask_b32_e64 v98, v98, v56, s[22:23]
	ds_read_b64 v[101:102], v100
	v_cndmask_b32_e64 v98, v98, v58, s[24:25]
	v_cndmask_b32_e64 v98, v98, v60, s[26:27]
	;; [unrolled: 1-line block ×4, first 2 shown]
	s_waitcnt lgkmcnt(0)
	v_mul_f64 v[98:99], v[98:99], v[101:102]
	s_cbranch_execz .LBB79_197
	s_branch .LBB79_198
.LBB79_196:
                                        ; implicit-def: $vgpr98_vgpr99
.LBB79_197:
	ds_read_b64 v[98:99], v100
.LBB79_198:
	s_and_saveexec_b64 s[4:5], s[0:1]
	s_cbranch_execz .LBB79_208
; %bb.199:
	v_add_u32_e32 v101, -3, v0
	v_add_u32_e32 v102, -2, v0
	v_cmp_lt_u32_e32 vcc, 6, v101
	v_mov_b32_e32 v101, 2
	s_and_saveexec_b64 s[0:1], vcc
	s_cbranch_execz .LBB79_203
; %bb.200:
	v_and_b32_e32 v101, -8, v102
	v_sub_u32_e32 v103, 0, v101
	s_mov_b64 s[6:7], 9
	s_movk_i32 s10, 0x90
	s_mov_b64 s[8:9], 0
.LBB79_201:                             ; =>This Inner Loop Header: Depth=1
	s_lshl_b32 s11, s6, 1
	s_add_i32 s12, s11, -13
	v_mov_b32_e32 v101, s10
	s_add_i32 s13, s11, -14
	s_set_gpr_idx_on s12, gpr_idx(SRC0)
	v_mov_b32_e32 v113, v34
	s_set_gpr_idx_off
	s_set_gpr_idx_on s13, gpr_idx(SRC0)
	v_mov_b32_e32 v112, v34
	s_set_gpr_idx_off
	ds_read_b128 v[104:107], v101
	ds_read_b128 v[108:111], v101 offset:16
	s_add_i32 s12, s11, -11
	s_add_i32 s13, s11, -12
	s_waitcnt lgkmcnt(1)
	v_fma_f64 v[98:99], v[112:113], v[104:105], v[98:99]
	ds_read_b128 v[112:115], v101 offset:32
	ds_read_b128 v[116:119], v101 offset:48
	s_set_gpr_idx_on s12, gpr_idx(SRC0)
	v_mov_b32_e32 v105, v34
	s_set_gpr_idx_off
	s_set_gpr_idx_on s13, gpr_idx(SRC0)
	v_mov_b32_e32 v104, v34
	s_set_gpr_idx_off
	s_add_i32 s12, s11, -9
	s_add_i32 s13, s11, -10
	v_fma_f64 v[98:99], v[104:105], v[106:107], v[98:99]
	s_set_gpr_idx_on s12, gpr_idx(SRC0)
	v_mov_b32_e32 v105, v34
	s_set_gpr_idx_off
	s_set_gpr_idx_on s13, gpr_idx(SRC0)
	v_mov_b32_e32 v104, v34
	s_set_gpr_idx_off
	s_add_i32 s12, s11, -7
	s_add_i32 s13, s11, -8
	s_waitcnt lgkmcnt(2)
	v_fma_f64 v[98:99], v[104:105], v[108:109], v[98:99]
	s_set_gpr_idx_on s12, gpr_idx(SRC0)
	v_mov_b32_e32 v105, v34
	s_set_gpr_idx_off
	s_set_gpr_idx_on s13, gpr_idx(SRC0)
	v_mov_b32_e32 v104, v34
	s_set_gpr_idx_off
	s_add_i32 s12, s11, -5
	s_add_i32 s13, s11, -6
	v_fma_f64 v[98:99], v[104:105], v[110:111], v[98:99]
	s_set_gpr_idx_on s12, gpr_idx(SRC0)
	v_mov_b32_e32 v105, v34
	s_set_gpr_idx_off
	s_set_gpr_idx_on s13, gpr_idx(SRC0)
	v_mov_b32_e32 v104, v34
	s_set_gpr_idx_off
	s_add_i32 s12, s11, -3
	s_add_i32 s13, s11, -4
	s_waitcnt lgkmcnt(1)
	v_fma_f64 v[98:99], v[104:105], v[112:113], v[98:99]
	s_set_gpr_idx_on s12, gpr_idx(SRC0)
	v_mov_b32_e32 v105, v34
	s_set_gpr_idx_off
	s_set_gpr_idx_on s13, gpr_idx(SRC0)
	v_mov_b32_e32 v104, v34
	s_set_gpr_idx_off
	s_add_i32 s12, s11, -1
	s_add_i32 s13, s11, -2
	s_add_u32 s6, s6, 8
	v_add_u32_e32 v101, s6, v103
	s_addc_u32 s7, s7, 0
	v_fma_f64 v[98:99], v[104:105], v[114:115], v[98:99]
	s_set_gpr_idx_on s12, gpr_idx(SRC0)
	v_mov_b32_e32 v105, v34
	s_set_gpr_idx_off
	s_set_gpr_idx_on s13, gpr_idx(SRC0)
	v_mov_b32_e32 v104, v34
	s_set_gpr_idx_off
	s_add_i32 s10, s10, 64
	v_cmp_eq_u32_e32 vcc, 9, v101
	s_waitcnt lgkmcnt(0)
	v_fma_f64 v[98:99], v[104:105], v[116:117], v[98:99]
	s_set_gpr_idx_on s11, gpr_idx(SRC0)
	v_mov_b32_e32 v105, v35
	v_mov_b32_e32 v104, v34
	s_set_gpr_idx_off
	s_add_i32 s11, s6, -7
	s_or_b64 s[8:9], vcc, s[8:9]
	v_mov_b32_e32 v101, s11
	v_fma_f64 v[98:99], v[104:105], v[118:119], v[98:99]
	s_andn2_b64 exec, exec, s[8:9]
	s_cbranch_execnz .LBB79_201
; %bb.202:
	s_or_b64 exec, exec, s[8:9]
.LBB79_203:
	s_or_b64 exec, exec, s[0:1]
	v_and_b32_e32 v102, 7, v102
	v_cmp_ne_u32_e32 vcc, 0, v102
	s_and_saveexec_b64 s[6:7], vcc
	s_cbranch_execz .LBB79_207
; %bb.204:
	v_mov_b32_e32 v103, 0x80
	v_lshl_add_u32 v103, v101, 3, v103
	v_mov_b32_e32 v104, 0
	s_mov_b64 s[8:9], 0
.LBB79_205:                             ; =>This Inner Loop Header: Depth=1
	v_cmp_eq_u32_e32 vcc, 1, v101
	v_cndmask_b32_e32 v107, v35, v37, vcc
	v_cmp_eq_u32_e64 s[0:1], 2, v101
	v_cndmask_b32_e64 v107, v107, v39, s[0:1]
	v_cndmask_b32_e32 v108, v34, v36, vcc
	v_cmp_eq_u32_e32 vcc, 3, v101
	v_cndmask_b32_e32 v107, v107, v41, vcc
	v_cndmask_b32_e64 v108, v108, v38, s[0:1]
	v_cmp_eq_u32_e64 s[0:1], 4, v101
	v_cndmask_b32_e64 v107, v107, v43, s[0:1]
	v_cndmask_b32_e32 v108, v108, v40, vcc
	v_cmp_eq_u32_e32 vcc, 5, v101
	v_cndmask_b32_e32 v107, v107, v45, vcc
	v_cndmask_b32_e64 v108, v108, v42, s[0:1]
	;; [unrolled: 6-line block ×5, first 2 shown]
	v_cmp_eq_u32_e64 s[0:1], 12, v101
	ds_read_b64 v[105:106], v103
	v_cndmask_b32_e64 v107, v107, v59, s[0:1]
	v_cndmask_b32_e32 v108, v108, v56, vcc
	v_cmp_eq_u32_e32 vcc, 13, v101
	v_cndmask_b32_e32 v107, v107, v61, vcc
	v_cndmask_b32_e64 v108, v108, v58, s[0:1]
	v_cmp_eq_u32_e64 s[0:1], 14, v101
	v_cndmask_b32_e64 v107, v107, v63, s[0:1]
	v_cndmask_b32_e32 v109, v108, v60, vcc
	v_cmp_eq_u32_e32 vcc, 15, v101
	v_cndmask_b32_e32 v108, v107, v65, vcc
	v_cndmask_b32_e64 v107, v109, v62, s[0:1]
	v_cndmask_b32_e32 v107, v107, v64, vcc
	s_waitcnt lgkmcnt(0)
	v_fma_f64 v[98:99], v[107:108], v[105:106], v[98:99]
	v_add_u32_e32 v102, -1, v102
	v_cmp_eq_u32_e32 vcc, 0, v102
	s_or_b64 s[8:9], vcc, s[8:9]
	v_add_co_u32_e32 v101, vcc, 1, v101
	v_add_u32_e32 v103, 8, v103
	v_addc_co_u32_e32 v104, vcc, 0, v104, vcc
	s_andn2_b64 exec, exec, s[8:9]
	s_cbranch_execnz .LBB79_205
; %bb.206:
	s_or_b64 exec, exec, s[8:9]
.LBB79_207:
	s_or_b64 exec, exec, s[6:7]
.LBB79_208:
	s_or_b64 exec, exec, s[4:5]
	v_mov_b32_e32 v36, 0
	ds_read_b64 v[36:37], v36 offset:8
	s_waitcnt lgkmcnt(0)
	v_mul_f64 v[36:37], v[98:99], v[36:37]
.LBB79_209:
	s_or_b64 exec, exec, s[36:37]
	v_cmp_ne_u32_e32 vcc, 0, v0
	ds_write_b64 v100, v[34:35]
	s_waitcnt lgkmcnt(0)
	; wave barrier
	s_and_saveexec_b64 s[30:31], vcc
	s_cbranch_execz .LBB79_225
; %bb.210:
	s_andn2_b64 vcc, exec, s[34:35]
	s_cbranch_vccnz .LBB79_212
; %bb.211:
	v_cmp_eq_u32_e32 vcc, 1, v0
	v_cndmask_b32_e32 v98, v35, v37, vcc
	v_cmp_eq_u32_e64 s[0:1], 2, v0
	v_cndmask_b32_e64 v98, v98, v39, s[0:1]
	v_cmp_eq_u32_e64 s[4:5], 3, v0
	v_cndmask_b32_e64 v98, v98, v41, s[4:5]
	;; [unrolled: 2-line block ×14, first 2 shown]
	v_cndmask_b32_e32 v98, v34, v36, vcc
	v_cndmask_b32_e64 v98, v98, v38, s[0:1]
	v_cndmask_b32_e64 v98, v98, v40, s[4:5]
	;; [unrolled: 1-line block ×10, first 2 shown]
	ds_read_b64 v[101:102], v100
	v_cndmask_b32_e64 v98, v98, v58, s[22:23]
	v_cndmask_b32_e64 v98, v98, v60, s[24:25]
	;; [unrolled: 1-line block ×4, first 2 shown]
	s_waitcnt lgkmcnt(0)
	v_mul_f64 v[98:99], v[98:99], v[101:102]
	s_cbranch_execz .LBB79_213
	s_branch .LBB79_214
.LBB79_212:
                                        ; implicit-def: $vgpr98_vgpr99
.LBB79_213:
	ds_read_b64 v[98:99], v100
.LBB79_214:
	s_and_saveexec_b64 s[4:5], s[2:3]
	s_cbranch_execz .LBB79_224
; %bb.215:
	v_add_u32_e32 v101, -2, v0
	v_add_u32_e32 v102, -1, v0
	v_cmp_lt_u32_e32 vcc, 6, v101
	v_mov_b32_e32 v101, 1
	s_and_saveexec_b64 s[0:1], vcc
	s_cbranch_execz .LBB79_219
; %bb.216:
	v_and_b32_e32 v101, -8, v102
	v_sub_u32_e32 v103, 0, v101
	s_mov_b64 s[2:3], 8
	s_movk_i32 s8, 0x88
	s_mov_b64 s[6:7], 0
.LBB79_217:                             ; =>This Inner Loop Header: Depth=1
	s_lshl_b32 s9, s2, 1
	s_add_i32 s10, s9, -13
	v_mov_b32_e32 v101, s8
	s_add_i32 s11, s9, -14
	s_set_gpr_idx_on s10, gpr_idx(SRC0)
	v_mov_b32_e32 v109, v34
	s_set_gpr_idx_off
	s_set_gpr_idx_on s11, gpr_idx(SRC0)
	v_mov_b32_e32 v108, v34
	s_set_gpr_idx_off
	ds_read2_b64 v[104:107], v101 offset1:1
	s_add_i32 s10, s9, -11
	s_add_i32 s11, s9, -12
	;; [unrolled: 1-line block ×4, first 2 shown]
	s_waitcnt lgkmcnt(0)
	v_fma_f64 v[98:99], v[108:109], v[104:105], v[98:99]
	s_set_gpr_idx_on s10, gpr_idx(SRC0)
	v_mov_b32_e32 v105, v34
	s_set_gpr_idx_off
	s_set_gpr_idx_on s11, gpr_idx(SRC0)
	v_mov_b32_e32 v104, v34
	s_set_gpr_idx_off
	s_add_i32 s10, s9, -7
	s_add_i32 s11, s9, -8
	v_fma_f64 v[98:99], v[104:105], v[106:107], v[98:99]
	s_set_gpr_idx_on s12, gpr_idx(SRC0)
	v_mov_b32_e32 v109, v34
	s_set_gpr_idx_off
	s_set_gpr_idx_on s13, gpr_idx(SRC0)
	v_mov_b32_e32 v108, v34
	s_set_gpr_idx_off
	ds_read2_b64 v[104:107], v101 offset0:2 offset1:3
	s_add_i32 s12, s9, -5
	s_add_i32 s13, s9, -6
	s_waitcnt lgkmcnt(0)
	v_fma_f64 v[98:99], v[108:109], v[104:105], v[98:99]
	s_set_gpr_idx_on s10, gpr_idx(SRC0)
	v_mov_b32_e32 v105, v34
	s_set_gpr_idx_off
	s_set_gpr_idx_on s11, gpr_idx(SRC0)
	v_mov_b32_e32 v104, v34
	s_set_gpr_idx_off
	s_add_i32 s10, s9, -3
	s_add_i32 s11, s9, -4
	v_fma_f64 v[98:99], v[104:105], v[106:107], v[98:99]
	s_set_gpr_idx_on s12, gpr_idx(SRC0)
	v_mov_b32_e32 v109, v34
	s_set_gpr_idx_off
	s_set_gpr_idx_on s13, gpr_idx(SRC0)
	v_mov_b32_e32 v108, v34
	s_set_gpr_idx_off
	ds_read2_b64 v[104:107], v101 offset0:4 offset1:5
	s_add_i32 s12, s9, -1
	s_add_i32 s13, s9, -2
	s_add_u32 s2, s2, 8
	s_addc_u32 s3, s3, 0
	s_waitcnt lgkmcnt(0)
	v_fma_f64 v[98:99], v[108:109], v[104:105], v[98:99]
	s_set_gpr_idx_on s10, gpr_idx(SRC0)
	v_mov_b32_e32 v105, v34
	s_set_gpr_idx_off
	s_set_gpr_idx_on s11, gpr_idx(SRC0)
	v_mov_b32_e32 v104, v34
	s_set_gpr_idx_off
	s_add_i32 s8, s8, 64
	v_fma_f64 v[98:99], v[104:105], v[106:107], v[98:99]
	s_set_gpr_idx_on s12, gpr_idx(SRC0)
	v_mov_b32_e32 v109, v34
	s_set_gpr_idx_off
	s_set_gpr_idx_on s13, gpr_idx(SRC0)
	v_mov_b32_e32 v108, v34
	s_set_gpr_idx_off
	ds_read2_b64 v[104:107], v101 offset0:6 offset1:7
	v_add_u32_e32 v101, s2, v103
	v_cmp_eq_u32_e32 vcc, 8, v101
	s_waitcnt lgkmcnt(0)
	v_fma_f64 v[98:99], v[108:109], v[104:105], v[98:99]
	s_set_gpr_idx_on s9, gpr_idx(SRC0)
	v_mov_b32_e32 v105, v35
	v_mov_b32_e32 v104, v34
	s_set_gpr_idx_off
	s_add_i32 s9, s2, -7
	s_or_b64 s[6:7], vcc, s[6:7]
	v_mov_b32_e32 v101, s9
	v_fma_f64 v[98:99], v[104:105], v[106:107], v[98:99]
	s_andn2_b64 exec, exec, s[6:7]
	s_cbranch_execnz .LBB79_217
; %bb.218:
	s_or_b64 exec, exec, s[6:7]
.LBB79_219:
	s_or_b64 exec, exec, s[0:1]
	v_and_b32_e32 v102, 7, v102
	v_cmp_ne_u32_e32 vcc, 0, v102
	s_and_saveexec_b64 s[2:3], vcc
	s_cbranch_execz .LBB79_223
; %bb.220:
	v_mov_b32_e32 v103, 0x80
	v_lshl_add_u32 v103, v101, 3, v103
	v_mov_b32_e32 v104, 0
	s_mov_b64 s[6:7], 0
.LBB79_221:                             ; =>This Inner Loop Header: Depth=1
	v_cmp_eq_u32_e32 vcc, 1, v101
	v_cndmask_b32_e32 v107, v35, v37, vcc
	v_cmp_eq_u32_e64 s[0:1], 2, v101
	v_cndmask_b32_e64 v107, v107, v39, s[0:1]
	v_cndmask_b32_e32 v108, v34, v36, vcc
	v_cmp_eq_u32_e32 vcc, 3, v101
	v_cndmask_b32_e32 v107, v107, v41, vcc
	v_cndmask_b32_e64 v108, v108, v38, s[0:1]
	v_cmp_eq_u32_e64 s[0:1], 4, v101
	v_cndmask_b32_e64 v107, v107, v43, s[0:1]
	v_cndmask_b32_e32 v108, v108, v40, vcc
	v_cmp_eq_u32_e32 vcc, 5, v101
	v_cndmask_b32_e32 v107, v107, v45, vcc
	v_cndmask_b32_e64 v108, v108, v42, s[0:1]
	v_cmp_eq_u32_e64 s[0:1], 6, v101
	v_cndmask_b32_e64 v107, v107, v47, s[0:1]
	v_cndmask_b32_e32 v108, v108, v44, vcc
	v_cmp_eq_u32_e32 vcc, 7, v101
	v_cndmask_b32_e32 v107, v107, v49, vcc
	v_cndmask_b32_e64 v108, v108, v46, s[0:1]
	v_cmp_eq_u32_e64 s[0:1], 8, v101
	v_cndmask_b32_e64 v107, v107, v51, s[0:1]
	v_cndmask_b32_e32 v108, v108, v48, vcc
	v_cmp_eq_u32_e32 vcc, 9, v101
	v_cndmask_b32_e32 v107, v107, v53, vcc
	v_cndmask_b32_e64 v108, v108, v50, s[0:1]
	v_cmp_eq_u32_e64 s[0:1], 10, v101
	v_cndmask_b32_e64 v107, v107, v55, s[0:1]
	v_cndmask_b32_e32 v108, v108, v52, vcc
	v_cmp_eq_u32_e32 vcc, 11, v101
	v_cndmask_b32_e32 v107, v107, v57, vcc
	v_cndmask_b32_e64 v108, v108, v54, s[0:1]
	v_cmp_eq_u32_e64 s[0:1], 12, v101
	ds_read_b64 v[105:106], v103
	v_cndmask_b32_e64 v107, v107, v59, s[0:1]
	v_cndmask_b32_e32 v108, v108, v56, vcc
	v_cmp_eq_u32_e32 vcc, 13, v101
	v_cndmask_b32_e32 v107, v107, v61, vcc
	v_cndmask_b32_e64 v108, v108, v58, s[0:1]
	v_cmp_eq_u32_e64 s[0:1], 14, v101
	v_cndmask_b32_e64 v107, v107, v63, s[0:1]
	v_cndmask_b32_e32 v109, v108, v60, vcc
	v_cmp_eq_u32_e32 vcc, 15, v101
	v_cndmask_b32_e32 v108, v107, v65, vcc
	v_cndmask_b32_e64 v107, v109, v62, s[0:1]
	v_cndmask_b32_e32 v107, v107, v64, vcc
	s_waitcnt lgkmcnt(0)
	v_fma_f64 v[98:99], v[107:108], v[105:106], v[98:99]
	v_add_u32_e32 v102, -1, v102
	v_cmp_eq_u32_e32 vcc, 0, v102
	s_or_b64 s[6:7], vcc, s[6:7]
	v_add_co_u32_e32 v101, vcc, 1, v101
	v_add_u32_e32 v103, 8, v103
	v_addc_co_u32_e32 v104, vcc, 0, v104, vcc
	s_andn2_b64 exec, exec, s[6:7]
	s_cbranch_execnz .LBB79_221
; %bb.222:
	s_or_b64 exec, exec, s[6:7]
.LBB79_223:
	s_or_b64 exec, exec, s[2:3]
.LBB79_224:
	s_or_b64 exec, exec, s[4:5]
	v_mov_b32_e32 v34, 0
	ds_read_b64 v[34:35], v34
	s_waitcnt lgkmcnt(0)
	v_mul_f64 v[34:35], v[98:99], v[34:35]
.LBB79_225:
	s_or_b64 exec, exec, s[30:31]
	s_branch .LBB79_379
.LBB79_226:
	v_cmp_eq_u32_e64 s[2:3], 0, v0
	s_waitcnt vmcnt(0) lgkmcnt(0)
	ds_write_b64 v100, v[4:5]
	s_waitcnt lgkmcnt(0)
	; wave barrier
	s_and_saveexec_b64 s[30:31], s[2:3]
	s_cbranch_execz .LBB79_232
; %bb.227:
	s_and_b64 vcc, exec, s[34:35]
	s_cbranch_vccz .LBB79_229
; %bb.228:
	v_cmp_eq_u32_e32 vcc, 1, v0
	v_cndmask_b32_e32 v5, v3, v5, vcc
	v_cmp_eq_u32_e64 s[0:1], 2, v0
	v_cndmask_b32_e32 v4, v2, v4, vcc
	v_cndmask_b32_e64 v5, v5, v7, s[0:1]
	v_cmp_eq_u32_e64 s[4:5], 3, v0
	v_cndmask_b32_e64 v4, v4, v6, s[0:1]
	v_cndmask_b32_e64 v5, v5, v9, s[4:5]
	v_cmp_eq_u32_e64 s[6:7], 4, v0
	v_cndmask_b32_e64 v4, v4, v8, s[4:5]
	;; [unrolled: 3-line block ×10, first 2 shown]
	ds_read_b64 v[34:35], v100
	v_cndmask_b32_e64 v5, v5, v27, s[22:23]
	v_cmp_eq_u32_e64 s[24:25], 13, v0
	v_cndmask_b32_e64 v4, v4, v26, s[22:23]
	v_cndmask_b32_e64 v5, v5, v29, s[24:25]
	v_cmp_eq_u32_e64 s[26:27], 14, v0
	v_cndmask_b32_e64 v4, v4, v28, s[24:25]
	;; [unrolled: 3-line block ×3, first 2 shown]
	v_cndmask_b32_e64 v5, v5, v33, s[28:29]
	v_cndmask_b32_e64 v4, v4, v32, s[28:29]
	s_waitcnt lgkmcnt(0)
	v_mul_f64 v[4:5], v[4:5], v[34:35]
	s_cbranch_execz .LBB79_230
	s_branch .LBB79_231
.LBB79_229:
                                        ; implicit-def: $vgpr4_vgpr5
.LBB79_230:
	ds_read_b64 v[4:5], v100
.LBB79_231:
	v_mov_b32_e32 v34, 0
	ds_read_b64 v[34:35], v34 offset:8
	s_waitcnt lgkmcnt(0)
	v_mul_f64 v[4:5], v[4:5], v[34:35]
.LBB79_232:
	s_or_b64 exec, exec, s[30:31]
	v_cndmask_b32_e64 v34, 0, 1, s[34:35]
	v_cmp_gt_u32_e32 vcc, 2, v0
	v_cmp_ne_u32_e64 s[0:1], 1, v34
	ds_write_b64 v100, v[6:7]
	s_waitcnt lgkmcnt(0)
	; wave barrier
	s_and_saveexec_b64 s[34:35], vcc
	s_cbranch_execz .LBB79_238
; %bb.233:
	s_and_b64 vcc, exec, s[0:1]
	s_cbranch_vccnz .LBB79_235
; %bb.234:
	v_cmp_eq_u32_e32 vcc, 1, v0
	v_cndmask_b32_e32 v34, v3, v5, vcc
	v_cmp_eq_u32_e64 s[4:5], 2, v0
	v_cndmask_b32_e64 v7, v34, v7, s[4:5]
	v_cndmask_b32_e32 v34, v2, v4, vcc
	v_cmp_eq_u32_e64 s[6:7], 3, v0
	v_cndmask_b32_e64 v6, v34, v6, s[4:5]
	v_cndmask_b32_e64 v7, v7, v9, s[6:7]
	v_cmp_eq_u32_e64 s[8:9], 4, v0
	v_cndmask_b32_e64 v6, v6, v8, s[6:7]
	v_cndmask_b32_e64 v7, v7, v11, s[8:9]
	;; [unrolled: 3-line block ×9, first 2 shown]
	v_cmp_eq_u32_e64 s[24:25], 12, v0
	v_cndmask_b32_e64 v6, v6, v24, s[22:23]
	ds_read_b64 v[34:35], v100
	v_cndmask_b32_e64 v7, v7, v27, s[24:25]
	v_cmp_eq_u32_e64 s[26:27], 13, v0
	v_cndmask_b32_e64 v6, v6, v26, s[24:25]
	v_cndmask_b32_e64 v7, v7, v29, s[26:27]
	v_cmp_eq_u32_e64 s[28:29], 14, v0
	v_cndmask_b32_e64 v6, v6, v28, s[26:27]
	;; [unrolled: 3-line block ×3, first 2 shown]
	v_cndmask_b32_e64 v7, v7, v33, s[30:31]
	v_cndmask_b32_e64 v6, v6, v32, s[30:31]
	s_waitcnt lgkmcnt(0)
	v_mul_f64 v[6:7], v[6:7], v[34:35]
	s_cbranch_execz .LBB79_236
	s_branch .LBB79_237
.LBB79_235:
                                        ; implicit-def: $vgpr6_vgpr7
.LBB79_236:
	ds_read_b64 v[6:7], v100
.LBB79_237:
	v_mov_b32_e32 v34, 0
	ds_read2_b64 v[34:37], v34 offset0:2 offset1:17
	s_waitcnt lgkmcnt(0)
	v_fma_f64 v[36:37], v[4:5], v[36:37], v[6:7]
	v_cndmask_b32_e64 v7, v7, v37, s[2:3]
	v_cndmask_b32_e64 v6, v6, v36, s[2:3]
	v_mul_f64 v[6:7], v[6:7], v[34:35]
.LBB79_238:
	s_or_b64 exec, exec, s[34:35]
	v_add_u32_e32 v38, 1, v0
	v_cmp_gt_u32_e64 s[4:5], 3, v0
	ds_write_b64 v100, v[8:9]
	s_waitcnt lgkmcnt(0)
	; wave barrier
	s_and_saveexec_b64 s[36:37], s[4:5]
	s_cbranch_execz .LBB79_246
; %bb.239:
	s_and_b64 vcc, exec, s[0:1]
	s_cbranch_vccnz .LBB79_241
; %bb.240:
	v_cmp_eq_u32_e32 vcc, 1, v0
	v_cndmask_b32_e32 v34, v3, v5, vcc
	v_cmp_eq_u32_e64 s[6:7], 2, v0
	v_cndmask_b32_e64 v34, v34, v7, s[6:7]
	v_cmp_eq_u32_e64 s[8:9], 3, v0
	v_cndmask_b32_e64 v34, v34, v9, s[8:9]
	v_cmp_eq_u32_e64 s[10:11], 4, v0
	v_cndmask_b32_e64 v34, v34, v11, s[10:11]
	v_cmp_eq_u32_e64 s[12:13], 5, v0
	v_cndmask_b32_e64 v34, v34, v13, s[12:13]
	v_cmp_eq_u32_e64 s[14:15], 6, v0
	v_cndmask_b32_e64 v34, v34, v15, s[14:15]
	v_cmp_eq_u32_e64 s[16:17], 7, v0
	v_cndmask_b32_e64 v34, v34, v17, s[16:17]
	v_cmp_eq_u32_e64 s[18:19], 8, v0
	v_cndmask_b32_e64 v34, v34, v19, s[18:19]
	v_cmp_eq_u32_e64 s[20:21], 9, v0
	v_cndmask_b32_e64 v34, v34, v21, s[20:21]
	v_cmp_eq_u32_e64 s[22:23], 10, v0
	v_cndmask_b32_e64 v34, v34, v23, s[22:23]
	v_cmp_eq_u32_e64 s[24:25], 11, v0
	v_cndmask_b32_e64 v34, v34, v25, s[24:25]
	v_cmp_eq_u32_e64 s[26:27], 12, v0
	v_cndmask_b32_e64 v34, v34, v27, s[26:27]
	v_cmp_eq_u32_e64 s[28:29], 13, v0
	v_cndmask_b32_e64 v34, v34, v29, s[28:29]
	v_cmp_eq_u32_e64 s[30:31], 14, v0
	v_cndmask_b32_e64 v34, v34, v31, s[30:31]
	v_cmp_eq_u32_e64 s[34:35], 15, v0
	v_cndmask_b32_e64 v35, v34, v33, s[34:35]
	v_cndmask_b32_e32 v34, v2, v4, vcc
	v_cndmask_b32_e64 v34, v34, v6, s[6:7]
	v_cndmask_b32_e64 v34, v34, v8, s[8:9]
	;; [unrolled: 1-line block ×10, first 2 shown]
	ds_read_b64 v[36:37], v100
	v_cndmask_b32_e64 v34, v34, v26, s[26:27]
	v_cndmask_b32_e64 v34, v34, v28, s[28:29]
	;; [unrolled: 1-line block ×4, first 2 shown]
	s_waitcnt lgkmcnt(0)
	v_mul_f64 v[34:35], v[34:35], v[36:37]
	s_cbranch_execz .LBB79_242
	s_branch .LBB79_243
.LBB79_241:
                                        ; implicit-def: $vgpr34_vgpr35
.LBB79_242:
	ds_read_b64 v[34:35], v100
.LBB79_243:
	v_cmp_ne_u32_e32 vcc, 2, v0
	s_and_saveexec_b64 s[38:39], vcc
	s_cbranch_execz .LBB79_245
; %bb.244:
	v_cmp_eq_u32_e32 vcc, 1, v38
	v_cndmask_b32_e32 v36, v3, v5, vcc
	v_cmp_eq_u32_e64 s[6:7], 2, v38
	v_cndmask_b32_e64 v36, v36, v7, s[6:7]
	v_cmp_eq_u32_e64 s[8:9], 3, v38
	v_cndmask_b32_e64 v9, v36, v9, s[8:9]
	v_cndmask_b32_e32 v36, v2, v4, vcc
	v_cndmask_b32_e64 v36, v36, v6, s[6:7]
	v_cmp_eq_u32_e64 s[10:11], 4, v38
	v_cndmask_b32_e64 v8, v36, v8, s[8:9]
	v_cndmask_b32_e64 v9, v9, v11, s[10:11]
	v_cmp_eq_u32_e64 s[12:13], 5, v38
	v_cndmask_b32_e64 v8, v8, v10, s[10:11]
	;; [unrolled: 3-line block ×9, first 2 shown]
	ds_read_b64 v[36:37], v100 offset:8
	v_cndmask_b32_e64 v9, v9, v27, s[26:27]
	v_cmp_eq_u32_e64 s[28:29], 13, v38
	v_cndmask_b32_e64 v8, v8, v26, s[26:27]
	v_cndmask_b32_e64 v9, v9, v29, s[28:29]
	v_cmp_eq_u32_e64 s[30:31], 14, v38
	v_cndmask_b32_e64 v8, v8, v28, s[28:29]
	;; [unrolled: 3-line block ×3, first 2 shown]
	v_cndmask_b32_e64 v9, v9, v33, s[34:35]
	v_cndmask_b32_e64 v8, v8, v32, s[34:35]
	v_mov_b32_e32 v39, 0
	ds_read_b64 v[39:40], v39 offset:144
	s_waitcnt lgkmcnt(1)
	v_fma_f64 v[8:9], v[8:9], v[36:37], v[34:35]
	s_waitcnt lgkmcnt(0)
	v_fma_f64 v[34:35], v[6:7], v[39:40], v[8:9]
	v_cndmask_b32_e64 v35, v9, v35, s[2:3]
	v_cndmask_b32_e64 v34, v8, v34, s[2:3]
.LBB79_245:
	s_or_b64 exec, exec, s[38:39]
	v_mov_b32_e32 v8, 0
	ds_read_b64 v[8:9], v8 offset:24
	s_waitcnt lgkmcnt(0)
	v_mul_f64 v[8:9], v[34:35], v[8:9]
.LBB79_246:
	s_or_b64 exec, exec, s[36:37]
	v_cmp_gt_u32_e32 vcc, 4, v0
	ds_write_b64 v100, v[10:11]
	s_waitcnt lgkmcnt(0)
	; wave barrier
	s_and_saveexec_b64 s[36:37], vcc
	s_cbranch_execz .LBB79_256
; %bb.247:
	s_and_b64 vcc, exec, s[0:1]
	s_cbranch_vccnz .LBB79_249
; %bb.248:
	v_cmp_eq_u32_e32 vcc, 1, v0
	v_cndmask_b32_e32 v34, v3, v5, vcc
	v_cmp_eq_u32_e64 s[6:7], 2, v0
	v_cndmask_b32_e64 v34, v34, v7, s[6:7]
	v_cmp_eq_u32_e64 s[8:9], 3, v0
	v_cndmask_b32_e64 v34, v34, v9, s[8:9]
	;; [unrolled: 2-line block ×14, first 2 shown]
	v_cndmask_b32_e32 v34, v2, v4, vcc
	v_cndmask_b32_e64 v34, v34, v6, s[6:7]
	v_cndmask_b32_e64 v34, v34, v8, s[8:9]
	;; [unrolled: 1-line block ×10, first 2 shown]
	ds_read_b64 v[36:37], v100
	v_cndmask_b32_e64 v34, v34, v26, s[26:27]
	v_cndmask_b32_e64 v34, v34, v28, s[28:29]
	;; [unrolled: 1-line block ×4, first 2 shown]
	s_waitcnt lgkmcnt(0)
	v_mul_f64 v[34:35], v[34:35], v[36:37]
	s_cbranch_execz .LBB79_250
	s_branch .LBB79_251
.LBB79_249:
                                        ; implicit-def: $vgpr34_vgpr35
.LBB79_250:
	ds_read_b64 v[34:35], v100
.LBB79_251:
	v_cmp_ne_u32_e32 vcc, 3, v0
	s_and_saveexec_b64 s[8:9], vcc
	s_cbranch_execz .LBB79_255
; %bb.252:
	v_mov_b32_e32 v36, 0x88
	v_lshl_add_u32 v39, v0, 3, v36
	v_mov_b32_e32 v37, v1
	s_mov_b64 s[10:11], 0
	v_mov_b32_e32 v36, v0
.LBB79_253:                             ; =>This Inner Loop Header: Depth=1
	v_add_co_u32_e32 v36, vcc, 1, v36
	v_addc_co_u32_e32 v37, vcc, 0, v37, vcc
	v_cmp_eq_u32_e32 vcc, 1, v36
	v_cndmask_b32_e32 v42, v3, v5, vcc
	v_cmp_eq_u32_e64 s[6:7], 2, v36
	v_cndmask_b32_e64 v42, v42, v7, s[6:7]
	v_cndmask_b32_e32 v43, v2, v4, vcc
	v_cmp_eq_u32_e32 vcc, 3, v36
	v_cndmask_b32_e32 v42, v42, v9, vcc
	v_cndmask_b32_e64 v43, v43, v6, s[6:7]
	v_cmp_eq_u32_e64 s[6:7], 4, v36
	v_cndmask_b32_e64 v42, v42, v11, s[6:7]
	v_cndmask_b32_e32 v43, v43, v8, vcc
	v_cmp_eq_u32_e32 vcc, 5, v36
	v_cndmask_b32_e32 v42, v42, v13, vcc
	v_cndmask_b32_e64 v43, v43, v10, s[6:7]
	;; [unrolled: 6-line block ×5, first 2 shown]
	v_cmp_eq_u32_e64 s[6:7], 12, v36
	ds_read_b64 v[40:41], v39
	v_cndmask_b32_e64 v42, v42, v27, s[6:7]
	v_cndmask_b32_e32 v43, v43, v24, vcc
	v_cmp_eq_u32_e32 vcc, 13, v36
	v_cndmask_b32_e32 v42, v42, v29, vcc
	v_cndmask_b32_e64 v43, v43, v26, s[6:7]
	v_cmp_eq_u32_e64 s[6:7], 14, v36
	v_cndmask_b32_e64 v42, v42, v31, s[6:7]
	v_cndmask_b32_e32 v44, v43, v28, vcc
	v_cmp_eq_u32_e32 vcc, 15, v36
	v_cndmask_b32_e32 v43, v42, v33, vcc
	v_cndmask_b32_e64 v42, v44, v30, s[6:7]
	v_cndmask_b32_e32 v42, v42, v32, vcc
	s_waitcnt lgkmcnt(0)
	v_fma_f64 v[34:35], v[42:43], v[40:41], v[34:35]
	v_cmp_lt_u32_e32 vcc, 2, v36
	s_or_b64 s[10:11], vcc, s[10:11]
	v_add_u32_e32 v39, 8, v39
	s_andn2_b64 exec, exec, s[10:11]
	s_cbranch_execnz .LBB79_253
; %bb.254:
	s_or_b64 exec, exec, s[10:11]
.LBB79_255:
	s_or_b64 exec, exec, s[8:9]
	v_mov_b32_e32 v10, 0
	ds_read_b64 v[10:11], v10 offset:32
	s_waitcnt lgkmcnt(0)
	v_mul_f64 v[10:11], v[34:35], v[10:11]
.LBB79_256:
	s_or_b64 exec, exec, s[36:37]
	v_cmp_gt_u32_e64 s[6:7], 5, v0
	ds_write_b64 v100, v[12:13]
	s_waitcnt lgkmcnt(0)
	; wave barrier
	s_and_saveexec_b64 s[38:39], s[6:7]
	s_cbranch_execz .LBB79_266
; %bb.257:
	s_and_b64 vcc, exec, s[0:1]
	s_cbranch_vccnz .LBB79_259
; %bb.258:
	v_cmp_eq_u32_e32 vcc, 1, v0
	v_cndmask_b32_e32 v34, v3, v5, vcc
	v_cmp_eq_u32_e64 s[8:9], 2, v0
	v_cndmask_b32_e64 v34, v34, v7, s[8:9]
	v_cmp_eq_u32_e64 s[10:11], 3, v0
	v_cndmask_b32_e64 v34, v34, v9, s[10:11]
	;; [unrolled: 2-line block ×14, first 2 shown]
	v_cndmask_b32_e32 v34, v2, v4, vcc
	v_cndmask_b32_e64 v34, v34, v6, s[8:9]
	v_cndmask_b32_e64 v34, v34, v8, s[10:11]
	;; [unrolled: 1-line block ×10, first 2 shown]
	ds_read_b64 v[36:37], v100
	v_cndmask_b32_e64 v34, v34, v26, s[28:29]
	v_cndmask_b32_e64 v34, v34, v28, s[30:31]
	v_cndmask_b32_e64 v34, v34, v30, s[34:35]
	v_cndmask_b32_e64 v34, v34, v32, s[36:37]
	s_waitcnt lgkmcnt(0)
	v_mul_f64 v[34:35], v[34:35], v[36:37]
	s_cbranch_execz .LBB79_260
	s_branch .LBB79_261
.LBB79_259:
                                        ; implicit-def: $vgpr34_vgpr35
.LBB79_260:
	ds_read_b64 v[34:35], v100
.LBB79_261:
	v_cmp_ne_u32_e32 vcc, 4, v0
	s_and_saveexec_b64 s[10:11], vcc
	s_cbranch_execz .LBB79_265
; %bb.262:
	v_mov_b32_e32 v36, 0x88
	v_lshl_add_u32 v39, v0, 3, v36
	v_mov_b32_e32 v37, v1
	s_mov_b64 s[12:13], 0
	v_mov_b32_e32 v36, v0
.LBB79_263:                             ; =>This Inner Loop Header: Depth=1
	v_add_co_u32_e32 v36, vcc, 1, v36
	v_addc_co_u32_e32 v37, vcc, 0, v37, vcc
	v_cmp_eq_u32_e32 vcc, 1, v36
	v_cndmask_b32_e32 v42, v3, v5, vcc
	v_cmp_eq_u32_e64 s[8:9], 2, v36
	v_cndmask_b32_e64 v42, v42, v7, s[8:9]
	v_cndmask_b32_e32 v43, v2, v4, vcc
	v_cmp_eq_u32_e32 vcc, 3, v36
	v_cndmask_b32_e32 v42, v42, v9, vcc
	v_cndmask_b32_e64 v43, v43, v6, s[8:9]
	v_cmp_eq_u32_e64 s[8:9], 4, v36
	v_cndmask_b32_e64 v42, v42, v11, s[8:9]
	v_cndmask_b32_e32 v43, v43, v8, vcc
	v_cmp_eq_u32_e32 vcc, 5, v36
	v_cndmask_b32_e32 v42, v42, v13, vcc
	v_cndmask_b32_e64 v43, v43, v10, s[8:9]
	;; [unrolled: 6-line block ×5, first 2 shown]
	v_cmp_eq_u32_e64 s[8:9], 12, v36
	ds_read_b64 v[40:41], v39
	v_cndmask_b32_e64 v42, v42, v27, s[8:9]
	v_cndmask_b32_e32 v43, v43, v24, vcc
	v_cmp_eq_u32_e32 vcc, 13, v36
	v_cndmask_b32_e32 v42, v42, v29, vcc
	v_cndmask_b32_e64 v43, v43, v26, s[8:9]
	v_cmp_eq_u32_e64 s[8:9], 14, v36
	v_cndmask_b32_e64 v42, v42, v31, s[8:9]
	v_cndmask_b32_e32 v44, v43, v28, vcc
	v_cmp_eq_u32_e32 vcc, 15, v36
	v_cndmask_b32_e32 v43, v42, v33, vcc
	v_cndmask_b32_e64 v42, v44, v30, s[8:9]
	v_cndmask_b32_e32 v42, v42, v32, vcc
	s_waitcnt lgkmcnt(0)
	v_fma_f64 v[34:35], v[42:43], v[40:41], v[34:35]
	v_cmp_lt_u32_e32 vcc, 3, v36
	s_or_b64 s[12:13], vcc, s[12:13]
	v_add_u32_e32 v39, 8, v39
	s_andn2_b64 exec, exec, s[12:13]
	s_cbranch_execnz .LBB79_263
; %bb.264:
	s_or_b64 exec, exec, s[12:13]
.LBB79_265:
	s_or_b64 exec, exec, s[10:11]
	v_mov_b32_e32 v12, 0
	ds_read_b64 v[12:13], v12 offset:40
	s_waitcnt lgkmcnt(0)
	v_mul_f64 v[12:13], v[34:35], v[12:13]
.LBB79_266:
	s_or_b64 exec, exec, s[38:39]
	v_cmp_gt_u32_e32 vcc, 6, v0
	ds_write_b64 v100, v[14:15]
	s_waitcnt lgkmcnt(0)
	; wave barrier
	s_and_saveexec_b64 s[38:39], vcc
	s_cbranch_execz .LBB79_276
; %bb.267:
	s_and_b64 vcc, exec, s[0:1]
	s_cbranch_vccnz .LBB79_269
; %bb.268:
	v_cmp_eq_u32_e32 vcc, 1, v0
	v_cndmask_b32_e32 v34, v3, v5, vcc
	v_cmp_eq_u32_e64 s[8:9], 2, v0
	v_cndmask_b32_e64 v34, v34, v7, s[8:9]
	v_cmp_eq_u32_e64 s[10:11], 3, v0
	v_cndmask_b32_e64 v34, v34, v9, s[10:11]
	;; [unrolled: 2-line block ×14, first 2 shown]
	v_cndmask_b32_e32 v34, v2, v4, vcc
	v_cndmask_b32_e64 v34, v34, v6, s[8:9]
	v_cndmask_b32_e64 v34, v34, v8, s[10:11]
	;; [unrolled: 1-line block ×10, first 2 shown]
	ds_read_b64 v[36:37], v100
	v_cndmask_b32_e64 v34, v34, v26, s[28:29]
	v_cndmask_b32_e64 v34, v34, v28, s[30:31]
	;; [unrolled: 1-line block ×4, first 2 shown]
	s_waitcnt lgkmcnt(0)
	v_mul_f64 v[34:35], v[34:35], v[36:37]
	s_cbranch_execz .LBB79_270
	s_branch .LBB79_271
.LBB79_269:
                                        ; implicit-def: $vgpr34_vgpr35
.LBB79_270:
	ds_read_b64 v[34:35], v100
.LBB79_271:
	v_cmp_ne_u32_e32 vcc, 5, v0
	s_and_saveexec_b64 s[10:11], vcc
	s_cbranch_execz .LBB79_275
; %bb.272:
	v_mov_b32_e32 v36, 0x88
	v_lshl_add_u32 v39, v0, 3, v36
	v_mov_b32_e32 v37, v1
	s_mov_b64 s[12:13], 0
	v_mov_b32_e32 v36, v0
.LBB79_273:                             ; =>This Inner Loop Header: Depth=1
	v_add_co_u32_e32 v36, vcc, 1, v36
	v_addc_co_u32_e32 v37, vcc, 0, v37, vcc
	v_cmp_eq_u32_e32 vcc, 1, v36
	v_cndmask_b32_e32 v42, v3, v5, vcc
	v_cmp_eq_u32_e64 s[8:9], 2, v36
	v_cndmask_b32_e64 v42, v42, v7, s[8:9]
	v_cndmask_b32_e32 v43, v2, v4, vcc
	v_cmp_eq_u32_e32 vcc, 3, v36
	v_cndmask_b32_e32 v42, v42, v9, vcc
	v_cndmask_b32_e64 v43, v43, v6, s[8:9]
	v_cmp_eq_u32_e64 s[8:9], 4, v36
	v_cndmask_b32_e64 v42, v42, v11, s[8:9]
	v_cndmask_b32_e32 v43, v43, v8, vcc
	v_cmp_eq_u32_e32 vcc, 5, v36
	v_cndmask_b32_e32 v42, v42, v13, vcc
	v_cndmask_b32_e64 v43, v43, v10, s[8:9]
	;; [unrolled: 6-line block ×5, first 2 shown]
	v_cmp_eq_u32_e64 s[8:9], 12, v36
	ds_read_b64 v[40:41], v39
	v_cndmask_b32_e64 v42, v42, v27, s[8:9]
	v_cndmask_b32_e32 v43, v43, v24, vcc
	v_cmp_eq_u32_e32 vcc, 13, v36
	v_cndmask_b32_e32 v42, v42, v29, vcc
	v_cndmask_b32_e64 v43, v43, v26, s[8:9]
	v_cmp_eq_u32_e64 s[8:9], 14, v36
	v_cndmask_b32_e64 v42, v42, v31, s[8:9]
	v_cndmask_b32_e32 v44, v43, v28, vcc
	v_cmp_eq_u32_e32 vcc, 15, v36
	v_cndmask_b32_e32 v43, v42, v33, vcc
	v_cndmask_b32_e64 v42, v44, v30, s[8:9]
	v_cndmask_b32_e32 v42, v42, v32, vcc
	s_waitcnt lgkmcnt(0)
	v_fma_f64 v[34:35], v[42:43], v[40:41], v[34:35]
	v_cmp_lt_u32_e32 vcc, 4, v36
	s_or_b64 s[12:13], vcc, s[12:13]
	v_add_u32_e32 v39, 8, v39
	s_andn2_b64 exec, exec, s[12:13]
	s_cbranch_execnz .LBB79_273
; %bb.274:
	s_or_b64 exec, exec, s[12:13]
.LBB79_275:
	s_or_b64 exec, exec, s[10:11]
	v_mov_b32_e32 v14, 0
	ds_read_b64 v[14:15], v14 offset:48
	s_waitcnt lgkmcnt(0)
	v_mul_f64 v[14:15], v[34:35], v[14:15]
.LBB79_276:
	s_or_b64 exec, exec, s[38:39]
	v_cmp_gt_u32_e64 s[8:9], 7, v0
	ds_write_b64 v100, v[16:17]
	s_waitcnt lgkmcnt(0)
	; wave barrier
	s_and_saveexec_b64 s[40:41], s[8:9]
	s_cbranch_execz .LBB79_286
; %bb.277:
	s_and_b64 vcc, exec, s[0:1]
	s_cbranch_vccnz .LBB79_279
; %bb.278:
	v_cmp_eq_u32_e32 vcc, 1, v0
	v_cndmask_b32_e32 v34, v3, v5, vcc
	v_cmp_eq_u32_e64 s[10:11], 2, v0
	v_cndmask_b32_e64 v34, v34, v7, s[10:11]
	v_cmp_eq_u32_e64 s[12:13], 3, v0
	v_cndmask_b32_e64 v34, v34, v9, s[12:13]
	;; [unrolled: 2-line block ×14, first 2 shown]
	v_cndmask_b32_e32 v34, v2, v4, vcc
	v_cndmask_b32_e64 v34, v34, v6, s[10:11]
	v_cndmask_b32_e64 v34, v34, v8, s[12:13]
	;; [unrolled: 1-line block ×10, first 2 shown]
	ds_read_b64 v[36:37], v100
	v_cndmask_b32_e64 v34, v34, v26, s[30:31]
	v_cndmask_b32_e64 v34, v34, v28, s[34:35]
	;; [unrolled: 1-line block ×4, first 2 shown]
	s_waitcnt lgkmcnt(0)
	v_mul_f64 v[34:35], v[34:35], v[36:37]
	s_cbranch_execz .LBB79_280
	s_branch .LBB79_281
.LBB79_279:
                                        ; implicit-def: $vgpr34_vgpr35
.LBB79_280:
	ds_read_b64 v[34:35], v100
.LBB79_281:
	v_cmp_ne_u32_e32 vcc, 6, v0
	s_and_saveexec_b64 s[12:13], vcc
	s_cbranch_execz .LBB79_285
; %bb.282:
	v_mov_b32_e32 v36, 0x88
	v_lshl_add_u32 v39, v0, 3, v36
	v_mov_b32_e32 v37, v1
	s_mov_b64 s[14:15], 0
	v_mov_b32_e32 v36, v0
.LBB79_283:                             ; =>This Inner Loop Header: Depth=1
	v_add_co_u32_e32 v36, vcc, 1, v36
	v_addc_co_u32_e32 v37, vcc, 0, v37, vcc
	v_cmp_eq_u32_e32 vcc, 1, v36
	v_cndmask_b32_e32 v42, v3, v5, vcc
	v_cmp_eq_u32_e64 s[10:11], 2, v36
	v_cndmask_b32_e64 v42, v42, v7, s[10:11]
	v_cndmask_b32_e32 v43, v2, v4, vcc
	v_cmp_eq_u32_e32 vcc, 3, v36
	v_cndmask_b32_e32 v42, v42, v9, vcc
	v_cndmask_b32_e64 v43, v43, v6, s[10:11]
	v_cmp_eq_u32_e64 s[10:11], 4, v36
	v_cndmask_b32_e64 v42, v42, v11, s[10:11]
	v_cndmask_b32_e32 v43, v43, v8, vcc
	v_cmp_eq_u32_e32 vcc, 5, v36
	v_cndmask_b32_e32 v42, v42, v13, vcc
	v_cndmask_b32_e64 v43, v43, v10, s[10:11]
	;; [unrolled: 6-line block ×5, first 2 shown]
	v_cmp_eq_u32_e64 s[10:11], 12, v36
	ds_read_b64 v[40:41], v39
	v_cndmask_b32_e64 v42, v42, v27, s[10:11]
	v_cndmask_b32_e32 v43, v43, v24, vcc
	v_cmp_eq_u32_e32 vcc, 13, v36
	v_cndmask_b32_e32 v42, v42, v29, vcc
	v_cndmask_b32_e64 v43, v43, v26, s[10:11]
	v_cmp_eq_u32_e64 s[10:11], 14, v36
	v_cndmask_b32_e64 v42, v42, v31, s[10:11]
	v_cndmask_b32_e32 v44, v43, v28, vcc
	v_cmp_eq_u32_e32 vcc, 15, v36
	v_cndmask_b32_e32 v43, v42, v33, vcc
	v_cndmask_b32_e64 v42, v44, v30, s[10:11]
	v_cndmask_b32_e32 v42, v42, v32, vcc
	s_waitcnt lgkmcnt(0)
	v_fma_f64 v[34:35], v[42:43], v[40:41], v[34:35]
	v_cmp_lt_u32_e32 vcc, 5, v36
	s_or_b64 s[14:15], vcc, s[14:15]
	v_add_u32_e32 v39, 8, v39
	s_andn2_b64 exec, exec, s[14:15]
	s_cbranch_execnz .LBB79_283
; %bb.284:
	s_or_b64 exec, exec, s[14:15]
.LBB79_285:
	s_or_b64 exec, exec, s[12:13]
	v_mov_b32_e32 v16, 0
	ds_read_b64 v[16:17], v16 offset:56
	s_waitcnt lgkmcnt(0)
	v_mul_f64 v[16:17], v[34:35], v[16:17]
.LBB79_286:
	s_or_b64 exec, exec, s[40:41]
	v_cmp_gt_u32_e32 vcc, 8, v0
	ds_write_b64 v100, v[18:19]
	s_waitcnt lgkmcnt(0)
	; wave barrier
	s_and_saveexec_b64 s[40:41], vcc
	s_cbranch_execz .LBB79_296
; %bb.287:
	s_and_b64 vcc, exec, s[0:1]
	s_cbranch_vccnz .LBB79_289
; %bb.288:
	v_cmp_eq_u32_e32 vcc, 1, v0
	v_cndmask_b32_e32 v34, v3, v5, vcc
	v_cmp_eq_u32_e64 s[10:11], 2, v0
	v_cndmask_b32_e64 v34, v34, v7, s[10:11]
	v_cmp_eq_u32_e64 s[12:13], 3, v0
	v_cndmask_b32_e64 v34, v34, v9, s[12:13]
	;; [unrolled: 2-line block ×14, first 2 shown]
	v_cndmask_b32_e32 v34, v2, v4, vcc
	v_cndmask_b32_e64 v34, v34, v6, s[10:11]
	v_cndmask_b32_e64 v34, v34, v8, s[12:13]
	;; [unrolled: 1-line block ×10, first 2 shown]
	ds_read_b64 v[36:37], v100
	v_cndmask_b32_e64 v34, v34, v26, s[30:31]
	v_cndmask_b32_e64 v34, v34, v28, s[34:35]
	v_cndmask_b32_e64 v34, v34, v30, s[36:37]
	v_cndmask_b32_e64 v34, v34, v32, s[38:39]
	s_waitcnt lgkmcnt(0)
	v_mul_f64 v[34:35], v[34:35], v[36:37]
	s_cbranch_execz .LBB79_290
	s_branch .LBB79_291
.LBB79_289:
                                        ; implicit-def: $vgpr34_vgpr35
.LBB79_290:
	ds_read_b64 v[34:35], v100
.LBB79_291:
	v_cmp_ne_u32_e32 vcc, 7, v0
	s_and_saveexec_b64 s[12:13], vcc
	s_cbranch_execz .LBB79_295
; %bb.292:
	v_mov_b32_e32 v36, 0x88
	v_lshl_add_u32 v39, v0, 3, v36
	v_mov_b32_e32 v37, v1
	s_mov_b64 s[14:15], 0
	v_mov_b32_e32 v36, v0
.LBB79_293:                             ; =>This Inner Loop Header: Depth=1
	v_add_co_u32_e32 v36, vcc, 1, v36
	v_addc_co_u32_e32 v37, vcc, 0, v37, vcc
	v_cmp_eq_u32_e32 vcc, 1, v36
	v_cndmask_b32_e32 v42, v3, v5, vcc
	v_cmp_eq_u32_e64 s[10:11], 2, v36
	v_cndmask_b32_e64 v42, v42, v7, s[10:11]
	v_cndmask_b32_e32 v43, v2, v4, vcc
	v_cmp_eq_u32_e32 vcc, 3, v36
	v_cndmask_b32_e32 v42, v42, v9, vcc
	v_cndmask_b32_e64 v43, v43, v6, s[10:11]
	v_cmp_eq_u32_e64 s[10:11], 4, v36
	v_cndmask_b32_e64 v42, v42, v11, s[10:11]
	v_cndmask_b32_e32 v43, v43, v8, vcc
	v_cmp_eq_u32_e32 vcc, 5, v36
	v_cndmask_b32_e32 v42, v42, v13, vcc
	v_cndmask_b32_e64 v43, v43, v10, s[10:11]
	;; [unrolled: 6-line block ×5, first 2 shown]
	v_cmp_eq_u32_e64 s[10:11], 12, v36
	ds_read_b64 v[40:41], v39
	v_cndmask_b32_e64 v42, v42, v27, s[10:11]
	v_cndmask_b32_e32 v43, v43, v24, vcc
	v_cmp_eq_u32_e32 vcc, 13, v36
	v_cndmask_b32_e32 v42, v42, v29, vcc
	v_cndmask_b32_e64 v43, v43, v26, s[10:11]
	v_cmp_eq_u32_e64 s[10:11], 14, v36
	v_cndmask_b32_e64 v42, v42, v31, s[10:11]
	v_cndmask_b32_e32 v44, v43, v28, vcc
	v_cmp_eq_u32_e32 vcc, 15, v36
	v_cndmask_b32_e32 v43, v42, v33, vcc
	v_cndmask_b32_e64 v42, v44, v30, s[10:11]
	v_cndmask_b32_e32 v42, v42, v32, vcc
	s_waitcnt lgkmcnt(0)
	v_fma_f64 v[34:35], v[42:43], v[40:41], v[34:35]
	v_cmp_lt_u32_e32 vcc, 6, v36
	s_or_b64 s[14:15], vcc, s[14:15]
	v_add_u32_e32 v39, 8, v39
	s_andn2_b64 exec, exec, s[14:15]
	s_cbranch_execnz .LBB79_293
; %bb.294:
	s_or_b64 exec, exec, s[14:15]
.LBB79_295:
	s_or_b64 exec, exec, s[12:13]
	v_mov_b32_e32 v18, 0
	ds_read_b64 v[18:19], v18 offset:64
	s_waitcnt lgkmcnt(0)
	v_mul_f64 v[18:19], v[34:35], v[18:19]
.LBB79_296:
	s_or_b64 exec, exec, s[40:41]
	v_cmp_gt_u32_e32 vcc, 9, v0
	ds_write_b64 v100, v[20:21]
	s_waitcnt lgkmcnt(0)
	; wave barrier
	s_and_saveexec_b64 s[40:41], vcc
	s_cbranch_execz .LBB79_318
; %bb.297:
	s_and_b64 vcc, exec, s[0:1]
	s_cbranch_vccnz .LBB79_299
; %bb.298:
	v_cmp_eq_u32_e32 vcc, 1, v0
	v_cndmask_b32_e32 v34, v3, v5, vcc
	v_cmp_eq_u32_e64 s[10:11], 2, v0
	v_cndmask_b32_e64 v34, v34, v7, s[10:11]
	v_cmp_eq_u32_e64 s[12:13], 3, v0
	v_cndmask_b32_e64 v34, v34, v9, s[12:13]
	;; [unrolled: 2-line block ×14, first 2 shown]
	v_cndmask_b32_e32 v34, v2, v4, vcc
	v_cndmask_b32_e64 v34, v34, v6, s[10:11]
	v_cndmask_b32_e64 v34, v34, v8, s[12:13]
	;; [unrolled: 1-line block ×10, first 2 shown]
	ds_read_b64 v[36:37], v100
	v_cndmask_b32_e64 v34, v34, v26, s[30:31]
	v_cndmask_b32_e64 v34, v34, v28, s[34:35]
	;; [unrolled: 1-line block ×4, first 2 shown]
	s_waitcnt lgkmcnt(0)
	v_mul_f64 v[34:35], v[34:35], v[36:37]
	s_cbranch_execz .LBB79_300
	s_branch .LBB79_301
.LBB79_299:
                                        ; implicit-def: $vgpr34_vgpr35
.LBB79_300:
	ds_read_b64 v[34:35], v100
.LBB79_301:
	v_cmp_ne_u32_e32 vcc, 8, v0
	s_and_saveexec_b64 s[42:43], vcc
	s_cbranch_execz .LBB79_317
; %bb.302:
	v_cmp_eq_u32_e32 vcc, 1, v38
	v_cndmask_b32_e32 v36, v3, v5, vcc
	v_cmp_eq_u32_e64 s[10:11], 2, v38
	v_cndmask_b32_e64 v36, v36, v7, s[10:11]
	v_cmp_eq_u32_e64 s[12:13], 3, v38
	v_cndmask_b32_e64 v36, v36, v9, s[12:13]
	;; [unrolled: 2-line block ×14, first 2 shown]
	v_cndmask_b32_e32 v36, v2, v4, vcc
	v_cndmask_b32_e64 v36, v36, v6, s[10:11]
	v_cndmask_b32_e64 v36, v36, v8, s[12:13]
	;; [unrolled: 1-line block ×10, first 2 shown]
	ds_read_b64 v[38:39], v100 offset:8
	v_cndmask_b32_e64 v36, v36, v26, s[30:31]
	v_cndmask_b32_e64 v36, v36, v28, s[34:35]
	;; [unrolled: 1-line block ×4, first 2 shown]
	s_waitcnt lgkmcnt(0)
	v_fma_f64 v[34:35], v[36:37], v[38:39], v[34:35]
	s_and_saveexec_b64 s[38:39], s[8:9]
	s_cbranch_execz .LBB79_316
; %bb.303:
	v_add_u32_e32 v36, 2, v0
	v_cmp_eq_u32_e32 vcc, 1, v36
	v_cndmask_b32_e32 v37, v3, v5, vcc
	v_cmp_eq_u32_e64 s[8:9], 2, v36
	v_cmp_eq_u32_e64 s[10:11], 3, v36
	;; [unrolled: 1-line block ×14, first 2 shown]
	v_cndmask_b32_e32 v36, v2, v4, vcc
	v_cndmask_b32_e64 v37, v37, v7, s[8:9]
	v_cndmask_b32_e64 v36, v36, v6, s[8:9]
	;; [unrolled: 1-line block ×20, first 2 shown]
	ds_read_b64 v[38:39], v100 offset:16
	v_cndmask_b32_e64 v37, v37, v27, s[28:29]
	v_cndmask_b32_e64 v36, v36, v26, s[28:29]
	;; [unrolled: 1-line block ×8, first 2 shown]
	s_waitcnt lgkmcnt(0)
	v_fma_f64 v[34:35], v[36:37], v[38:39], v[34:35]
	v_cmp_ne_u32_e32 vcc, 6, v0
	s_and_saveexec_b64 s[44:45], vcc
	s_cbranch_execz .LBB79_315
; %bb.304:
	v_add_u32_e32 v36, 3, v0
	v_cmp_eq_u32_e32 vcc, 1, v36
	v_cndmask_b32_e32 v37, v3, v5, vcc
	v_cmp_eq_u32_e64 s[8:9], 2, v36
	v_cmp_eq_u32_e64 s[10:11], 3, v36
	;; [unrolled: 1-line block ×14, first 2 shown]
	v_cndmask_b32_e32 v36, v2, v4, vcc
	v_cndmask_b32_e64 v37, v37, v7, s[8:9]
	v_cndmask_b32_e64 v36, v36, v6, s[8:9]
	;; [unrolled: 1-line block ×20, first 2 shown]
	ds_read_b64 v[38:39], v100 offset:24
	v_cndmask_b32_e64 v37, v37, v27, s[28:29]
	v_cndmask_b32_e64 v36, v36, v26, s[28:29]
	;; [unrolled: 1-line block ×8, first 2 shown]
	s_waitcnt lgkmcnt(0)
	v_fma_f64 v[34:35], v[36:37], v[38:39], v[34:35]
	s_and_saveexec_b64 s[36:37], s[6:7]
	s_cbranch_execz .LBB79_314
; %bb.305:
	v_add_u32_e32 v36, 4, v0
	v_cmp_eq_u32_e32 vcc, 1, v36
	v_cndmask_b32_e32 v37, v3, v5, vcc
	v_cmp_eq_u32_e64 s[6:7], 2, v36
	v_cmp_eq_u32_e64 s[8:9], 3, v36
	;; [unrolled: 1-line block ×14, first 2 shown]
	v_cndmask_b32_e32 v36, v2, v4, vcc
	v_cndmask_b32_e64 v37, v37, v7, s[6:7]
	v_cndmask_b32_e64 v36, v36, v6, s[6:7]
	;; [unrolled: 1-line block ×20, first 2 shown]
	ds_read_b64 v[38:39], v100 offset:32
	v_cndmask_b32_e64 v37, v37, v27, s[26:27]
	v_cndmask_b32_e64 v36, v36, v26, s[26:27]
	;; [unrolled: 1-line block ×8, first 2 shown]
	s_waitcnt lgkmcnt(0)
	v_fma_f64 v[34:35], v[36:37], v[38:39], v[34:35]
	v_cmp_ne_u32_e32 vcc, 4, v0
	s_and_saveexec_b64 s[46:47], vcc
	s_cbranch_execz .LBB79_313
; %bb.306:
	v_add_u32_e32 v36, 5, v0
	v_cmp_eq_u32_e32 vcc, 1, v36
	v_cndmask_b32_e32 v37, v3, v5, vcc
	v_cmp_eq_u32_e64 s[6:7], 2, v36
	v_cmp_eq_u32_e64 s[8:9], 3, v36
	;; [unrolled: 1-line block ×14, first 2 shown]
	v_cndmask_b32_e32 v36, v2, v4, vcc
	v_cndmask_b32_e64 v37, v37, v7, s[6:7]
	v_cndmask_b32_e64 v36, v36, v6, s[6:7]
	;; [unrolled: 1-line block ×20, first 2 shown]
	ds_read_b64 v[38:39], v100 offset:40
	v_cndmask_b32_e64 v37, v37, v27, s[26:27]
	v_cndmask_b32_e64 v36, v36, v26, s[26:27]
	;; [unrolled: 1-line block ×8, first 2 shown]
	s_waitcnt lgkmcnt(0)
	v_fma_f64 v[34:35], v[36:37], v[38:39], v[34:35]
	s_and_saveexec_b64 s[34:35], s[4:5]
	s_cbranch_execz .LBB79_312
; %bb.307:
	v_add_u32_e32 v36, 6, v0
	v_cmp_eq_u32_e32 vcc, 1, v36
	v_cndmask_b32_e32 v37, v3, v5, vcc
	v_cmp_eq_u32_e64 s[4:5], 2, v36
	v_cmp_eq_u32_e64 s[6:7], 3, v36
	;; [unrolled: 1-line block ×14, first 2 shown]
	v_cndmask_b32_e32 v36, v2, v4, vcc
	v_cndmask_b32_e64 v37, v37, v7, s[4:5]
	v_cndmask_b32_e64 v36, v36, v6, s[4:5]
	;; [unrolled: 1-line block ×20, first 2 shown]
	ds_read_b64 v[38:39], v100 offset:48
	v_cndmask_b32_e64 v37, v37, v27, s[24:25]
	v_cndmask_b32_e64 v36, v36, v26, s[24:25]
	;; [unrolled: 1-line block ×8, first 2 shown]
	s_waitcnt lgkmcnt(0)
	v_fma_f64 v[34:35], v[36:37], v[38:39], v[34:35]
	v_cmp_ne_u32_e32 vcc, 2, v0
	s_and_saveexec_b64 s[48:49], vcc
	s_cbranch_execz .LBB79_311
; %bb.308:
	v_add_u32_e32 v36, 7, v0
	v_cmp_eq_u32_e32 vcc, 1, v36
	v_cndmask_b32_e32 v37, v3, v5, vcc
	v_cmp_eq_u32_e64 s[4:5], 2, v36
	v_cmp_eq_u32_e64 s[6:7], 3, v36
	;; [unrolled: 1-line block ×14, first 2 shown]
	v_cndmask_b32_e32 v36, v2, v4, vcc
	v_cndmask_b32_e64 v37, v37, v7, s[4:5]
	v_cndmask_b32_e64 v36, v36, v6, s[4:5]
	;; [unrolled: 1-line block ×20, first 2 shown]
	ds_read_b64 v[36:37], v100 offset:56
	v_cndmask_b32_e64 v21, v21, v27, s[24:25]
	v_cndmask_b32_e64 v20, v20, v26, s[24:25]
	;; [unrolled: 1-line block ×8, first 2 shown]
	s_waitcnt lgkmcnt(0)
	v_fma_f64 v[34:35], v[20:21], v[36:37], v[34:35]
	s_and_saveexec_b64 s[4:5], s[2:3]
	s_cbranch_execz .LBB79_310
; %bb.309:
	ds_read_b64 v[20:21], v100 offset:64
	s_waitcnt lgkmcnt(0)
	v_fma_f64 v[34:35], v[18:19], v[20:21], v[34:35]
.LBB79_310:
	s_or_b64 exec, exec, s[4:5]
.LBB79_311:
	s_or_b64 exec, exec, s[48:49]
.LBB79_312:
	s_or_b64 exec, exec, s[34:35]
.LBB79_313:
	s_or_b64 exec, exec, s[46:47]
.LBB79_314:
	s_or_b64 exec, exec, s[36:37]
.LBB79_315:
	s_or_b64 exec, exec, s[44:45]
.LBB79_316:
	s_or_b64 exec, exec, s[38:39]
.LBB79_317:
	s_or_b64 exec, exec, s[42:43]
	v_mov_b32_e32 v20, 0
	ds_read_b64 v[20:21], v20 offset:72
	s_waitcnt lgkmcnt(0)
	v_mul_f64 v[20:21], v[34:35], v[20:21]
.LBB79_318:
	s_or_b64 exec, exec, s[40:41]
	v_cmp_gt_u32_e32 vcc, 10, v0
	ds_write_b64 v100, v[22:23]
	s_waitcnt lgkmcnt(0)
	; wave barrier
	s_and_saveexec_b64 s[30:31], vcc
	s_cbranch_execz .LBB79_328
; %bb.319:
	s_and_b64 vcc, exec, s[0:1]
	s_cbranch_vccnz .LBB79_321
; %bb.320:
	v_cmp_eq_u32_e32 vcc, 1, v0
	v_cndmask_b32_e32 v34, v3, v5, vcc
	v_cmp_eq_u32_e64 s[2:3], 2, v0
	v_cndmask_b32_e64 v34, v34, v7, s[2:3]
	v_cmp_eq_u32_e64 s[4:5], 3, v0
	v_cndmask_b32_e64 v34, v34, v9, s[4:5]
	;; [unrolled: 2-line block ×14, first 2 shown]
	v_cndmask_b32_e32 v34, v2, v4, vcc
	v_cndmask_b32_e64 v34, v34, v6, s[2:3]
	v_cndmask_b32_e64 v34, v34, v8, s[4:5]
	;; [unrolled: 1-line block ×10, first 2 shown]
	ds_read_b64 v[36:37], v100
	v_cndmask_b32_e64 v34, v34, v26, s[22:23]
	v_cndmask_b32_e64 v34, v34, v28, s[24:25]
	;; [unrolled: 1-line block ×4, first 2 shown]
	s_waitcnt lgkmcnt(0)
	v_mul_f64 v[34:35], v[34:35], v[36:37]
	s_cbranch_execz .LBB79_322
	s_branch .LBB79_323
.LBB79_321:
                                        ; implicit-def: $vgpr34_vgpr35
.LBB79_322:
	ds_read_b64 v[34:35], v100
.LBB79_323:
	v_cmp_ne_u32_e32 vcc, 9, v0
	s_and_saveexec_b64 s[4:5], vcc
	s_cbranch_execz .LBB79_327
; %bb.324:
	v_mov_b32_e32 v36, 0x88
	v_lshl_add_u32 v38, v0, 3, v36
	v_mov_b32_e32 v37, v1
	s_mov_b64 s[6:7], 0
	v_mov_b32_e32 v36, v0
.LBB79_325:                             ; =>This Inner Loop Header: Depth=1
	v_add_co_u32_e32 v36, vcc, 1, v36
	v_addc_co_u32_e32 v37, vcc, 0, v37, vcc
	v_cmp_eq_u32_e32 vcc, 1, v36
	v_cndmask_b32_e32 v41, v3, v5, vcc
	v_cmp_eq_u32_e64 s[2:3], 2, v36
	v_cndmask_b32_e64 v41, v41, v7, s[2:3]
	v_cndmask_b32_e32 v42, v2, v4, vcc
	v_cmp_eq_u32_e32 vcc, 3, v36
	v_cndmask_b32_e32 v41, v41, v9, vcc
	v_cndmask_b32_e64 v42, v42, v6, s[2:3]
	v_cmp_eq_u32_e64 s[2:3], 4, v36
	v_cndmask_b32_e64 v41, v41, v11, s[2:3]
	v_cndmask_b32_e32 v42, v42, v8, vcc
	v_cmp_eq_u32_e32 vcc, 5, v36
	v_cndmask_b32_e32 v41, v41, v13, vcc
	v_cndmask_b32_e64 v42, v42, v10, s[2:3]
	;; [unrolled: 6-line block ×5, first 2 shown]
	v_cmp_eq_u32_e64 s[2:3], 12, v36
	ds_read_b64 v[39:40], v38
	v_cndmask_b32_e64 v41, v41, v27, s[2:3]
	v_cndmask_b32_e32 v42, v42, v24, vcc
	v_cmp_eq_u32_e32 vcc, 13, v36
	v_cndmask_b32_e32 v41, v41, v29, vcc
	v_cndmask_b32_e64 v42, v42, v26, s[2:3]
	v_cmp_eq_u32_e64 s[2:3], 14, v36
	v_cndmask_b32_e64 v41, v41, v31, s[2:3]
	v_cndmask_b32_e32 v43, v42, v28, vcc
	v_cmp_eq_u32_e32 vcc, 15, v36
	v_cndmask_b32_e32 v42, v41, v33, vcc
	v_cndmask_b32_e64 v41, v43, v30, s[2:3]
	v_cndmask_b32_e32 v41, v41, v32, vcc
	s_waitcnt lgkmcnt(0)
	v_fma_f64 v[34:35], v[41:42], v[39:40], v[34:35]
	v_cmp_lt_u32_e32 vcc, 8, v36
	s_or_b64 s[6:7], vcc, s[6:7]
	v_add_u32_e32 v38, 8, v38
	s_andn2_b64 exec, exec, s[6:7]
	s_cbranch_execnz .LBB79_325
; %bb.326:
	s_or_b64 exec, exec, s[6:7]
.LBB79_327:
	s_or_b64 exec, exec, s[4:5]
	v_mov_b32_e32 v22, 0
	ds_read_b64 v[22:23], v22 offset:80
	s_waitcnt lgkmcnt(0)
	v_mul_f64 v[22:23], v[34:35], v[22:23]
.LBB79_328:
	s_or_b64 exec, exec, s[30:31]
	v_cmp_gt_u32_e32 vcc, 11, v0
	ds_write_b64 v100, v[24:25]
	s_waitcnt lgkmcnt(0)
	; wave barrier
	s_and_saveexec_b64 s[30:31], vcc
	s_cbranch_execz .LBB79_338
; %bb.329:
	s_and_b64 vcc, exec, s[0:1]
	s_cbranch_vccnz .LBB79_331
; %bb.330:
	v_cmp_eq_u32_e32 vcc, 1, v0
	v_cndmask_b32_e32 v34, v3, v5, vcc
	v_cmp_eq_u32_e64 s[2:3], 2, v0
	v_cndmask_b32_e64 v34, v34, v7, s[2:3]
	v_cmp_eq_u32_e64 s[4:5], 3, v0
	v_cndmask_b32_e64 v34, v34, v9, s[4:5]
	;; [unrolled: 2-line block ×14, first 2 shown]
	v_cndmask_b32_e32 v34, v2, v4, vcc
	v_cndmask_b32_e64 v34, v34, v6, s[2:3]
	v_cndmask_b32_e64 v34, v34, v8, s[4:5]
	;; [unrolled: 1-line block ×10, first 2 shown]
	ds_read_b64 v[36:37], v100
	v_cndmask_b32_e64 v34, v34, v26, s[22:23]
	v_cndmask_b32_e64 v34, v34, v28, s[24:25]
	;; [unrolled: 1-line block ×4, first 2 shown]
	s_waitcnt lgkmcnt(0)
	v_mul_f64 v[34:35], v[34:35], v[36:37]
	s_cbranch_execz .LBB79_332
	s_branch .LBB79_333
.LBB79_331:
                                        ; implicit-def: $vgpr34_vgpr35
.LBB79_332:
	ds_read_b64 v[34:35], v100
.LBB79_333:
	v_cmp_ne_u32_e32 vcc, 10, v0
	s_and_saveexec_b64 s[4:5], vcc
	s_cbranch_execz .LBB79_337
; %bb.334:
	v_mov_b32_e32 v36, 0x88
	v_lshl_add_u32 v38, v0, 3, v36
	v_mov_b32_e32 v37, v1
	s_mov_b64 s[6:7], 0
	v_mov_b32_e32 v36, v0
.LBB79_335:                             ; =>This Inner Loop Header: Depth=1
	v_add_co_u32_e32 v36, vcc, 1, v36
	v_addc_co_u32_e32 v37, vcc, 0, v37, vcc
	v_cmp_eq_u32_e32 vcc, 1, v36
	v_cndmask_b32_e32 v41, v3, v5, vcc
	v_cmp_eq_u32_e64 s[2:3], 2, v36
	v_cndmask_b32_e64 v41, v41, v7, s[2:3]
	v_cndmask_b32_e32 v42, v2, v4, vcc
	v_cmp_eq_u32_e32 vcc, 3, v36
	v_cndmask_b32_e32 v41, v41, v9, vcc
	v_cndmask_b32_e64 v42, v42, v6, s[2:3]
	v_cmp_eq_u32_e64 s[2:3], 4, v36
	v_cndmask_b32_e64 v41, v41, v11, s[2:3]
	v_cndmask_b32_e32 v42, v42, v8, vcc
	v_cmp_eq_u32_e32 vcc, 5, v36
	v_cndmask_b32_e32 v41, v41, v13, vcc
	v_cndmask_b32_e64 v42, v42, v10, s[2:3]
	;; [unrolled: 6-line block ×5, first 2 shown]
	v_cmp_eq_u32_e64 s[2:3], 12, v36
	ds_read_b64 v[39:40], v38
	v_cndmask_b32_e64 v41, v41, v27, s[2:3]
	v_cndmask_b32_e32 v42, v42, v24, vcc
	v_cmp_eq_u32_e32 vcc, 13, v36
	v_cndmask_b32_e32 v41, v41, v29, vcc
	v_cndmask_b32_e64 v42, v42, v26, s[2:3]
	v_cmp_eq_u32_e64 s[2:3], 14, v36
	v_cndmask_b32_e64 v41, v41, v31, s[2:3]
	v_cndmask_b32_e32 v43, v42, v28, vcc
	v_cmp_eq_u32_e32 vcc, 15, v36
	v_cndmask_b32_e32 v42, v41, v33, vcc
	v_cndmask_b32_e64 v41, v43, v30, s[2:3]
	v_cndmask_b32_e32 v41, v41, v32, vcc
	s_waitcnt lgkmcnt(0)
	v_fma_f64 v[34:35], v[41:42], v[39:40], v[34:35]
	v_cmp_lt_u32_e32 vcc, 9, v36
	s_or_b64 s[6:7], vcc, s[6:7]
	v_add_u32_e32 v38, 8, v38
	s_andn2_b64 exec, exec, s[6:7]
	s_cbranch_execnz .LBB79_335
; %bb.336:
	s_or_b64 exec, exec, s[6:7]
.LBB79_337:
	s_or_b64 exec, exec, s[4:5]
	v_mov_b32_e32 v24, 0
	ds_read_b64 v[24:25], v24 offset:88
	s_waitcnt lgkmcnt(0)
	v_mul_f64 v[24:25], v[34:35], v[24:25]
.LBB79_338:
	s_or_b64 exec, exec, s[30:31]
	v_cmp_gt_u32_e32 vcc, 12, v0
	ds_write_b64 v100, v[26:27]
	s_waitcnt lgkmcnt(0)
	; wave barrier
	s_and_saveexec_b64 s[30:31], vcc
	s_cbranch_execz .LBB79_348
; %bb.339:
	s_and_b64 vcc, exec, s[0:1]
	s_cbranch_vccnz .LBB79_341
; %bb.340:
	v_cmp_eq_u32_e32 vcc, 1, v0
	v_cndmask_b32_e32 v34, v3, v5, vcc
	v_cmp_eq_u32_e64 s[2:3], 2, v0
	v_cndmask_b32_e64 v34, v34, v7, s[2:3]
	v_cmp_eq_u32_e64 s[4:5], 3, v0
	v_cndmask_b32_e64 v34, v34, v9, s[4:5]
	v_cmp_eq_u32_e64 s[6:7], 4, v0
	v_cndmask_b32_e64 v34, v34, v11, s[6:7]
	v_cmp_eq_u32_e64 s[8:9], 5, v0
	v_cndmask_b32_e64 v34, v34, v13, s[8:9]
	v_cmp_eq_u32_e64 s[10:11], 6, v0
	v_cndmask_b32_e64 v34, v34, v15, s[10:11]
	v_cmp_eq_u32_e64 s[12:13], 7, v0
	v_cndmask_b32_e64 v34, v34, v17, s[12:13]
	v_cmp_eq_u32_e64 s[14:15], 8, v0
	v_cndmask_b32_e64 v34, v34, v19, s[14:15]
	v_cmp_eq_u32_e64 s[16:17], 9, v0
	v_cndmask_b32_e64 v34, v34, v21, s[16:17]
	v_cmp_eq_u32_e64 s[18:19], 10, v0
	v_cndmask_b32_e64 v34, v34, v23, s[18:19]
	v_cmp_eq_u32_e64 s[20:21], 11, v0
	v_cndmask_b32_e64 v34, v34, v25, s[20:21]
	v_cmp_eq_u32_e64 s[22:23], 12, v0
	v_cndmask_b32_e64 v34, v34, v27, s[22:23]
	v_cmp_eq_u32_e64 s[24:25], 13, v0
	v_cndmask_b32_e64 v34, v34, v29, s[24:25]
	v_cmp_eq_u32_e64 s[26:27], 14, v0
	v_cndmask_b32_e64 v34, v34, v31, s[26:27]
	v_cmp_eq_u32_e64 s[28:29], 15, v0
	v_cndmask_b32_e64 v35, v34, v33, s[28:29]
	v_cndmask_b32_e32 v34, v2, v4, vcc
	v_cndmask_b32_e64 v34, v34, v6, s[2:3]
	v_cndmask_b32_e64 v34, v34, v8, s[4:5]
	;; [unrolled: 1-line block ×10, first 2 shown]
	ds_read_b64 v[36:37], v100
	v_cndmask_b32_e64 v34, v34, v26, s[22:23]
	v_cndmask_b32_e64 v34, v34, v28, s[24:25]
	;; [unrolled: 1-line block ×4, first 2 shown]
	s_waitcnt lgkmcnt(0)
	v_mul_f64 v[34:35], v[34:35], v[36:37]
	s_cbranch_execz .LBB79_342
	s_branch .LBB79_343
.LBB79_341:
                                        ; implicit-def: $vgpr34_vgpr35
.LBB79_342:
	ds_read_b64 v[34:35], v100
.LBB79_343:
	v_cmp_ne_u32_e32 vcc, 11, v0
	s_and_saveexec_b64 s[4:5], vcc
	s_cbranch_execz .LBB79_347
; %bb.344:
	v_mov_b32_e32 v36, 0x88
	v_lshl_add_u32 v38, v0, 3, v36
	v_mov_b32_e32 v37, v1
	s_mov_b64 s[6:7], 0
	v_mov_b32_e32 v36, v0
.LBB79_345:                             ; =>This Inner Loop Header: Depth=1
	v_add_co_u32_e32 v36, vcc, 1, v36
	v_addc_co_u32_e32 v37, vcc, 0, v37, vcc
	v_cmp_eq_u32_e32 vcc, 1, v36
	v_cndmask_b32_e32 v41, v3, v5, vcc
	v_cmp_eq_u32_e64 s[2:3], 2, v36
	v_cndmask_b32_e64 v41, v41, v7, s[2:3]
	v_cndmask_b32_e32 v42, v2, v4, vcc
	v_cmp_eq_u32_e32 vcc, 3, v36
	v_cndmask_b32_e32 v41, v41, v9, vcc
	v_cndmask_b32_e64 v42, v42, v6, s[2:3]
	v_cmp_eq_u32_e64 s[2:3], 4, v36
	v_cndmask_b32_e64 v41, v41, v11, s[2:3]
	v_cndmask_b32_e32 v42, v42, v8, vcc
	v_cmp_eq_u32_e32 vcc, 5, v36
	v_cndmask_b32_e32 v41, v41, v13, vcc
	v_cndmask_b32_e64 v42, v42, v10, s[2:3]
	;; [unrolled: 6-line block ×5, first 2 shown]
	v_cmp_eq_u32_e64 s[2:3], 12, v36
	ds_read_b64 v[39:40], v38
	v_cndmask_b32_e64 v41, v41, v27, s[2:3]
	v_cndmask_b32_e32 v42, v42, v24, vcc
	v_cmp_eq_u32_e32 vcc, 13, v36
	v_cndmask_b32_e32 v41, v41, v29, vcc
	v_cndmask_b32_e64 v42, v42, v26, s[2:3]
	v_cmp_eq_u32_e64 s[2:3], 14, v36
	v_cndmask_b32_e64 v41, v41, v31, s[2:3]
	v_cndmask_b32_e32 v43, v42, v28, vcc
	v_cmp_eq_u32_e32 vcc, 15, v36
	v_cndmask_b32_e32 v42, v41, v33, vcc
	v_cndmask_b32_e64 v41, v43, v30, s[2:3]
	v_cndmask_b32_e32 v41, v41, v32, vcc
	s_waitcnt lgkmcnt(0)
	v_fma_f64 v[34:35], v[41:42], v[39:40], v[34:35]
	v_cmp_lt_u32_e32 vcc, 10, v36
	s_or_b64 s[6:7], vcc, s[6:7]
	v_add_u32_e32 v38, 8, v38
	s_andn2_b64 exec, exec, s[6:7]
	s_cbranch_execnz .LBB79_345
; %bb.346:
	s_or_b64 exec, exec, s[6:7]
.LBB79_347:
	s_or_b64 exec, exec, s[4:5]
	v_mov_b32_e32 v26, 0
	ds_read_b64 v[26:27], v26 offset:96
	s_waitcnt lgkmcnt(0)
	v_mul_f64 v[26:27], v[34:35], v[26:27]
.LBB79_348:
	s_or_b64 exec, exec, s[30:31]
	v_cmp_gt_u32_e32 vcc, 13, v0
	ds_write_b64 v100, v[28:29]
	s_waitcnt lgkmcnt(0)
	; wave barrier
	s_and_saveexec_b64 s[30:31], vcc
	s_cbranch_execz .LBB79_358
; %bb.349:
	s_and_b64 vcc, exec, s[0:1]
	s_cbranch_vccnz .LBB79_351
; %bb.350:
	v_cmp_eq_u32_e32 vcc, 1, v0
	v_cndmask_b32_e32 v34, v3, v5, vcc
	v_cmp_eq_u32_e64 s[2:3], 2, v0
	v_cndmask_b32_e64 v34, v34, v7, s[2:3]
	v_cmp_eq_u32_e64 s[4:5], 3, v0
	v_cndmask_b32_e64 v34, v34, v9, s[4:5]
	;; [unrolled: 2-line block ×14, first 2 shown]
	v_cndmask_b32_e32 v34, v2, v4, vcc
	v_cndmask_b32_e64 v34, v34, v6, s[2:3]
	v_cndmask_b32_e64 v34, v34, v8, s[4:5]
	;; [unrolled: 1-line block ×10, first 2 shown]
	ds_read_b64 v[36:37], v100
	v_cndmask_b32_e64 v34, v34, v26, s[22:23]
	v_cndmask_b32_e64 v34, v34, v28, s[24:25]
	;; [unrolled: 1-line block ×4, first 2 shown]
	s_waitcnt lgkmcnt(0)
	v_mul_f64 v[34:35], v[34:35], v[36:37]
	s_cbranch_execz .LBB79_352
	s_branch .LBB79_353
.LBB79_351:
                                        ; implicit-def: $vgpr34_vgpr35
.LBB79_352:
	ds_read_b64 v[34:35], v100
.LBB79_353:
	v_cmp_ne_u32_e32 vcc, 12, v0
	s_and_saveexec_b64 s[4:5], vcc
	s_cbranch_execz .LBB79_357
; %bb.354:
	v_mov_b32_e32 v36, 0x88
	v_lshl_add_u32 v38, v0, 3, v36
	v_mov_b32_e32 v37, v1
	s_mov_b64 s[6:7], 0
	v_mov_b32_e32 v36, v0
.LBB79_355:                             ; =>This Inner Loop Header: Depth=1
	v_add_co_u32_e32 v36, vcc, 1, v36
	v_addc_co_u32_e32 v37, vcc, 0, v37, vcc
	v_cmp_eq_u32_e32 vcc, 1, v36
	v_cndmask_b32_e32 v41, v3, v5, vcc
	v_cmp_eq_u32_e64 s[2:3], 2, v36
	v_cndmask_b32_e64 v41, v41, v7, s[2:3]
	v_cndmask_b32_e32 v42, v2, v4, vcc
	v_cmp_eq_u32_e32 vcc, 3, v36
	v_cndmask_b32_e32 v41, v41, v9, vcc
	v_cndmask_b32_e64 v42, v42, v6, s[2:3]
	v_cmp_eq_u32_e64 s[2:3], 4, v36
	v_cndmask_b32_e64 v41, v41, v11, s[2:3]
	v_cndmask_b32_e32 v42, v42, v8, vcc
	v_cmp_eq_u32_e32 vcc, 5, v36
	v_cndmask_b32_e32 v41, v41, v13, vcc
	v_cndmask_b32_e64 v42, v42, v10, s[2:3]
	;; [unrolled: 6-line block ×5, first 2 shown]
	v_cmp_eq_u32_e64 s[2:3], 12, v36
	ds_read_b64 v[39:40], v38
	v_cndmask_b32_e64 v41, v41, v27, s[2:3]
	v_cndmask_b32_e32 v42, v42, v24, vcc
	v_cmp_eq_u32_e32 vcc, 13, v36
	v_cndmask_b32_e32 v41, v41, v29, vcc
	v_cndmask_b32_e64 v42, v42, v26, s[2:3]
	v_cmp_eq_u32_e64 s[2:3], 14, v36
	v_cndmask_b32_e64 v41, v41, v31, s[2:3]
	v_cndmask_b32_e32 v43, v42, v28, vcc
	v_cmp_eq_u32_e32 vcc, 15, v36
	v_cndmask_b32_e32 v42, v41, v33, vcc
	v_cndmask_b32_e64 v41, v43, v30, s[2:3]
	v_cndmask_b32_e32 v41, v41, v32, vcc
	s_waitcnt lgkmcnt(0)
	v_fma_f64 v[34:35], v[41:42], v[39:40], v[34:35]
	v_cmp_lt_u32_e32 vcc, 11, v36
	s_or_b64 s[6:7], vcc, s[6:7]
	v_add_u32_e32 v38, 8, v38
	s_andn2_b64 exec, exec, s[6:7]
	s_cbranch_execnz .LBB79_355
; %bb.356:
	s_or_b64 exec, exec, s[6:7]
.LBB79_357:
	s_or_b64 exec, exec, s[4:5]
	v_mov_b32_e32 v28, 0
	ds_read_b64 v[28:29], v28 offset:104
	s_waitcnt lgkmcnt(0)
	v_mul_f64 v[28:29], v[34:35], v[28:29]
.LBB79_358:
	s_or_b64 exec, exec, s[30:31]
	v_cmp_gt_u32_e64 s[2:3], 14, v0
	ds_write_b64 v100, v[30:31]
	s_waitcnt lgkmcnt(0)
	; wave barrier
	s_and_saveexec_b64 s[34:35], s[2:3]
	s_cbranch_execz .LBB79_368
; %bb.359:
	s_and_b64 vcc, exec, s[0:1]
	s_cbranch_vccnz .LBB79_361
; %bb.360:
	v_cmp_eq_u32_e32 vcc, 1, v0
	v_cndmask_b32_e32 v34, v3, v5, vcc
	v_cmp_eq_u32_e64 s[4:5], 2, v0
	v_cndmask_b32_e64 v34, v34, v7, s[4:5]
	v_cmp_eq_u32_e64 s[6:7], 3, v0
	v_cndmask_b32_e64 v34, v34, v9, s[6:7]
	;; [unrolled: 2-line block ×14, first 2 shown]
	v_cndmask_b32_e32 v34, v2, v4, vcc
	v_cndmask_b32_e64 v34, v34, v6, s[4:5]
	v_cndmask_b32_e64 v34, v34, v8, s[6:7]
	;; [unrolled: 1-line block ×10, first 2 shown]
	ds_read_b64 v[36:37], v100
	v_cndmask_b32_e64 v34, v34, v26, s[24:25]
	v_cndmask_b32_e64 v34, v34, v28, s[26:27]
	;; [unrolled: 1-line block ×4, first 2 shown]
	s_waitcnt lgkmcnt(0)
	v_mul_f64 v[34:35], v[34:35], v[36:37]
	s_cbranch_execz .LBB79_362
	s_branch .LBB79_363
.LBB79_361:
                                        ; implicit-def: $vgpr34_vgpr35
.LBB79_362:
	ds_read_b64 v[34:35], v100
.LBB79_363:
	v_cmp_ne_u32_e32 vcc, 13, v0
	s_and_saveexec_b64 s[6:7], vcc
	s_cbranch_execz .LBB79_367
; %bb.364:
	v_mov_b32_e32 v36, 0x88
	v_lshl_add_u32 v38, v0, 3, v36
	v_mov_b32_e32 v37, v1
	s_mov_b64 s[8:9], 0
	v_mov_b32_e32 v36, v0
.LBB79_365:                             ; =>This Inner Loop Header: Depth=1
	v_add_co_u32_e32 v36, vcc, 1, v36
	v_addc_co_u32_e32 v37, vcc, 0, v37, vcc
	v_cmp_eq_u32_e32 vcc, 1, v36
	v_cndmask_b32_e32 v41, v3, v5, vcc
	v_cmp_eq_u32_e64 s[4:5], 2, v36
	v_cndmask_b32_e64 v41, v41, v7, s[4:5]
	v_cndmask_b32_e32 v42, v2, v4, vcc
	v_cmp_eq_u32_e32 vcc, 3, v36
	v_cndmask_b32_e32 v41, v41, v9, vcc
	v_cndmask_b32_e64 v42, v42, v6, s[4:5]
	v_cmp_eq_u32_e64 s[4:5], 4, v36
	v_cndmask_b32_e64 v41, v41, v11, s[4:5]
	v_cndmask_b32_e32 v42, v42, v8, vcc
	v_cmp_eq_u32_e32 vcc, 5, v36
	v_cndmask_b32_e32 v41, v41, v13, vcc
	v_cndmask_b32_e64 v42, v42, v10, s[4:5]
	;; [unrolled: 6-line block ×5, first 2 shown]
	v_cmp_eq_u32_e64 s[4:5], 12, v36
	ds_read_b64 v[39:40], v38
	v_cndmask_b32_e64 v41, v41, v27, s[4:5]
	v_cndmask_b32_e32 v42, v42, v24, vcc
	v_cmp_eq_u32_e32 vcc, 13, v36
	v_cndmask_b32_e32 v41, v41, v29, vcc
	v_cndmask_b32_e64 v42, v42, v26, s[4:5]
	v_cmp_eq_u32_e64 s[4:5], 14, v36
	v_cndmask_b32_e64 v41, v41, v31, s[4:5]
	v_cndmask_b32_e32 v43, v42, v28, vcc
	v_cmp_eq_u32_e32 vcc, 15, v36
	v_cndmask_b32_e32 v42, v41, v33, vcc
	v_cndmask_b32_e64 v41, v43, v30, s[4:5]
	v_cndmask_b32_e32 v41, v41, v32, vcc
	s_waitcnt lgkmcnt(0)
	v_fma_f64 v[34:35], v[41:42], v[39:40], v[34:35]
	v_cmp_lt_u32_e32 vcc, 12, v36
	s_or_b64 s[8:9], vcc, s[8:9]
	v_add_u32_e32 v38, 8, v38
	s_andn2_b64 exec, exec, s[8:9]
	s_cbranch_execnz .LBB79_365
; %bb.366:
	s_or_b64 exec, exec, s[8:9]
.LBB79_367:
	s_or_b64 exec, exec, s[6:7]
	v_mov_b32_e32 v30, 0
	ds_read_b64 v[30:31], v30 offset:112
	s_waitcnt lgkmcnt(0)
	v_mul_f64 v[30:31], v[34:35], v[30:31]
.LBB79_368:
	s_or_b64 exec, exec, s[34:35]
	v_cmp_ne_u32_e32 vcc, 15, v0
	ds_write_b64 v100, v[32:33]
	s_waitcnt lgkmcnt(0)
	; wave barrier
	s_and_saveexec_b64 s[30:31], vcc
	s_cbranch_execz .LBB79_378
; %bb.369:
	s_and_b64 vcc, exec, s[0:1]
	s_cbranch_vccnz .LBB79_371
; %bb.370:
	v_cmp_eq_u32_e32 vcc, 1, v0
	v_cndmask_b32_e32 v34, v3, v5, vcc
	v_cmp_eq_u32_e64 s[0:1], 2, v0
	v_cndmask_b32_e64 v34, v34, v7, s[0:1]
	v_cmp_eq_u32_e64 s[4:5], 3, v0
	v_cndmask_b32_e64 v34, v34, v9, s[4:5]
	;; [unrolled: 2-line block ×14, first 2 shown]
	v_cndmask_b32_e32 v34, v2, v4, vcc
	v_cndmask_b32_e64 v34, v34, v6, s[0:1]
	v_cndmask_b32_e64 v34, v34, v8, s[4:5]
	;; [unrolled: 1-line block ×10, first 2 shown]
	ds_read_b64 v[36:37], v100
	v_cndmask_b32_e64 v34, v34, v26, s[22:23]
	v_cndmask_b32_e64 v34, v34, v28, s[24:25]
	;; [unrolled: 1-line block ×4, first 2 shown]
	s_waitcnt lgkmcnt(0)
	v_mul_f64 v[34:35], v[34:35], v[36:37]
	s_cbranch_execz .LBB79_372
	s_branch .LBB79_373
.LBB79_371:
                                        ; implicit-def: $vgpr34_vgpr35
.LBB79_372:
	ds_read_b64 v[34:35], v100
.LBB79_373:
	s_and_saveexec_b64 s[4:5], s[2:3]
	s_cbranch_execz .LBB79_377
; %bb.374:
	v_mov_b32_e32 v36, 0x88
	v_lshl_add_u32 v36, v0, 3, v36
	s_mov_b64 s[2:3], 0
.LBB79_375:                             ; =>This Inner Loop Header: Depth=1
	v_add_co_u32_e32 v0, vcc, 1, v0
	v_addc_co_u32_e32 v1, vcc, 0, v1, vcc
	v_cmp_eq_u32_e32 vcc, 1, v0
	v_cndmask_b32_e32 v39, v3, v5, vcc
	v_cmp_eq_u32_e64 s[0:1], 2, v0
	v_cndmask_b32_e64 v39, v39, v7, s[0:1]
	v_cndmask_b32_e32 v40, v2, v4, vcc
	v_cmp_eq_u32_e32 vcc, 3, v0
	v_cndmask_b32_e32 v39, v39, v9, vcc
	v_cndmask_b32_e64 v40, v40, v6, s[0:1]
	v_cmp_eq_u32_e64 s[0:1], 4, v0
	v_cndmask_b32_e64 v39, v39, v11, s[0:1]
	v_cndmask_b32_e32 v40, v40, v8, vcc
	v_cmp_eq_u32_e32 vcc, 5, v0
	v_cndmask_b32_e32 v39, v39, v13, vcc
	v_cndmask_b32_e64 v40, v40, v10, s[0:1]
	;; [unrolled: 6-line block ×5, first 2 shown]
	v_cmp_eq_u32_e64 s[0:1], 12, v0
	ds_read_b64 v[37:38], v36
	v_cndmask_b32_e64 v39, v39, v27, s[0:1]
	v_cndmask_b32_e32 v40, v40, v24, vcc
	v_cmp_eq_u32_e32 vcc, 13, v0
	v_cndmask_b32_e32 v39, v39, v29, vcc
	v_cndmask_b32_e64 v40, v40, v26, s[0:1]
	v_cmp_eq_u32_e64 s[0:1], 14, v0
	v_cndmask_b32_e64 v39, v39, v31, s[0:1]
	v_cndmask_b32_e32 v41, v40, v28, vcc
	v_cmp_eq_u32_e32 vcc, 15, v0
	v_cndmask_b32_e32 v40, v39, v33, vcc
	v_cndmask_b32_e64 v39, v41, v30, s[0:1]
	v_cndmask_b32_e32 v39, v39, v32, vcc
	s_waitcnt lgkmcnt(0)
	v_fma_f64 v[34:35], v[39:40], v[37:38], v[34:35]
	v_cmp_lt_u32_e32 vcc, 13, v0
	s_or_b64 s[2:3], vcc, s[2:3]
	v_add_u32_e32 v36, 8, v36
	s_andn2_b64 exec, exec, s[2:3]
	s_cbranch_execnz .LBB79_375
; %bb.376:
	s_or_b64 exec, exec, s[2:3]
.LBB79_377:
	s_or_b64 exec, exec, s[4:5]
	v_mov_b32_e32 v0, 0
	ds_read_b64 v[0:1], v0 offset:120
	s_waitcnt lgkmcnt(0)
	v_mul_f64 v[32:33], v[34:35], v[0:1]
.LBB79_378:
	s_or_b64 exec, exec, s[30:31]
	v_mov_b32_e32 v65, v33
	v_mov_b32_e32 v64, v32
	;; [unrolled: 1-line block ×32, first 2 shown]
.LBB79_379:
	flat_store_dwordx2 v[94:95], v[34:35]
	flat_store_dwordx2 v[96:97], v[36:37]
	;; [unrolled: 1-line block ×16, first 2 shown]
.LBB79_380:
	s_endpgm
	.section	.rodata,"a",@progbits
	.p2align	6, 0x0
	.amdhsa_kernel _ZN9rocsolver6v33100L18trti2_kernel_smallILi16EdPKPdEEv13rocblas_fill_17rocblas_diagonal_T1_iil
		.amdhsa_group_segment_fixed_size 256
		.amdhsa_private_segment_fixed_size 0
		.amdhsa_kernarg_size 32
		.amdhsa_user_sgpr_count 6
		.amdhsa_user_sgpr_private_segment_buffer 1
		.amdhsa_user_sgpr_dispatch_ptr 0
		.amdhsa_user_sgpr_queue_ptr 0
		.amdhsa_user_sgpr_kernarg_segment_ptr 1
		.amdhsa_user_sgpr_dispatch_id 0
		.amdhsa_user_sgpr_flat_scratch_init 0
		.amdhsa_user_sgpr_private_segment_size 0
		.amdhsa_uses_dynamic_stack 0
		.amdhsa_system_sgpr_private_segment_wavefront_offset 0
		.amdhsa_system_sgpr_workgroup_id_x 1
		.amdhsa_system_sgpr_workgroup_id_y 0
		.amdhsa_system_sgpr_workgroup_id_z 0
		.amdhsa_system_sgpr_workgroup_info 0
		.amdhsa_system_vgpr_workitem_id 0
		.amdhsa_next_free_vgpr 120
		.amdhsa_next_free_sgpr 50
		.amdhsa_reserve_vcc 1
		.amdhsa_reserve_flat_scratch 0
		.amdhsa_float_round_mode_32 0
		.amdhsa_float_round_mode_16_64 0
		.amdhsa_float_denorm_mode_32 3
		.amdhsa_float_denorm_mode_16_64 3
		.amdhsa_dx10_clamp 1
		.amdhsa_ieee_mode 1
		.amdhsa_fp16_overflow 0
		.amdhsa_exception_fp_ieee_invalid_op 0
		.amdhsa_exception_fp_denorm_src 0
		.amdhsa_exception_fp_ieee_div_zero 0
		.amdhsa_exception_fp_ieee_overflow 0
		.amdhsa_exception_fp_ieee_underflow 0
		.amdhsa_exception_fp_ieee_inexact 0
		.amdhsa_exception_int_div_zero 0
	.end_amdhsa_kernel
	.section	.text._ZN9rocsolver6v33100L18trti2_kernel_smallILi16EdPKPdEEv13rocblas_fill_17rocblas_diagonal_T1_iil,"axG",@progbits,_ZN9rocsolver6v33100L18trti2_kernel_smallILi16EdPKPdEEv13rocblas_fill_17rocblas_diagonal_T1_iil,comdat
.Lfunc_end79:
	.size	_ZN9rocsolver6v33100L18trti2_kernel_smallILi16EdPKPdEEv13rocblas_fill_17rocblas_diagonal_T1_iil, .Lfunc_end79-_ZN9rocsolver6v33100L18trti2_kernel_smallILi16EdPKPdEEv13rocblas_fill_17rocblas_diagonal_T1_iil
                                        ; -- End function
	.set _ZN9rocsolver6v33100L18trti2_kernel_smallILi16EdPKPdEEv13rocblas_fill_17rocblas_diagonal_T1_iil.num_vgpr, 120
	.set _ZN9rocsolver6v33100L18trti2_kernel_smallILi16EdPKPdEEv13rocblas_fill_17rocblas_diagonal_T1_iil.num_agpr, 0
	.set _ZN9rocsolver6v33100L18trti2_kernel_smallILi16EdPKPdEEv13rocblas_fill_17rocblas_diagonal_T1_iil.numbered_sgpr, 50
	.set _ZN9rocsolver6v33100L18trti2_kernel_smallILi16EdPKPdEEv13rocblas_fill_17rocblas_diagonal_T1_iil.num_named_barrier, 0
	.set _ZN9rocsolver6v33100L18trti2_kernel_smallILi16EdPKPdEEv13rocblas_fill_17rocblas_diagonal_T1_iil.private_seg_size, 0
	.set _ZN9rocsolver6v33100L18trti2_kernel_smallILi16EdPKPdEEv13rocblas_fill_17rocblas_diagonal_T1_iil.uses_vcc, 1
	.set _ZN9rocsolver6v33100L18trti2_kernel_smallILi16EdPKPdEEv13rocblas_fill_17rocblas_diagonal_T1_iil.uses_flat_scratch, 0
	.set _ZN9rocsolver6v33100L18trti2_kernel_smallILi16EdPKPdEEv13rocblas_fill_17rocblas_diagonal_T1_iil.has_dyn_sized_stack, 0
	.set _ZN9rocsolver6v33100L18trti2_kernel_smallILi16EdPKPdEEv13rocblas_fill_17rocblas_diagonal_T1_iil.has_recursion, 0
	.set _ZN9rocsolver6v33100L18trti2_kernel_smallILi16EdPKPdEEv13rocblas_fill_17rocblas_diagonal_T1_iil.has_indirect_call, 0
	.section	.AMDGPU.csdata,"",@progbits
; Kernel info:
; codeLenInByte = 33232
; TotalNumSgprs: 54
; NumVgprs: 120
; ScratchSize: 0
; MemoryBound: 0
; FloatMode: 240
; IeeeMode: 1
; LDSByteSize: 256 bytes/workgroup (compile time only)
; SGPRBlocks: 6
; VGPRBlocks: 29
; NumSGPRsForWavesPerEU: 54
; NumVGPRsForWavesPerEU: 120
; Occupancy: 2
; WaveLimiterHint : 1
; COMPUTE_PGM_RSRC2:SCRATCH_EN: 0
; COMPUTE_PGM_RSRC2:USER_SGPR: 6
; COMPUTE_PGM_RSRC2:TRAP_HANDLER: 0
; COMPUTE_PGM_RSRC2:TGID_X_EN: 1
; COMPUTE_PGM_RSRC2:TGID_Y_EN: 0
; COMPUTE_PGM_RSRC2:TGID_Z_EN: 0
; COMPUTE_PGM_RSRC2:TIDIG_COMP_CNT: 0
	.section	.text._ZN9rocsolver6v33100L18trti2_kernel_smallILi17EdPKPdEEv13rocblas_fill_17rocblas_diagonal_T1_iil,"axG",@progbits,_ZN9rocsolver6v33100L18trti2_kernel_smallILi17EdPKPdEEv13rocblas_fill_17rocblas_diagonal_T1_iil,comdat
	.globl	_ZN9rocsolver6v33100L18trti2_kernel_smallILi17EdPKPdEEv13rocblas_fill_17rocblas_diagonal_T1_iil ; -- Begin function _ZN9rocsolver6v33100L18trti2_kernel_smallILi17EdPKPdEEv13rocblas_fill_17rocblas_diagonal_T1_iil
	.p2align	8
	.type	_ZN9rocsolver6v33100L18trti2_kernel_smallILi17EdPKPdEEv13rocblas_fill_17rocblas_diagonal_T1_iil,@function
_ZN9rocsolver6v33100L18trti2_kernel_smallILi17EdPKPdEEv13rocblas_fill_17rocblas_diagonal_T1_iil: ; @_ZN9rocsolver6v33100L18trti2_kernel_smallILi17EdPKPdEEv13rocblas_fill_17rocblas_diagonal_T1_iil
; %bb.0:
	s_add_u32 s0, s0, s7
	s_addc_u32 s1, s1, 0
	v_cmp_gt_u32_e32 vcc, 17, v0
	s_and_saveexec_b64 s[8:9], vcc
	s_cbranch_execz .LBB80_310
; %bb.1:
	s_load_dwordx2 s[12:13], s[4:5], 0x10
	s_load_dwordx4 s[8:11], s[4:5], 0x0
	s_ashr_i32 s7, s6, 31
	s_lshl_b64 s[6:7], s[6:7], 3
	v_lshlrev_b32_e32 v37, 3, v0
	s_waitcnt lgkmcnt(0)
	s_ashr_i32 s5, s12, 31
	s_add_u32 s6, s10, s6
	s_addc_u32 s7, s11, s7
	s_load_dwordx2 s[6:7], s[6:7], 0x0
	s_mov_b32 s4, s12
	s_lshl_b64 s[4:5], s[4:5], 3
	s_waitcnt lgkmcnt(0)
	s_add_u32 s6, s6, s4
	s_addc_u32 s7, s7, s5
	v_mov_b32_e32 v2, s7
	v_add_co_u32_e32 v1, vcc, s6, v37
	v_addc_co_u32_e32 v2, vcc, 0, v2, vcc
	flat_load_dwordx2 v[5:6], v[1:2]
	s_mov_b32 s4, s13
	s_ashr_i32 s5, s13, 31
	s_lshl_b64 s[4:5], s[4:5], 3
	v_mov_b32_e32 v4, s5
	v_add_co_u32_e32 v3, vcc, s4, v1
	v_addc_co_u32_e32 v4, vcc, v2, v4, vcc
	s_add_i32 s4, s13, s13
	v_add_u32_e32 v9, s4, v0
	v_ashrrev_i32_e32 v10, 31, v9
	v_mov_b32_e32 v11, s7
	v_add_u32_e32 v12, s13, v9
	v_ashrrev_i32_e32 v13, 31, v12
	v_mov_b32_e32 v14, s7
	v_mov_b32_e32 v15, s7
	v_mov_b32_e32 v17, s7
	v_mov_b32_e32 v20, s7
	v_mov_b32_e32 v21, s7
	v_mov_b32_e32 v23, s7
	v_mov_b32_e32 v26, s7
	v_mov_b32_e32 v27, s7
	v_mov_b32_e32 v29, s7
	v_mov_b32_e32 v32, s7
	v_mov_b32_e32 v33, s7
	v_mov_b32_e32 v35, s7
	v_mov_b32_e32 v36, s7
	s_cmpk_lg_i32 s9, 0x84
	s_cselect_b64 s[10:11], -1, 0
	s_cmpk_eq_i32 s9, 0x84
	s_waitcnt vmcnt(0) lgkmcnt(0)
	buffer_store_dword v6, off, s[0:3], 0 offset:4
	buffer_store_dword v5, off, s[0:3], 0
	flat_load_dwordx2 v[7:8], v[3:4]
	v_lshlrev_b64 v[5:6], 3, v[9:10]
	s_waitcnt vmcnt(0) lgkmcnt(0)
	buffer_store_dword v8, off, s[0:3], 0 offset:12
	buffer_store_dword v7, off, s[0:3], 0 offset:8
	v_add_co_u32_e32 v5, vcc, s6, v5
	v_addc_co_u32_e32 v6, vcc, v11, v6, vcc
	flat_load_dwordx2 v[10:11], v[5:6]
	v_lshlrev_b64 v[7:8], 3, v[12:13]
	s_waitcnt vmcnt(0) lgkmcnt(0)
	buffer_store_dword v11, off, s[0:3], 0 offset:20
	buffer_store_dword v10, off, s[0:3], 0 offset:16
	v_add_co_u32_e32 v7, vcc, s6, v7
	v_addc_co_u32_e32 v8, vcc, v14, v8, vcc
	flat_load_dwordx2 v[13:14], v[7:8]
	v_add_u32_e32 v11, s13, v12
	v_ashrrev_i32_e32 v12, 31, v11
	v_lshlrev_b64 v[9:10], 3, v[11:12]
	s_waitcnt vmcnt(0) lgkmcnt(0)
	buffer_store_dword v14, off, s[0:3], 0 offset:28
	buffer_store_dword v13, off, s[0:3], 0 offset:24
	v_add_co_u32_e32 v9, vcc, s6, v9
	v_addc_co_u32_e32 v10, vcc, v15, v10, vcc
	flat_load_dwordx2 v[13:14], v[9:10]
	v_add_u32_e32 v15, s13, v11
	v_ashrrev_i32_e32 v16, 31, v15
	v_lshlrev_b64 v[11:12], 3, v[15:16]
	v_add_u32_e32 v18, s13, v15
	v_add_co_u32_e32 v11, vcc, s6, v11
	v_addc_co_u32_e32 v12, vcc, v17, v12, vcc
	v_ashrrev_i32_e32 v19, 31, v18
	s_waitcnt vmcnt(0) lgkmcnt(0)
	buffer_store_dword v14, off, s[0:3], 0 offset:36
	buffer_store_dword v13, off, s[0:3], 0 offset:32
	flat_load_dwordx2 v[16:17], v[11:12]
	v_lshlrev_b64 v[13:14], 3, v[18:19]
	s_waitcnt vmcnt(0) lgkmcnt(0)
	buffer_store_dword v17, off, s[0:3], 0 offset:44
	buffer_store_dword v16, off, s[0:3], 0 offset:40
	v_add_co_u32_e32 v13, vcc, s6, v13
	v_addc_co_u32_e32 v14, vcc, v20, v14, vcc
	flat_load_dwordx2 v[19:20], v[13:14]
	v_add_u32_e32 v17, s13, v18
	v_ashrrev_i32_e32 v18, 31, v17
	v_lshlrev_b64 v[15:16], 3, v[17:18]
	s_waitcnt vmcnt(0) lgkmcnt(0)
	buffer_store_dword v20, off, s[0:3], 0 offset:52
	buffer_store_dword v19, off, s[0:3], 0 offset:48
	v_add_co_u32_e32 v15, vcc, s6, v15
	v_addc_co_u32_e32 v16, vcc, v21, v16, vcc
	flat_load_dwordx2 v[19:20], v[15:16]
	v_add_u32_e32 v21, s13, v17
	v_ashrrev_i32_e32 v22, 31, v21
	v_lshlrev_b64 v[17:18], 3, v[21:22]
	v_add_u32_e32 v24, s13, v21
	v_add_co_u32_e32 v17, vcc, s6, v17
	v_addc_co_u32_e32 v18, vcc, v23, v18, vcc
	v_ashrrev_i32_e32 v25, 31, v24
	s_waitcnt vmcnt(0) lgkmcnt(0)
	buffer_store_dword v20, off, s[0:3], 0 offset:60
	buffer_store_dword v19, off, s[0:3], 0 offset:56
	;; [unrolled: 27-line block ×3, first 2 shown]
	flat_load_dwordx2 v[28:29], v[23:24]
	v_lshlrev_b64 v[25:26], 3, v[30:31]
	s_waitcnt vmcnt(0) lgkmcnt(0)
	buffer_store_dword v29, off, s[0:3], 0 offset:92
	buffer_store_dword v28, off, s[0:3], 0 offset:88
	v_add_co_u32_e32 v25, vcc, s6, v25
	v_addc_co_u32_e32 v26, vcc, v32, v26, vcc
	flat_load_dwordx2 v[31:32], v[25:26]
	v_add_u32_e32 v29, s13, v30
	v_ashrrev_i32_e32 v30, 31, v29
	v_lshlrev_b64 v[27:28], 3, v[29:30]
	s_waitcnt vmcnt(0) lgkmcnt(0)
	buffer_store_dword v32, off, s[0:3], 0 offset:100
	buffer_store_dword v31, off, s[0:3], 0 offset:96
	v_add_co_u32_e32 v27, vcc, s6, v27
	v_addc_co_u32_e32 v28, vcc, v33, v28, vcc
	flat_load_dwordx2 v[31:32], v[27:28]
	v_add_u32_e32 v33, s13, v29
	v_ashrrev_i32_e32 v34, 31, v33
	v_lshlrev_b64 v[29:30], 3, v[33:34]
	v_add_u32_e32 v38, s13, v33
	v_add_co_u32_e32 v29, vcc, s6, v29
	v_addc_co_u32_e32 v30, vcc, v35, v30, vcc
	v_ashrrev_i32_e32 v39, 31, v38
	v_add_u32_e32 v33, s13, v38
	s_waitcnt vmcnt(0) lgkmcnt(0)
	buffer_store_dword v32, off, s[0:3], 0 offset:108
	buffer_store_dword v31, off, s[0:3], 0 offset:104
	flat_load_dwordx2 v[34:35], v[29:30]
	v_lshlrev_b64 v[31:32], 3, v[38:39]
	v_mov_b32_e32 v39, s7
	v_add_co_u32_e32 v31, vcc, s6, v31
	v_addc_co_u32_e32 v32, vcc, v36, v32, vcc
	s_waitcnt vmcnt(0) lgkmcnt(0)
	buffer_store_dword v35, off, s[0:3], 0 offset:116
	buffer_store_dword v34, off, s[0:3], 0 offset:112
	flat_load_dwordx2 v[35:36], v[31:32]
	v_ashrrev_i32_e32 v34, 31, v33
	v_lshlrev_b64 v[33:34], 3, v[33:34]
	s_waitcnt vmcnt(0) lgkmcnt(0)
	buffer_store_dword v36, off, s[0:3], 0 offset:124
	buffer_store_dword v35, off, s[0:3], 0 offset:120
	v_add_co_u32_e32 v33, vcc, s6, v33
	v_addc_co_u32_e32 v34, vcc, v39, v34, vcc
	flat_load_dwordx2 v[38:39], v[33:34]
	v_mov_b32_e32 v35, 0
	v_mov_b32_e32 v36, 0xbff00000
	s_waitcnt vmcnt(0) lgkmcnt(0)
	buffer_store_dword v39, off, s[0:3], 0 offset:132
	buffer_store_dword v38, off, s[0:3], 0 offset:128
	s_cbranch_scc1 .LBB80_3
; %bb.2:
	v_mov_b32_e32 v35, 0
	v_lshl_add_u32 v46, v0, 3, v35
	buffer_load_dword v35, v46, s[0:3], 0 offen
	buffer_load_dword v36, v46, s[0:3], 0 offen offset:4
	s_waitcnt vmcnt(0)
	v_div_scale_f64 v[38:39], s[4:5], v[35:36], v[35:36], 1.0
	v_rcp_f64_e32 v[40:41], v[38:39]
	v_fma_f64 v[42:43], -v[38:39], v[40:41], 1.0
	v_fma_f64 v[40:41], v[40:41], v[42:43], v[40:41]
	v_div_scale_f64 v[42:43], vcc, 1.0, v[35:36], 1.0
	v_fma_f64 v[44:45], -v[38:39], v[40:41], 1.0
	v_fma_f64 v[40:41], v[40:41], v[44:45], v[40:41]
	v_mul_f64 v[44:45], v[42:43], v[40:41]
	v_fma_f64 v[38:39], -v[38:39], v[44:45], v[42:43]
	v_div_fmas_f64 v[38:39], v[38:39], v[40:41], v[44:45]
	v_div_fixup_f64 v[35:36], v[38:39], v[35:36], 1.0
	buffer_store_dword v35, v46, s[0:3], 0 offen
	buffer_store_dword v36, v46, s[0:3], 0 offen offset:4
	v_xor_b32_e32 v36, 0x80000000, v36
.LBB80_3:
	s_cmpk_eq_i32 s8, 0x79
	v_add_u32_e32 v38, 0x90, v37
	v_mov_b32_e32 v39, v37
	s_mov_b64 s[4:5], -1
	ds_write_b64 v37, v[35:36]
	s_cbranch_scc1 .LBB80_157
; %bb.4:
	buffer_load_dword v35, off, s[0:3], 0 offset:120
	buffer_load_dword v36, off, s[0:3], 0 offset:124
	s_movk_i32 s12, 0x48
	s_movk_i32 s13, 0x50
	;; [unrolled: 1-line block ×6, first 2 shown]
	v_cmp_eq_u32_e64 s[4:5], 16, v0
	s_waitcnt vmcnt(0)
	ds_write_b64 v38, v[35:36]
	s_waitcnt lgkmcnt(0)
	; wave barrier
	s_and_saveexec_b64 s[6:7], s[4:5]
	s_cbranch_execz .LBB80_10
; %bb.5:
	s_and_b64 vcc, exec, s[10:11]
	s_cbranch_vccz .LBB80_7
; %bb.6:
	buffer_load_dword v35, v39, s[0:3], 0 offen
	buffer_load_dword v36, v39, s[0:3], 0 offen offset:4
	ds_read_b64 v[40:41], v38
	s_waitcnt vmcnt(0) lgkmcnt(0)
	v_mul_f64 v[35:36], v[35:36], v[40:41]
	s_cbranch_execz .LBB80_8
	s_branch .LBB80_9
.LBB80_7:
                                        ; implicit-def: $vgpr35_vgpr36
.LBB80_8:
	ds_read_b64 v[35:36], v38
.LBB80_9:
	v_mov_b32_e32 v40, 0
	ds_read_b64 v[40:41], v40 offset:120
	s_waitcnt lgkmcnt(0)
	v_mul_f64 v[35:36], v[35:36], v[40:41]
	buffer_store_dword v36, off, s[0:3], 0 offset:124
	buffer_store_dword v35, off, s[0:3], 0 offset:120
.LBB80_10:
	s_or_b64 exec, exec, s[6:7]
	buffer_load_dword v35, off, s[0:3], 0 offset:112
	buffer_load_dword v36, off, s[0:3], 0 offset:116
	s_or_b32 s14, 0, 8
	s_mov_b32 s15, 16
	s_mov_b32 s16, 24
	;; [unrolled: 1-line block ×9, first 2 shown]
	v_cmp_lt_u32_e64 s[6:7], 14, v0
	s_waitcnt vmcnt(0)
	ds_write_b64 v38, v[35:36]
	s_waitcnt lgkmcnt(0)
	; wave barrier
	s_and_saveexec_b64 s[8:9], s[6:7]
	s_cbranch_execz .LBB80_16
; %bb.11:
	s_andn2_b64 vcc, exec, s[10:11]
	s_cbranch_vccnz .LBB80_13
; %bb.12:
	buffer_load_dword v35, v39, s[0:3], 0 offen
	buffer_load_dword v36, v39, s[0:3], 0 offen offset:4
	ds_read_b64 v[40:41], v38
	s_waitcnt vmcnt(0) lgkmcnt(0)
	v_mul_f64 v[35:36], v[35:36], v[40:41]
	s_cbranch_execz .LBB80_14
	s_branch .LBB80_15
.LBB80_13:
                                        ; implicit-def: $vgpr35_vgpr36
.LBB80_14:
	ds_read_b64 v[35:36], v38
.LBB80_15:
	buffer_load_dword v44, off, s[0:3], 0 offset:120
	buffer_load_dword v45, off, s[0:3], 0 offset:124
	v_mov_b32_e32 v40, 0
	ds_read2_b64 v[40:43], v40 offset0:14 offset1:33
	s_waitcnt vmcnt(0) lgkmcnt(0)
	v_fma_f64 v[42:43], v[44:45], v[42:43], v[35:36]
	v_cndmask_b32_e64 v36, v36, v43, s[4:5]
	v_cndmask_b32_e64 v35, v35, v42, s[4:5]
	v_mul_f64 v[35:36], v[35:36], v[40:41]
	buffer_store_dword v36, off, s[0:3], 0 offset:116
	buffer_store_dword v35, off, s[0:3], 0 offset:112
.LBB80_16:
	s_or_b64 exec, exec, s[8:9]
	buffer_load_dword v35, off, s[0:3], 0 offset:104
	buffer_load_dword v36, off, s[0:3], 0 offset:108
	v_cmp_lt_u32_e64 s[4:5], 13, v0
	s_waitcnt vmcnt(0)
	ds_write_b64 v38, v[35:36]
	s_waitcnt lgkmcnt(0)
	; wave barrier
	s_and_saveexec_b64 s[8:9], s[4:5]
	s_cbranch_execz .LBB80_26
; %bb.17:
	s_andn2_b64 vcc, exec, s[10:11]
	s_cbranch_vccnz .LBB80_19
; %bb.18:
	buffer_load_dword v35, v39, s[0:3], 0 offen
	buffer_load_dword v36, v39, s[0:3], 0 offen offset:4
	ds_read_b64 v[40:41], v38
	s_waitcnt vmcnt(0) lgkmcnt(0)
	v_mul_f64 v[35:36], v[35:36], v[40:41]
	s_cbranch_execz .LBB80_20
	s_branch .LBB80_21
.LBB80_19:
                                        ; implicit-def: $vgpr35_vgpr36
.LBB80_20:
	ds_read_b64 v[35:36], v38
.LBB80_21:
	s_and_saveexec_b64 s[12:13], s[6:7]
	s_cbranch_execz .LBB80_25
; %bb.22:
	v_add_u32_e32 v40, -14, v0
	s_movk_i32 s28, 0x100
	s_mov_b64 s[6:7], 0
.LBB80_23:                              ; =>This Inner Loop Header: Depth=1
	v_mov_b32_e32 v43, s27
	buffer_load_dword v41, v43, s[0:3], 0 offen
	buffer_load_dword v42, v43, s[0:3], 0 offen offset:4
	v_mov_b32_e32 v43, s28
	ds_read_b64 v[43:44], v43
	v_add_u32_e32 v40, -1, v40
	s_add_i32 s28, s28, 8
	s_add_i32 s27, s27, 8
	v_cmp_eq_u32_e32 vcc, 0, v40
	s_or_b64 s[6:7], vcc, s[6:7]
	s_waitcnt vmcnt(0) lgkmcnt(0)
	v_fma_f64 v[35:36], v[41:42], v[43:44], v[35:36]
	s_andn2_b64 exec, exec, s[6:7]
	s_cbranch_execnz .LBB80_23
; %bb.24:
	s_or_b64 exec, exec, s[6:7]
.LBB80_25:
	s_or_b64 exec, exec, s[12:13]
	v_mov_b32_e32 v40, 0
	ds_read_b64 v[40:41], v40 offset:104
	s_waitcnt lgkmcnt(0)
	v_mul_f64 v[35:36], v[35:36], v[40:41]
	buffer_store_dword v36, off, s[0:3], 0 offset:108
	buffer_store_dword v35, off, s[0:3], 0 offset:104
.LBB80_26:
	s_or_b64 exec, exec, s[8:9]
	buffer_load_dword v35, off, s[0:3], 0 offset:96
	buffer_load_dword v36, off, s[0:3], 0 offset:100
	v_cmp_lt_u32_e64 s[6:7], 12, v0
	s_waitcnt vmcnt(0)
	ds_write_b64 v38, v[35:36]
	s_waitcnt lgkmcnt(0)
	; wave barrier
	s_and_saveexec_b64 s[8:9], s[6:7]
	s_cbranch_execz .LBB80_36
; %bb.27:
	s_andn2_b64 vcc, exec, s[10:11]
	s_cbranch_vccnz .LBB80_29
; %bb.28:
	buffer_load_dword v35, v39, s[0:3], 0 offen
	buffer_load_dword v36, v39, s[0:3], 0 offen offset:4
	ds_read_b64 v[40:41], v38
	s_waitcnt vmcnt(0) lgkmcnt(0)
	v_mul_f64 v[35:36], v[35:36], v[40:41]
	s_cbranch_execz .LBB80_30
	s_branch .LBB80_31
.LBB80_29:
                                        ; implicit-def: $vgpr35_vgpr36
.LBB80_30:
	ds_read_b64 v[35:36], v38
.LBB80_31:
	s_and_saveexec_b64 s[12:13], s[4:5]
	s_cbranch_execz .LBB80_35
; %bb.32:
	v_add_u32_e32 v40, -13, v0
	s_movk_i32 s27, 0xf8
	s_mov_b64 s[4:5], 0
.LBB80_33:                              ; =>This Inner Loop Header: Depth=1
	v_mov_b32_e32 v43, s26
	buffer_load_dword v41, v43, s[0:3], 0 offen
	buffer_load_dword v42, v43, s[0:3], 0 offen offset:4
	v_mov_b32_e32 v43, s27
	ds_read_b64 v[43:44], v43
	v_add_u32_e32 v40, -1, v40
	s_add_i32 s27, s27, 8
	s_add_i32 s26, s26, 8
	v_cmp_eq_u32_e32 vcc, 0, v40
	s_or_b64 s[4:5], vcc, s[4:5]
	s_waitcnt vmcnt(0) lgkmcnt(0)
	v_fma_f64 v[35:36], v[41:42], v[43:44], v[35:36]
	s_andn2_b64 exec, exec, s[4:5]
	s_cbranch_execnz .LBB80_33
; %bb.34:
	s_or_b64 exec, exec, s[4:5]
.LBB80_35:
	s_or_b64 exec, exec, s[12:13]
	v_mov_b32_e32 v40, 0
	ds_read_b64 v[40:41], v40 offset:96
	s_waitcnt lgkmcnt(0)
	v_mul_f64 v[35:36], v[35:36], v[40:41]
	buffer_store_dword v36, off, s[0:3], 0 offset:100
	buffer_store_dword v35, off, s[0:3], 0 offset:96
.LBB80_36:
	;; [unrolled: 58-line block ×8, first 2 shown]
	s_or_b64 exec, exec, s[8:9]
	buffer_load_dword v35, off, s[0:3], 0 offset:40
	buffer_load_dword v36, off, s[0:3], 0 offset:44
	v_cmp_lt_u32_e64 s[4:5], 5, v0
	s_waitcnt vmcnt(0)
	ds_write_b64 v38, v[35:36]
	s_waitcnt lgkmcnt(0)
	; wave barrier
	s_and_saveexec_b64 s[8:9], s[4:5]
	s_cbranch_execz .LBB80_106
; %bb.97:
	s_andn2_b64 vcc, exec, s[10:11]
	s_cbranch_vccnz .LBB80_99
; %bb.98:
	buffer_load_dword v35, v39, s[0:3], 0 offen
	buffer_load_dword v36, v39, s[0:3], 0 offen offset:4
	ds_read_b64 v[40:41], v38
	s_waitcnt vmcnt(0) lgkmcnt(0)
	v_mul_f64 v[35:36], v[35:36], v[40:41]
	s_cbranch_execz .LBB80_100
	s_branch .LBB80_101
.LBB80_99:
                                        ; implicit-def: $vgpr35_vgpr36
.LBB80_100:
	ds_read_b64 v[35:36], v38
.LBB80_101:
	s_and_saveexec_b64 s[12:13], s[6:7]
	s_cbranch_execz .LBB80_105
; %bb.102:
	v_add_u32_e32 v40, -6, v0
	s_movk_i32 s20, 0xc0
	s_mov_b64 s[6:7], 0
.LBB80_103:                             ; =>This Inner Loop Header: Depth=1
	v_mov_b32_e32 v43, s19
	buffer_load_dword v41, v43, s[0:3], 0 offen
	buffer_load_dword v42, v43, s[0:3], 0 offen offset:4
	v_mov_b32_e32 v43, s20
	ds_read_b64 v[43:44], v43
	v_add_u32_e32 v40, -1, v40
	s_add_i32 s20, s20, 8
	s_add_i32 s19, s19, 8
	v_cmp_eq_u32_e32 vcc, 0, v40
	s_or_b64 s[6:7], vcc, s[6:7]
	s_waitcnt vmcnt(0) lgkmcnt(0)
	v_fma_f64 v[35:36], v[41:42], v[43:44], v[35:36]
	s_andn2_b64 exec, exec, s[6:7]
	s_cbranch_execnz .LBB80_103
; %bb.104:
	s_or_b64 exec, exec, s[6:7]
.LBB80_105:
	s_or_b64 exec, exec, s[12:13]
	v_mov_b32_e32 v40, 0
	ds_read_b64 v[40:41], v40 offset:40
	s_waitcnt lgkmcnt(0)
	v_mul_f64 v[35:36], v[35:36], v[40:41]
	buffer_store_dword v36, off, s[0:3], 0 offset:44
	buffer_store_dword v35, off, s[0:3], 0 offset:40
.LBB80_106:
	s_or_b64 exec, exec, s[8:9]
	buffer_load_dword v35, off, s[0:3], 0 offset:32
	buffer_load_dword v36, off, s[0:3], 0 offset:36
	v_cmp_lt_u32_e64 s[6:7], 4, v0
	s_waitcnt vmcnt(0)
	ds_write_b64 v38, v[35:36]
	s_waitcnt lgkmcnt(0)
	; wave barrier
	s_and_saveexec_b64 s[8:9], s[6:7]
	s_cbranch_execz .LBB80_116
; %bb.107:
	s_andn2_b64 vcc, exec, s[10:11]
	s_cbranch_vccnz .LBB80_109
; %bb.108:
	buffer_load_dword v35, v39, s[0:3], 0 offen
	buffer_load_dword v36, v39, s[0:3], 0 offen offset:4
	ds_read_b64 v[40:41], v38
	s_waitcnt vmcnt(0) lgkmcnt(0)
	v_mul_f64 v[35:36], v[35:36], v[40:41]
	s_cbranch_execz .LBB80_110
	s_branch .LBB80_111
.LBB80_109:
                                        ; implicit-def: $vgpr35_vgpr36
.LBB80_110:
	ds_read_b64 v[35:36], v38
.LBB80_111:
	s_and_saveexec_b64 s[12:13], s[4:5]
	s_cbranch_execz .LBB80_115
; %bb.112:
	v_add_u32_e32 v40, -5, v0
	s_movk_i32 s19, 0xb8
	s_mov_b64 s[4:5], 0
.LBB80_113:                             ; =>This Inner Loop Header: Depth=1
	v_mov_b32_e32 v43, s18
	buffer_load_dword v41, v43, s[0:3], 0 offen
	buffer_load_dword v42, v43, s[0:3], 0 offen offset:4
	v_mov_b32_e32 v43, s19
	ds_read_b64 v[43:44], v43
	v_add_u32_e32 v40, -1, v40
	s_add_i32 s19, s19, 8
	s_add_i32 s18, s18, 8
	v_cmp_eq_u32_e32 vcc, 0, v40
	s_or_b64 s[4:5], vcc, s[4:5]
	s_waitcnt vmcnt(0) lgkmcnt(0)
	v_fma_f64 v[35:36], v[41:42], v[43:44], v[35:36]
	s_andn2_b64 exec, exec, s[4:5]
	s_cbranch_execnz .LBB80_113
; %bb.114:
	s_or_b64 exec, exec, s[4:5]
.LBB80_115:
	s_or_b64 exec, exec, s[12:13]
	v_mov_b32_e32 v40, 0
	ds_read_b64 v[40:41], v40 offset:32
	s_waitcnt lgkmcnt(0)
	v_mul_f64 v[35:36], v[35:36], v[40:41]
	buffer_store_dword v36, off, s[0:3], 0 offset:36
	buffer_store_dword v35, off, s[0:3], 0 offset:32
.LBB80_116:
	;; [unrolled: 58-line block ×5, first 2 shown]
	s_or_b64 exec, exec, s[8:9]
	buffer_load_dword v35, off, s[0:3], 0
	buffer_load_dword v36, off, s[0:3], 0 offset:4
	v_cmp_ne_u32_e32 vcc, 0, v0
	s_waitcnt vmcnt(0)
	ds_write_b64 v38, v[35:36]
	s_waitcnt lgkmcnt(0)
	; wave barrier
	s_and_saveexec_b64 s[6:7], vcc
	s_cbranch_execz .LBB80_156
; %bb.147:
	s_andn2_b64 vcc, exec, s[10:11]
	s_cbranch_vccnz .LBB80_149
; %bb.148:
	buffer_load_dword v35, v39, s[0:3], 0 offen
	buffer_load_dword v36, v39, s[0:3], 0 offen offset:4
	ds_read_b64 v[40:41], v38
	s_waitcnt vmcnt(0) lgkmcnt(0)
	v_mul_f64 v[35:36], v[35:36], v[40:41]
	s_cbranch_execz .LBB80_150
	s_branch .LBB80_151
.LBB80_149:
                                        ; implicit-def: $vgpr35_vgpr36
.LBB80_150:
	ds_read_b64 v[35:36], v38
.LBB80_151:
	s_and_saveexec_b64 s[8:9], s[4:5]
	s_cbranch_execz .LBB80_155
; %bb.152:
	v_add_u32_e32 v40, -1, v0
	s_movk_i32 s12, 0x98
	s_mov_b64 s[4:5], 0
.LBB80_153:                             ; =>This Inner Loop Header: Depth=1
	v_mov_b32_e32 v43, s14
	buffer_load_dword v41, v43, s[0:3], 0 offen
	buffer_load_dword v42, v43, s[0:3], 0 offen offset:4
	v_mov_b32_e32 v43, s12
	ds_read_b64 v[43:44], v43
	v_add_u32_e32 v40, -1, v40
	s_add_i32 s12, s12, 8
	s_add_i32 s14, s14, 8
	v_cmp_eq_u32_e32 vcc, 0, v40
	s_or_b64 s[4:5], vcc, s[4:5]
	s_waitcnt vmcnt(0) lgkmcnt(0)
	v_fma_f64 v[35:36], v[41:42], v[43:44], v[35:36]
	s_andn2_b64 exec, exec, s[4:5]
	s_cbranch_execnz .LBB80_153
; %bb.154:
	s_or_b64 exec, exec, s[4:5]
.LBB80_155:
	s_or_b64 exec, exec, s[8:9]
	v_mov_b32_e32 v40, 0
	ds_read_b64 v[40:41], v40
	s_waitcnt lgkmcnt(0)
	v_mul_f64 v[35:36], v[35:36], v[40:41]
	buffer_store_dword v36, off, s[0:3], 0 offset:4
	buffer_store_dword v35, off, s[0:3], 0
.LBB80_156:
	s_or_b64 exec, exec, s[6:7]
	s_mov_b64 s[4:5], 0
.LBB80_157:
	s_and_b64 vcc, exec, s[4:5]
	s_cbranch_vccz .LBB80_309
; %bb.158:
	buffer_load_dword v35, off, s[0:3], 0 offset:8
	buffer_load_dword v36, off, s[0:3], 0 offset:12
	v_cmp_eq_u32_e64 s[6:7], 0, v0
	s_waitcnt vmcnt(0)
	ds_write_b64 v38, v[35:36]
	s_waitcnt lgkmcnt(0)
	; wave barrier
	s_and_saveexec_b64 s[4:5], s[6:7]
	s_cbranch_execz .LBB80_164
; %bb.159:
	s_and_b64 vcc, exec, s[10:11]
	s_cbranch_vccz .LBB80_161
; %bb.160:
	buffer_load_dword v35, v39, s[0:3], 0 offen
	buffer_load_dword v36, v39, s[0:3], 0 offen offset:4
	ds_read_b64 v[40:41], v38
	s_waitcnt vmcnt(0) lgkmcnt(0)
	v_mul_f64 v[35:36], v[35:36], v[40:41]
	s_cbranch_execz .LBB80_162
	s_branch .LBB80_163
.LBB80_161:
                                        ; implicit-def: $vgpr35_vgpr36
.LBB80_162:
	ds_read_b64 v[35:36], v38
.LBB80_163:
	v_mov_b32_e32 v40, 0
	ds_read_b64 v[40:41], v40 offset:8
	s_waitcnt lgkmcnt(0)
	v_mul_f64 v[35:36], v[35:36], v[40:41]
	buffer_store_dword v36, off, s[0:3], 0 offset:12
	buffer_store_dword v35, off, s[0:3], 0 offset:8
.LBB80_164:
	s_or_b64 exec, exec, s[4:5]
	buffer_load_dword v35, off, s[0:3], 0 offset:16
	buffer_load_dword v36, off, s[0:3], 0 offset:20
	v_cndmask_b32_e64 v40, 0, 1, s[10:11]
	v_cmp_gt_u32_e32 vcc, 2, v0
	v_cmp_ne_u32_e64 s[4:5], 1, v40
	s_waitcnt vmcnt(0)
	ds_write_b64 v38, v[35:36]
	s_waitcnt lgkmcnt(0)
	; wave barrier
	s_and_saveexec_b64 s[8:9], vcc
	s_cbranch_execz .LBB80_170
; %bb.165:
	s_and_b64 vcc, exec, s[4:5]
	s_cbranch_vccnz .LBB80_167
; %bb.166:
	buffer_load_dword v35, v39, s[0:3], 0 offen
	buffer_load_dword v36, v39, s[0:3], 0 offen offset:4
	ds_read_b64 v[40:41], v38
	s_waitcnt vmcnt(0) lgkmcnt(0)
	v_mul_f64 v[35:36], v[35:36], v[40:41]
	s_cbranch_execz .LBB80_168
	s_branch .LBB80_169
.LBB80_167:
                                        ; implicit-def: $vgpr35_vgpr36
.LBB80_168:
	ds_read_b64 v[35:36], v38
.LBB80_169:
	buffer_load_dword v44, off, s[0:3], 0 offset:8
	buffer_load_dword v45, off, s[0:3], 0 offset:12
	v_mov_b32_e32 v40, 0
	ds_read2_b64 v[40:43], v40 offset0:2 offset1:19
	s_waitcnt vmcnt(0) lgkmcnt(0)
	v_fma_f64 v[42:43], v[44:45], v[42:43], v[35:36]
	v_cndmask_b32_e64 v36, v36, v43, s[6:7]
	v_cndmask_b32_e64 v35, v35, v42, s[6:7]
	v_mul_f64 v[35:36], v[35:36], v[40:41]
	buffer_store_dword v36, off, s[0:3], 0 offset:20
	buffer_store_dword v35, off, s[0:3], 0 offset:16
.LBB80_170:
	s_or_b64 exec, exec, s[8:9]
	buffer_load_dword v35, off, s[0:3], 0 offset:24
	buffer_load_dword v36, off, s[0:3], 0 offset:28
	v_cmp_gt_u32_e32 vcc, 3, v0
	s_waitcnt vmcnt(0)
	ds_write_b64 v38, v[35:36]
	s_waitcnt lgkmcnt(0)
	; wave barrier
	s_and_saveexec_b64 s[8:9], vcc
	s_cbranch_execz .LBB80_178
; %bb.171:
	s_and_b64 vcc, exec, s[4:5]
	s_cbranch_vccnz .LBB80_173
; %bb.172:
	buffer_load_dword v35, v39, s[0:3], 0 offen
	buffer_load_dword v36, v39, s[0:3], 0 offen offset:4
	ds_read_b64 v[40:41], v38
	s_waitcnt vmcnt(0) lgkmcnt(0)
	v_mul_f64 v[35:36], v[35:36], v[40:41]
	s_cbranch_execz .LBB80_174
	s_branch .LBB80_175
.LBB80_173:
                                        ; implicit-def: $vgpr35_vgpr36
.LBB80_174:
	ds_read_b64 v[35:36], v38
.LBB80_175:
	v_cmp_ne_u32_e32 vcc, 2, v0
	s_and_saveexec_b64 s[10:11], vcc
	s_cbranch_execz .LBB80_177
; %bb.176:
	buffer_load_dword v40, v39, s[0:3], 0 offen offset:8
	buffer_load_dword v41, v39, s[0:3], 0 offen offset:12
	buffer_load_dword v42, off, s[0:3], 0 offset:16
	buffer_load_dword v43, off, s[0:3], 0 offset:20
	ds_read_b64 v[44:45], v38 offset:8
	v_mov_b32_e32 v46, 0
	ds_read_b64 v[46:47], v46 offset:160
	s_waitcnt vmcnt(2) lgkmcnt(1)
	v_fma_f64 v[35:36], v[40:41], v[44:45], v[35:36]
	s_waitcnt vmcnt(0) lgkmcnt(0)
	v_fma_f64 v[40:41], v[42:43], v[46:47], v[35:36]
	v_cndmask_b32_e64 v36, v36, v41, s[6:7]
	v_cndmask_b32_e64 v35, v35, v40, s[6:7]
.LBB80_177:
	s_or_b64 exec, exec, s[10:11]
	v_mov_b32_e32 v40, 0
	ds_read_b64 v[40:41], v40 offset:24
	s_waitcnt lgkmcnt(0)
	v_mul_f64 v[35:36], v[35:36], v[40:41]
	buffer_store_dword v36, off, s[0:3], 0 offset:28
	buffer_store_dword v35, off, s[0:3], 0 offset:24
.LBB80_178:
	s_or_b64 exec, exec, s[8:9]
	buffer_load_dword v35, off, s[0:3], 0 offset:32
	buffer_load_dword v36, off, s[0:3], 0 offset:36
	v_cmp_gt_u32_e32 vcc, 4, v0
	s_waitcnt vmcnt(0)
	ds_write_b64 v38, v[35:36]
	s_waitcnt lgkmcnt(0)
	; wave barrier
	s_and_saveexec_b64 s[6:7], vcc
	s_cbranch_execz .LBB80_188
; %bb.179:
	s_and_b64 vcc, exec, s[4:5]
	s_cbranch_vccnz .LBB80_181
; %bb.180:
	buffer_load_dword v35, v39, s[0:3], 0 offen
	buffer_load_dword v36, v39, s[0:3], 0 offen offset:4
	ds_read_b64 v[40:41], v38
	s_waitcnt vmcnt(0) lgkmcnt(0)
	v_mul_f64 v[35:36], v[35:36], v[40:41]
	s_cbranch_execz .LBB80_182
	s_branch .LBB80_183
.LBB80_181:
                                        ; implicit-def: $vgpr35_vgpr36
.LBB80_182:
	ds_read_b64 v[35:36], v38
.LBB80_183:
	v_cmp_ne_u32_e32 vcc, 3, v0
	s_and_saveexec_b64 s[8:9], vcc
	s_cbranch_execz .LBB80_187
; %bb.184:
	s_mov_b32 s10, 0
	v_add_u32_e32 v40, 0x98, v37
	v_add3_u32 v41, v37, s10, 8
	s_mov_b64 s[10:11], 0
	v_mov_b32_e32 v42, v0
.LBB80_185:                             ; =>This Inner Loop Header: Depth=1
	buffer_load_dword v43, v41, s[0:3], 0 offen
	buffer_load_dword v44, v41, s[0:3], 0 offen offset:4
	ds_read_b64 v[45:46], v40
	v_add_u32_e32 v42, 1, v42
	v_cmp_lt_u32_e32 vcc, 2, v42
	v_add_u32_e32 v40, 8, v40
	s_or_b64 s[10:11], vcc, s[10:11]
	v_add_u32_e32 v41, 8, v41
	s_waitcnt vmcnt(0) lgkmcnt(0)
	v_fma_f64 v[35:36], v[43:44], v[45:46], v[35:36]
	s_andn2_b64 exec, exec, s[10:11]
	s_cbranch_execnz .LBB80_185
; %bb.186:
	s_or_b64 exec, exec, s[10:11]
.LBB80_187:
	s_or_b64 exec, exec, s[8:9]
	v_mov_b32_e32 v40, 0
	ds_read_b64 v[40:41], v40 offset:32
	s_waitcnt lgkmcnt(0)
	v_mul_f64 v[35:36], v[35:36], v[40:41]
	buffer_store_dword v36, off, s[0:3], 0 offset:36
	buffer_store_dword v35, off, s[0:3], 0 offset:32
.LBB80_188:
	s_or_b64 exec, exec, s[6:7]
	buffer_load_dword v35, off, s[0:3], 0 offset:40
	buffer_load_dword v36, off, s[0:3], 0 offset:44
	v_cmp_gt_u32_e32 vcc, 5, v0
	s_waitcnt vmcnt(0)
	ds_write_b64 v38, v[35:36]
	s_waitcnt lgkmcnt(0)
	; wave barrier
	s_and_saveexec_b64 s[6:7], vcc
	s_cbranch_execz .LBB80_198
; %bb.189:
	s_and_b64 vcc, exec, s[4:5]
	s_cbranch_vccnz .LBB80_191
; %bb.190:
	buffer_load_dword v35, v39, s[0:3], 0 offen
	buffer_load_dword v36, v39, s[0:3], 0 offen offset:4
	ds_read_b64 v[40:41], v38
	s_waitcnt vmcnt(0) lgkmcnt(0)
	v_mul_f64 v[35:36], v[35:36], v[40:41]
	s_cbranch_execz .LBB80_192
	s_branch .LBB80_193
.LBB80_191:
                                        ; implicit-def: $vgpr35_vgpr36
.LBB80_192:
	ds_read_b64 v[35:36], v38
.LBB80_193:
	v_cmp_ne_u32_e32 vcc, 4, v0
	s_and_saveexec_b64 s[8:9], vcc
	s_cbranch_execz .LBB80_197
; %bb.194:
	s_mov_b32 s10, 0
	v_add_u32_e32 v40, 0x98, v37
	v_add3_u32 v41, v37, s10, 8
	s_mov_b64 s[10:11], 0
	v_mov_b32_e32 v42, v0
.LBB80_195:                             ; =>This Inner Loop Header: Depth=1
	buffer_load_dword v43, v41, s[0:3], 0 offen
	buffer_load_dword v44, v41, s[0:3], 0 offen offset:4
	ds_read_b64 v[45:46], v40
	v_add_u32_e32 v42, 1, v42
	v_cmp_lt_u32_e32 vcc, 3, v42
	v_add_u32_e32 v40, 8, v40
	s_or_b64 s[10:11], vcc, s[10:11]
	v_add_u32_e32 v41, 8, v41
	s_waitcnt vmcnt(0) lgkmcnt(0)
	v_fma_f64 v[35:36], v[43:44], v[45:46], v[35:36]
	s_andn2_b64 exec, exec, s[10:11]
	s_cbranch_execnz .LBB80_195
; %bb.196:
	s_or_b64 exec, exec, s[10:11]
.LBB80_197:
	s_or_b64 exec, exec, s[8:9]
	v_mov_b32_e32 v40, 0
	ds_read_b64 v[40:41], v40 offset:40
	s_waitcnt lgkmcnt(0)
	v_mul_f64 v[35:36], v[35:36], v[40:41]
	buffer_store_dword v36, off, s[0:3], 0 offset:44
	buffer_store_dword v35, off, s[0:3], 0 offset:40
.LBB80_198:
	;; [unrolled: 59-line block ×11, first 2 shown]
	s_or_b64 exec, exec, s[6:7]
	buffer_load_dword v35, off, s[0:3], 0 offset:120
	buffer_load_dword v36, off, s[0:3], 0 offset:124
	v_cmp_gt_u32_e64 s[6:7], 15, v0
	s_waitcnt vmcnt(0)
	ds_write_b64 v38, v[35:36]
	s_waitcnt lgkmcnt(0)
	; wave barrier
	s_and_saveexec_b64 s[8:9], s[6:7]
	s_cbranch_execz .LBB80_298
; %bb.289:
	s_and_b64 vcc, exec, s[4:5]
	s_cbranch_vccnz .LBB80_291
; %bb.290:
	buffer_load_dword v35, v39, s[0:3], 0 offen
	buffer_load_dword v36, v39, s[0:3], 0 offen offset:4
	ds_read_b64 v[40:41], v38
	s_waitcnt vmcnt(0) lgkmcnt(0)
	v_mul_f64 v[35:36], v[35:36], v[40:41]
	s_cbranch_execz .LBB80_292
	s_branch .LBB80_293
.LBB80_291:
                                        ; implicit-def: $vgpr35_vgpr36
.LBB80_292:
	ds_read_b64 v[35:36], v38
.LBB80_293:
	v_cmp_ne_u32_e32 vcc, 14, v0
	s_and_saveexec_b64 s[10:11], vcc
	s_cbranch_execz .LBB80_297
; %bb.294:
	s_mov_b32 s12, 0
	v_add_u32_e32 v40, 0x98, v37
	v_add3_u32 v41, v37, s12, 8
	s_mov_b64 s[12:13], 0
	v_mov_b32_e32 v42, v0
.LBB80_295:                             ; =>This Inner Loop Header: Depth=1
	buffer_load_dword v43, v41, s[0:3], 0 offen
	buffer_load_dword v44, v41, s[0:3], 0 offen offset:4
	ds_read_b64 v[45:46], v40
	v_add_u32_e32 v42, 1, v42
	v_cmp_lt_u32_e32 vcc, 13, v42
	v_add_u32_e32 v40, 8, v40
	s_or_b64 s[12:13], vcc, s[12:13]
	v_add_u32_e32 v41, 8, v41
	s_waitcnt vmcnt(0) lgkmcnt(0)
	v_fma_f64 v[35:36], v[43:44], v[45:46], v[35:36]
	s_andn2_b64 exec, exec, s[12:13]
	s_cbranch_execnz .LBB80_295
; %bb.296:
	s_or_b64 exec, exec, s[12:13]
.LBB80_297:
	s_or_b64 exec, exec, s[10:11]
	v_mov_b32_e32 v40, 0
	ds_read_b64 v[40:41], v40 offset:120
	s_waitcnt lgkmcnt(0)
	v_mul_f64 v[35:36], v[35:36], v[40:41]
	buffer_store_dword v36, off, s[0:3], 0 offset:124
	buffer_store_dword v35, off, s[0:3], 0 offset:120
.LBB80_298:
	s_or_b64 exec, exec, s[8:9]
	buffer_load_dword v35, off, s[0:3], 0 offset:128
	buffer_load_dword v36, off, s[0:3], 0 offset:132
	v_cmp_ne_u32_e32 vcc, 16, v0
	s_waitcnt vmcnt(0)
	ds_write_b64 v38, v[35:36]
	s_waitcnt lgkmcnt(0)
	; wave barrier
	s_and_saveexec_b64 s[8:9], vcc
	s_cbranch_execz .LBB80_308
; %bb.299:
	s_and_b64 vcc, exec, s[4:5]
	s_cbranch_vccnz .LBB80_301
; %bb.300:
	buffer_load_dword v35, v39, s[0:3], 0 offen
	buffer_load_dword v36, v39, s[0:3], 0 offen offset:4
	ds_read_b64 v[39:40], v38
	s_waitcnt vmcnt(0) lgkmcnt(0)
	v_mul_f64 v[35:36], v[35:36], v[39:40]
	s_cbranch_execz .LBB80_302
	s_branch .LBB80_303
.LBB80_301:
                                        ; implicit-def: $vgpr35_vgpr36
.LBB80_302:
	ds_read_b64 v[35:36], v38
.LBB80_303:
	s_and_saveexec_b64 s[4:5], s[6:7]
	s_cbranch_execz .LBB80_307
; %bb.304:
	s_mov_b32 s6, 0
	v_add_u32_e32 v38, 0x98, v37
	v_add3_u32 v37, v37, s6, 8
	s_mov_b64 s[6:7], 0
.LBB80_305:                             ; =>This Inner Loop Header: Depth=1
	buffer_load_dword v39, v37, s[0:3], 0 offen
	buffer_load_dword v40, v37, s[0:3], 0 offen offset:4
	ds_read_b64 v[41:42], v38
	v_add_u32_e32 v0, 1, v0
	v_cmp_lt_u32_e32 vcc, 14, v0
	v_add_u32_e32 v38, 8, v38
	s_or_b64 s[6:7], vcc, s[6:7]
	v_add_u32_e32 v37, 8, v37
	s_waitcnt vmcnt(0) lgkmcnt(0)
	v_fma_f64 v[35:36], v[39:40], v[41:42], v[35:36]
	s_andn2_b64 exec, exec, s[6:7]
	s_cbranch_execnz .LBB80_305
; %bb.306:
	s_or_b64 exec, exec, s[6:7]
.LBB80_307:
	s_or_b64 exec, exec, s[4:5]
	v_mov_b32_e32 v0, 0
	ds_read_b64 v[37:38], v0 offset:128
	s_waitcnt lgkmcnt(0)
	v_mul_f64 v[35:36], v[35:36], v[37:38]
	buffer_store_dword v36, off, s[0:3], 0 offset:132
	buffer_store_dword v35, off, s[0:3], 0 offset:128
.LBB80_308:
	s_or_b64 exec, exec, s[8:9]
.LBB80_309:
	buffer_load_dword v35, off, s[0:3], 0
	buffer_load_dword v36, off, s[0:3], 0 offset:4
	s_waitcnt vmcnt(0)
	flat_store_dwordx2 v[1:2], v[35:36]
	buffer_load_dword v0, off, s[0:3], 0 offset:8
	s_nop 0
	buffer_load_dword v1, off, s[0:3], 0 offset:12
	s_waitcnt vmcnt(0)
	flat_store_dwordx2 v[3:4], v[0:1]
	buffer_load_dword v0, off, s[0:3], 0 offset:16
	s_nop 0
	;; [unrolled: 5-line block ×16, first 2 shown]
	buffer_load_dword v1, off, s[0:3], 0 offset:132
	s_waitcnt vmcnt(0)
	flat_store_dwordx2 v[33:34], v[0:1]
.LBB80_310:
	s_endpgm
	.section	.rodata,"a",@progbits
	.p2align	6, 0x0
	.amdhsa_kernel _ZN9rocsolver6v33100L18trti2_kernel_smallILi17EdPKPdEEv13rocblas_fill_17rocblas_diagonal_T1_iil
		.amdhsa_group_segment_fixed_size 280
		.amdhsa_private_segment_fixed_size 144
		.amdhsa_kernarg_size 32
		.amdhsa_user_sgpr_count 6
		.amdhsa_user_sgpr_private_segment_buffer 1
		.amdhsa_user_sgpr_dispatch_ptr 0
		.amdhsa_user_sgpr_queue_ptr 0
		.amdhsa_user_sgpr_kernarg_segment_ptr 1
		.amdhsa_user_sgpr_dispatch_id 0
		.amdhsa_user_sgpr_flat_scratch_init 0
		.amdhsa_user_sgpr_private_segment_size 0
		.amdhsa_uses_dynamic_stack 0
		.amdhsa_system_sgpr_private_segment_wavefront_offset 1
		.amdhsa_system_sgpr_workgroup_id_x 1
		.amdhsa_system_sgpr_workgroup_id_y 0
		.amdhsa_system_sgpr_workgroup_id_z 0
		.amdhsa_system_sgpr_workgroup_info 0
		.amdhsa_system_vgpr_workitem_id 0
		.amdhsa_next_free_vgpr 48
		.amdhsa_next_free_sgpr 29
		.amdhsa_reserve_vcc 1
		.amdhsa_reserve_flat_scratch 0
		.amdhsa_float_round_mode_32 0
		.amdhsa_float_round_mode_16_64 0
		.amdhsa_float_denorm_mode_32 3
		.amdhsa_float_denorm_mode_16_64 3
		.amdhsa_dx10_clamp 1
		.amdhsa_ieee_mode 1
		.amdhsa_fp16_overflow 0
		.amdhsa_exception_fp_ieee_invalid_op 0
		.amdhsa_exception_fp_denorm_src 0
		.amdhsa_exception_fp_ieee_div_zero 0
		.amdhsa_exception_fp_ieee_overflow 0
		.amdhsa_exception_fp_ieee_underflow 0
		.amdhsa_exception_fp_ieee_inexact 0
		.amdhsa_exception_int_div_zero 0
	.end_amdhsa_kernel
	.section	.text._ZN9rocsolver6v33100L18trti2_kernel_smallILi17EdPKPdEEv13rocblas_fill_17rocblas_diagonal_T1_iil,"axG",@progbits,_ZN9rocsolver6v33100L18trti2_kernel_smallILi17EdPKPdEEv13rocblas_fill_17rocblas_diagonal_T1_iil,comdat
.Lfunc_end80:
	.size	_ZN9rocsolver6v33100L18trti2_kernel_smallILi17EdPKPdEEv13rocblas_fill_17rocblas_diagonal_T1_iil, .Lfunc_end80-_ZN9rocsolver6v33100L18trti2_kernel_smallILi17EdPKPdEEv13rocblas_fill_17rocblas_diagonal_T1_iil
                                        ; -- End function
	.set _ZN9rocsolver6v33100L18trti2_kernel_smallILi17EdPKPdEEv13rocblas_fill_17rocblas_diagonal_T1_iil.num_vgpr, 48
	.set _ZN9rocsolver6v33100L18trti2_kernel_smallILi17EdPKPdEEv13rocblas_fill_17rocblas_diagonal_T1_iil.num_agpr, 0
	.set _ZN9rocsolver6v33100L18trti2_kernel_smallILi17EdPKPdEEv13rocblas_fill_17rocblas_diagonal_T1_iil.numbered_sgpr, 29
	.set _ZN9rocsolver6v33100L18trti2_kernel_smallILi17EdPKPdEEv13rocblas_fill_17rocblas_diagonal_T1_iil.num_named_barrier, 0
	.set _ZN9rocsolver6v33100L18trti2_kernel_smallILi17EdPKPdEEv13rocblas_fill_17rocblas_diagonal_T1_iil.private_seg_size, 144
	.set _ZN9rocsolver6v33100L18trti2_kernel_smallILi17EdPKPdEEv13rocblas_fill_17rocblas_diagonal_T1_iil.uses_vcc, 1
	.set _ZN9rocsolver6v33100L18trti2_kernel_smallILi17EdPKPdEEv13rocblas_fill_17rocblas_diagonal_T1_iil.uses_flat_scratch, 0
	.set _ZN9rocsolver6v33100L18trti2_kernel_smallILi17EdPKPdEEv13rocblas_fill_17rocblas_diagonal_T1_iil.has_dyn_sized_stack, 0
	.set _ZN9rocsolver6v33100L18trti2_kernel_smallILi17EdPKPdEEv13rocblas_fill_17rocblas_diagonal_T1_iil.has_recursion, 0
	.set _ZN9rocsolver6v33100L18trti2_kernel_smallILi17EdPKPdEEv13rocblas_fill_17rocblas_diagonal_T1_iil.has_indirect_call, 0
	.section	.AMDGPU.csdata,"",@progbits
; Kernel info:
; codeLenInByte = 9704
; TotalNumSgprs: 33
; NumVgprs: 48
; ScratchSize: 144
; MemoryBound: 0
; FloatMode: 240
; IeeeMode: 1
; LDSByteSize: 280 bytes/workgroup (compile time only)
; SGPRBlocks: 4
; VGPRBlocks: 11
; NumSGPRsForWavesPerEU: 33
; NumVGPRsForWavesPerEU: 48
; Occupancy: 5
; WaveLimiterHint : 1
; COMPUTE_PGM_RSRC2:SCRATCH_EN: 1
; COMPUTE_PGM_RSRC2:USER_SGPR: 6
; COMPUTE_PGM_RSRC2:TRAP_HANDLER: 0
; COMPUTE_PGM_RSRC2:TGID_X_EN: 1
; COMPUTE_PGM_RSRC2:TGID_Y_EN: 0
; COMPUTE_PGM_RSRC2:TGID_Z_EN: 0
; COMPUTE_PGM_RSRC2:TIDIG_COMP_CNT: 0
	.section	.text._ZN9rocsolver6v33100L18trti2_kernel_smallILi18EdPKPdEEv13rocblas_fill_17rocblas_diagonal_T1_iil,"axG",@progbits,_ZN9rocsolver6v33100L18trti2_kernel_smallILi18EdPKPdEEv13rocblas_fill_17rocblas_diagonal_T1_iil,comdat
	.globl	_ZN9rocsolver6v33100L18trti2_kernel_smallILi18EdPKPdEEv13rocblas_fill_17rocblas_diagonal_T1_iil ; -- Begin function _ZN9rocsolver6v33100L18trti2_kernel_smallILi18EdPKPdEEv13rocblas_fill_17rocblas_diagonal_T1_iil
	.p2align	8
	.type	_ZN9rocsolver6v33100L18trti2_kernel_smallILi18EdPKPdEEv13rocblas_fill_17rocblas_diagonal_T1_iil,@function
_ZN9rocsolver6v33100L18trti2_kernel_smallILi18EdPKPdEEv13rocblas_fill_17rocblas_diagonal_T1_iil: ; @_ZN9rocsolver6v33100L18trti2_kernel_smallILi18EdPKPdEEv13rocblas_fill_17rocblas_diagonal_T1_iil
; %bb.0:
	s_add_u32 s0, s0, s7
	s_addc_u32 s1, s1, 0
	v_cmp_gt_u32_e32 vcc, 18, v0
	s_and_saveexec_b64 s[8:9], vcc
	s_cbranch_execz .LBB81_330
; %bb.1:
	s_load_dwordx2 s[12:13], s[4:5], 0x10
	s_load_dwordx4 s[8:11], s[4:5], 0x0
	s_ashr_i32 s7, s6, 31
	s_lshl_b64 s[6:7], s[6:7], 3
	v_lshlrev_b32_e32 v39, 3, v0
	s_waitcnt lgkmcnt(0)
	s_ashr_i32 s5, s12, 31
	s_add_u32 s6, s10, s6
	s_addc_u32 s7, s11, s7
	s_load_dwordx2 s[6:7], s[6:7], 0x0
	s_mov_b32 s4, s12
	s_lshl_b64 s[4:5], s[4:5], 3
	s_waitcnt lgkmcnt(0)
	s_add_u32 s6, s6, s4
	s_addc_u32 s7, s7, s5
	v_mov_b32_e32 v2, s7
	v_add_co_u32_e32 v1, vcc, s6, v39
	v_addc_co_u32_e32 v2, vcc, 0, v2, vcc
	flat_load_dwordx2 v[5:6], v[1:2]
	s_mov_b32 s4, s13
	s_ashr_i32 s5, s13, 31
	s_lshl_b64 s[4:5], s[4:5], 3
	v_mov_b32_e32 v4, s5
	v_add_co_u32_e32 v3, vcc, s4, v1
	v_addc_co_u32_e32 v4, vcc, v2, v4, vcc
	s_add_i32 s4, s13, s13
	v_add_u32_e32 v9, s4, v0
	v_ashrrev_i32_e32 v10, 31, v9
	v_mov_b32_e32 v11, s7
	v_add_u32_e32 v12, s13, v9
	v_ashrrev_i32_e32 v13, 31, v12
	v_mov_b32_e32 v14, s7
	v_mov_b32_e32 v15, s7
	;; [unrolled: 1-line block ×14, first 2 shown]
	s_cmpk_lg_i32 s9, 0x84
	s_cselect_b64 s[10:11], -1, 0
	s_cmpk_eq_i32 s9, 0x84
	s_waitcnt vmcnt(0) lgkmcnt(0)
	buffer_store_dword v6, off, s[0:3], 0 offset:4
	buffer_store_dword v5, off, s[0:3], 0
	flat_load_dwordx2 v[7:8], v[3:4]
	v_lshlrev_b64 v[5:6], 3, v[9:10]
	s_waitcnt vmcnt(0) lgkmcnt(0)
	buffer_store_dword v8, off, s[0:3], 0 offset:12
	buffer_store_dword v7, off, s[0:3], 0 offset:8
	v_add_co_u32_e32 v5, vcc, s6, v5
	v_addc_co_u32_e32 v6, vcc, v11, v6, vcc
	flat_load_dwordx2 v[10:11], v[5:6]
	v_lshlrev_b64 v[7:8], 3, v[12:13]
	s_waitcnt vmcnt(0) lgkmcnt(0)
	buffer_store_dword v11, off, s[0:3], 0 offset:20
	buffer_store_dword v10, off, s[0:3], 0 offset:16
	v_add_co_u32_e32 v7, vcc, s6, v7
	v_addc_co_u32_e32 v8, vcc, v14, v8, vcc
	flat_load_dwordx2 v[13:14], v[7:8]
	v_add_u32_e32 v11, s13, v12
	v_ashrrev_i32_e32 v12, 31, v11
	v_lshlrev_b64 v[9:10], 3, v[11:12]
	s_waitcnt vmcnt(0) lgkmcnt(0)
	buffer_store_dword v14, off, s[0:3], 0 offset:28
	buffer_store_dword v13, off, s[0:3], 0 offset:24
	v_add_co_u32_e32 v9, vcc, s6, v9
	v_addc_co_u32_e32 v10, vcc, v15, v10, vcc
	flat_load_dwordx2 v[13:14], v[9:10]
	v_add_u32_e32 v15, s13, v11
	v_ashrrev_i32_e32 v16, 31, v15
	v_lshlrev_b64 v[11:12], 3, v[15:16]
	v_add_u32_e32 v18, s13, v15
	v_add_co_u32_e32 v11, vcc, s6, v11
	v_addc_co_u32_e32 v12, vcc, v17, v12, vcc
	v_ashrrev_i32_e32 v19, 31, v18
	s_waitcnt vmcnt(0) lgkmcnt(0)
	buffer_store_dword v14, off, s[0:3], 0 offset:36
	buffer_store_dword v13, off, s[0:3], 0 offset:32
	flat_load_dwordx2 v[16:17], v[11:12]
	v_lshlrev_b64 v[13:14], 3, v[18:19]
	s_waitcnt vmcnt(0) lgkmcnt(0)
	buffer_store_dword v17, off, s[0:3], 0 offset:44
	buffer_store_dword v16, off, s[0:3], 0 offset:40
	v_add_co_u32_e32 v13, vcc, s6, v13
	v_addc_co_u32_e32 v14, vcc, v20, v14, vcc
	flat_load_dwordx2 v[19:20], v[13:14]
	v_add_u32_e32 v17, s13, v18
	v_ashrrev_i32_e32 v18, 31, v17
	v_lshlrev_b64 v[15:16], 3, v[17:18]
	s_waitcnt vmcnt(0) lgkmcnt(0)
	buffer_store_dword v20, off, s[0:3], 0 offset:52
	buffer_store_dword v19, off, s[0:3], 0 offset:48
	v_add_co_u32_e32 v15, vcc, s6, v15
	v_addc_co_u32_e32 v16, vcc, v21, v16, vcc
	flat_load_dwordx2 v[19:20], v[15:16]
	v_add_u32_e32 v21, s13, v17
	v_ashrrev_i32_e32 v22, 31, v21
	v_lshlrev_b64 v[17:18], 3, v[21:22]
	v_add_u32_e32 v24, s13, v21
	v_add_co_u32_e32 v17, vcc, s6, v17
	v_addc_co_u32_e32 v18, vcc, v23, v18, vcc
	v_ashrrev_i32_e32 v25, 31, v24
	s_waitcnt vmcnt(0) lgkmcnt(0)
	buffer_store_dword v20, off, s[0:3], 0 offset:60
	buffer_store_dword v19, off, s[0:3], 0 offset:56
	;; [unrolled: 27-line block ×4, first 2 shown]
	flat_load_dwordx2 v[34:35], v[29:30]
	v_lshlrev_b64 v[31:32], 3, v[36:37]
	s_waitcnt vmcnt(0) lgkmcnt(0)
	buffer_store_dword v35, off, s[0:3], 0 offset:116
	buffer_store_dword v34, off, s[0:3], 0 offset:112
	v_add_co_u32_e32 v31, vcc, s6, v31
	v_addc_co_u32_e32 v32, vcc, v38, v32, vcc
	flat_load_dwordx2 v[37:38], v[31:32]
	v_add_u32_e32 v35, s13, v36
	v_ashrrev_i32_e32 v36, 31, v35
	v_lshlrev_b64 v[33:34], 3, v[35:36]
	v_add_u32_e32 v35, s13, v35
	v_add_co_u32_e32 v33, vcc, s6, v33
	v_addc_co_u32_e32 v34, vcc, v40, v34, vcc
	v_ashrrev_i32_e32 v36, 31, v35
	v_lshlrev_b64 v[35:36], 3, v[35:36]
	s_waitcnt vmcnt(0) lgkmcnt(0)
	buffer_store_dword v38, off, s[0:3], 0 offset:124
	buffer_store_dword v37, off, s[0:3], 0 offset:120
	flat_load_dwordx2 v[37:38], v[33:34]
	v_add_co_u32_e32 v35, vcc, s6, v35
	v_addc_co_u32_e32 v36, vcc, v40, v36, vcc
	s_waitcnt vmcnt(0) lgkmcnt(0)
	buffer_store_dword v38, off, s[0:3], 0 offset:132
	buffer_store_dword v37, off, s[0:3], 0 offset:128
	flat_load_dwordx2 v[40:41], v[35:36]
	v_mov_b32_e32 v37, 0
	v_mov_b32_e32 v38, 0xbff00000
	s_waitcnt vmcnt(0) lgkmcnt(0)
	buffer_store_dword v41, off, s[0:3], 0 offset:140
	buffer_store_dword v40, off, s[0:3], 0 offset:136
	s_cbranch_scc1 .LBB81_3
; %bb.2:
	v_mov_b32_e32 v37, 0
	v_lshl_add_u32 v48, v0, 3, v37
	buffer_load_dword v37, v48, s[0:3], 0 offen
	buffer_load_dword v38, v48, s[0:3], 0 offen offset:4
	s_waitcnt vmcnt(0)
	v_div_scale_f64 v[40:41], s[4:5], v[37:38], v[37:38], 1.0
	v_rcp_f64_e32 v[42:43], v[40:41]
	v_fma_f64 v[44:45], -v[40:41], v[42:43], 1.0
	v_fma_f64 v[42:43], v[42:43], v[44:45], v[42:43]
	v_div_scale_f64 v[44:45], vcc, 1.0, v[37:38], 1.0
	v_fma_f64 v[46:47], -v[40:41], v[42:43], 1.0
	v_fma_f64 v[42:43], v[42:43], v[46:47], v[42:43]
	v_mul_f64 v[46:47], v[44:45], v[42:43]
	v_fma_f64 v[40:41], -v[40:41], v[46:47], v[44:45]
	v_div_fmas_f64 v[40:41], v[40:41], v[42:43], v[46:47]
	v_div_fixup_f64 v[37:38], v[40:41], v[37:38], 1.0
	buffer_store_dword v37, v48, s[0:3], 0 offen
	buffer_store_dword v38, v48, s[0:3], 0 offen offset:4
	v_xor_b32_e32 v38, 0x80000000, v38
.LBB81_3:
	s_cmpk_eq_i32 s8, 0x79
	v_add_u32_e32 v40, 0x90, v39
	v_mov_b32_e32 v41, v39
	s_mov_b64 s[4:5], -1
	ds_write_b64 v39, v[37:38]
	s_cbranch_scc1 .LBB81_167
; %bb.4:
	buffer_load_dword v37, off, s[0:3], 0 offset:128
	buffer_load_dword v38, off, s[0:3], 0 offset:132
	s_movk_i32 s12, 0x48
	s_movk_i32 s13, 0x50
	;; [unrolled: 1-line block ×7, first 2 shown]
	v_cmp_eq_u32_e64 s[4:5], 17, v0
	s_waitcnt vmcnt(0)
	ds_write_b64 v40, v[37:38]
	s_waitcnt lgkmcnt(0)
	; wave barrier
	s_and_saveexec_b64 s[6:7], s[4:5]
	s_cbranch_execz .LBB81_10
; %bb.5:
	s_and_b64 vcc, exec, s[10:11]
	s_cbranch_vccz .LBB81_7
; %bb.6:
	buffer_load_dword v37, v41, s[0:3], 0 offen
	buffer_load_dword v38, v41, s[0:3], 0 offen offset:4
	ds_read_b64 v[42:43], v40
	s_waitcnt vmcnt(0) lgkmcnt(0)
	v_mul_f64 v[37:38], v[37:38], v[42:43]
	s_cbranch_execz .LBB81_8
	s_branch .LBB81_9
.LBB81_7:
                                        ; implicit-def: $vgpr37_vgpr38
.LBB81_8:
	ds_read_b64 v[37:38], v40
.LBB81_9:
	v_mov_b32_e32 v42, 0
	ds_read_b64 v[42:43], v42 offset:128
	s_waitcnt lgkmcnt(0)
	v_mul_f64 v[37:38], v[37:38], v[42:43]
	buffer_store_dword v38, off, s[0:3], 0 offset:132
	buffer_store_dword v37, off, s[0:3], 0 offset:128
.LBB81_10:
	s_or_b64 exec, exec, s[6:7]
	buffer_load_dword v37, off, s[0:3], 0 offset:120
	buffer_load_dword v38, off, s[0:3], 0 offset:124
	s_or_b32 s14, 0, 8
	s_mov_b32 s15, 16
	s_mov_b32 s16, 24
	;; [unrolled: 1-line block ×9, first 2 shown]
	v_cmp_lt_u32_e64 s[6:7], 15, v0
	s_waitcnt vmcnt(0)
	ds_write_b64 v40, v[37:38]
	s_waitcnt lgkmcnt(0)
	; wave barrier
	s_and_saveexec_b64 s[8:9], s[6:7]
	s_cbranch_execz .LBB81_16
; %bb.11:
	s_andn2_b64 vcc, exec, s[10:11]
	s_cbranch_vccnz .LBB81_13
; %bb.12:
	buffer_load_dword v37, v41, s[0:3], 0 offen
	buffer_load_dword v38, v41, s[0:3], 0 offen offset:4
	ds_read_b64 v[42:43], v40
	s_waitcnt vmcnt(0) lgkmcnt(0)
	v_mul_f64 v[37:38], v[37:38], v[42:43]
	s_cbranch_execz .LBB81_14
	s_branch .LBB81_15
.LBB81_13:
                                        ; implicit-def: $vgpr37_vgpr38
.LBB81_14:
	ds_read_b64 v[37:38], v40
.LBB81_15:
	buffer_load_dword v46, off, s[0:3], 0 offset:128
	buffer_load_dword v47, off, s[0:3], 0 offset:132
	v_mov_b32_e32 v42, 0
	ds_read2_b64 v[42:45], v42 offset0:15 offset1:34
	s_waitcnt vmcnt(0) lgkmcnt(0)
	v_fma_f64 v[44:45], v[46:47], v[44:45], v[37:38]
	v_cndmask_b32_e64 v38, v38, v45, s[4:5]
	v_cndmask_b32_e64 v37, v37, v44, s[4:5]
	v_mul_f64 v[37:38], v[37:38], v[42:43]
	buffer_store_dword v38, off, s[0:3], 0 offset:124
	buffer_store_dword v37, off, s[0:3], 0 offset:120
.LBB81_16:
	s_or_b64 exec, exec, s[8:9]
	buffer_load_dword v37, off, s[0:3], 0 offset:112
	buffer_load_dword v38, off, s[0:3], 0 offset:116
	v_cmp_lt_u32_e64 s[4:5], 14, v0
	s_waitcnt vmcnt(0)
	ds_write_b64 v40, v[37:38]
	s_waitcnt lgkmcnt(0)
	; wave barrier
	s_and_saveexec_b64 s[8:9], s[4:5]
	s_cbranch_execz .LBB81_26
; %bb.17:
	s_andn2_b64 vcc, exec, s[10:11]
	s_cbranch_vccnz .LBB81_19
; %bb.18:
	buffer_load_dword v37, v41, s[0:3], 0 offen
	buffer_load_dword v38, v41, s[0:3], 0 offen offset:4
	ds_read_b64 v[42:43], v40
	s_waitcnt vmcnt(0) lgkmcnt(0)
	v_mul_f64 v[37:38], v[37:38], v[42:43]
	s_cbranch_execz .LBB81_20
	s_branch .LBB81_21
.LBB81_19:
                                        ; implicit-def: $vgpr37_vgpr38
.LBB81_20:
	ds_read_b64 v[37:38], v40
.LBB81_21:
	s_and_saveexec_b64 s[12:13], s[6:7]
	s_cbranch_execz .LBB81_25
; %bb.22:
	v_add_u32_e32 v42, -15, v0
	s_movk_i32 s29, 0x108
	s_mov_b64 s[6:7], 0
.LBB81_23:                              ; =>This Inner Loop Header: Depth=1
	v_mov_b32_e32 v45, s28
	buffer_load_dword v43, v45, s[0:3], 0 offen
	buffer_load_dword v44, v45, s[0:3], 0 offen offset:4
	v_mov_b32_e32 v45, s29
	ds_read_b64 v[45:46], v45
	v_add_u32_e32 v42, -1, v42
	s_add_i32 s29, s29, 8
	s_add_i32 s28, s28, 8
	v_cmp_eq_u32_e32 vcc, 0, v42
	s_or_b64 s[6:7], vcc, s[6:7]
	s_waitcnt vmcnt(0) lgkmcnt(0)
	v_fma_f64 v[37:38], v[43:44], v[45:46], v[37:38]
	s_andn2_b64 exec, exec, s[6:7]
	s_cbranch_execnz .LBB81_23
; %bb.24:
	s_or_b64 exec, exec, s[6:7]
.LBB81_25:
	s_or_b64 exec, exec, s[12:13]
	v_mov_b32_e32 v42, 0
	ds_read_b64 v[42:43], v42 offset:112
	s_waitcnt lgkmcnt(0)
	v_mul_f64 v[37:38], v[37:38], v[42:43]
	buffer_store_dword v38, off, s[0:3], 0 offset:116
	buffer_store_dword v37, off, s[0:3], 0 offset:112
.LBB81_26:
	s_or_b64 exec, exec, s[8:9]
	buffer_load_dword v37, off, s[0:3], 0 offset:104
	buffer_load_dword v38, off, s[0:3], 0 offset:108
	v_cmp_lt_u32_e64 s[6:7], 13, v0
	s_waitcnt vmcnt(0)
	ds_write_b64 v40, v[37:38]
	s_waitcnt lgkmcnt(0)
	; wave barrier
	s_and_saveexec_b64 s[8:9], s[6:7]
	s_cbranch_execz .LBB81_36
; %bb.27:
	s_andn2_b64 vcc, exec, s[10:11]
	s_cbranch_vccnz .LBB81_29
; %bb.28:
	buffer_load_dword v37, v41, s[0:3], 0 offen
	buffer_load_dword v38, v41, s[0:3], 0 offen offset:4
	ds_read_b64 v[42:43], v40
	s_waitcnt vmcnt(0) lgkmcnt(0)
	v_mul_f64 v[37:38], v[37:38], v[42:43]
	s_cbranch_execz .LBB81_30
	s_branch .LBB81_31
.LBB81_29:
                                        ; implicit-def: $vgpr37_vgpr38
.LBB81_30:
	ds_read_b64 v[37:38], v40
.LBB81_31:
	s_and_saveexec_b64 s[12:13], s[4:5]
	s_cbranch_execz .LBB81_35
; %bb.32:
	v_add_u32_e32 v42, -14, v0
	s_movk_i32 s28, 0x100
	s_mov_b64 s[4:5], 0
.LBB81_33:                              ; =>This Inner Loop Header: Depth=1
	v_mov_b32_e32 v45, s27
	buffer_load_dword v43, v45, s[0:3], 0 offen
	buffer_load_dword v44, v45, s[0:3], 0 offen offset:4
	v_mov_b32_e32 v45, s28
	ds_read_b64 v[45:46], v45
	v_add_u32_e32 v42, -1, v42
	s_add_i32 s28, s28, 8
	s_add_i32 s27, s27, 8
	v_cmp_eq_u32_e32 vcc, 0, v42
	s_or_b64 s[4:5], vcc, s[4:5]
	s_waitcnt vmcnt(0) lgkmcnt(0)
	v_fma_f64 v[37:38], v[43:44], v[45:46], v[37:38]
	s_andn2_b64 exec, exec, s[4:5]
	s_cbranch_execnz .LBB81_33
; %bb.34:
	s_or_b64 exec, exec, s[4:5]
.LBB81_35:
	s_or_b64 exec, exec, s[12:13]
	v_mov_b32_e32 v42, 0
	ds_read_b64 v[42:43], v42 offset:104
	s_waitcnt lgkmcnt(0)
	v_mul_f64 v[37:38], v[37:38], v[42:43]
	buffer_store_dword v38, off, s[0:3], 0 offset:108
	buffer_store_dword v37, off, s[0:3], 0 offset:104
.LBB81_36:
	s_or_b64 exec, exec, s[8:9]
	buffer_load_dword v37, off, s[0:3], 0 offset:96
	buffer_load_dword v38, off, s[0:3], 0 offset:100
	v_cmp_lt_u32_e64 s[4:5], 12, v0
	s_waitcnt vmcnt(0)
	ds_write_b64 v40, v[37:38]
	s_waitcnt lgkmcnt(0)
	; wave barrier
	s_and_saveexec_b64 s[8:9], s[4:5]
	s_cbranch_execz .LBB81_46
; %bb.37:
	s_andn2_b64 vcc, exec, s[10:11]
	s_cbranch_vccnz .LBB81_39
; %bb.38:
	buffer_load_dword v37, v41, s[0:3], 0 offen
	buffer_load_dword v38, v41, s[0:3], 0 offen offset:4
	ds_read_b64 v[42:43], v40
	s_waitcnt vmcnt(0) lgkmcnt(0)
	v_mul_f64 v[37:38], v[37:38], v[42:43]
	s_cbranch_execz .LBB81_40
	s_branch .LBB81_41
.LBB81_39:
                                        ; implicit-def: $vgpr37_vgpr38
.LBB81_40:
	ds_read_b64 v[37:38], v40
.LBB81_41:
	s_and_saveexec_b64 s[12:13], s[6:7]
	s_cbranch_execz .LBB81_45
; %bb.42:
	v_add_u32_e32 v42, -13, v0
	s_movk_i32 s27, 0xf8
	s_mov_b64 s[6:7], 0
.LBB81_43:                              ; =>This Inner Loop Header: Depth=1
	v_mov_b32_e32 v45, s26
	buffer_load_dword v43, v45, s[0:3], 0 offen
	buffer_load_dword v44, v45, s[0:3], 0 offen offset:4
	v_mov_b32_e32 v45, s27
	ds_read_b64 v[45:46], v45
	v_add_u32_e32 v42, -1, v42
	s_add_i32 s27, s27, 8
	s_add_i32 s26, s26, 8
	v_cmp_eq_u32_e32 vcc, 0, v42
	s_or_b64 s[6:7], vcc, s[6:7]
	s_waitcnt vmcnt(0) lgkmcnt(0)
	v_fma_f64 v[37:38], v[43:44], v[45:46], v[37:38]
	s_andn2_b64 exec, exec, s[6:7]
	s_cbranch_execnz .LBB81_43
; %bb.44:
	s_or_b64 exec, exec, s[6:7]
.LBB81_45:
	s_or_b64 exec, exec, s[12:13]
	v_mov_b32_e32 v42, 0
	ds_read_b64 v[42:43], v42 offset:96
	s_waitcnt lgkmcnt(0)
	v_mul_f64 v[37:38], v[37:38], v[42:43]
	buffer_store_dword v38, off, s[0:3], 0 offset:100
	buffer_store_dword v37, off, s[0:3], 0 offset:96
.LBB81_46:
	s_or_b64 exec, exec, s[8:9]
	buffer_load_dword v37, off, s[0:3], 0 offset:88
	buffer_load_dword v38, off, s[0:3], 0 offset:92
	v_cmp_lt_u32_e64 s[6:7], 11, v0
	s_waitcnt vmcnt(0)
	ds_write_b64 v40, v[37:38]
	s_waitcnt lgkmcnt(0)
	; wave barrier
	s_and_saveexec_b64 s[8:9], s[6:7]
	s_cbranch_execz .LBB81_56
; %bb.47:
	s_andn2_b64 vcc, exec, s[10:11]
	s_cbranch_vccnz .LBB81_49
; %bb.48:
	buffer_load_dword v37, v41, s[0:3], 0 offen
	buffer_load_dword v38, v41, s[0:3], 0 offen offset:4
	ds_read_b64 v[42:43], v40
	s_waitcnt vmcnt(0) lgkmcnt(0)
	v_mul_f64 v[37:38], v[37:38], v[42:43]
	s_cbranch_execz .LBB81_50
	s_branch .LBB81_51
.LBB81_49:
                                        ; implicit-def: $vgpr37_vgpr38
.LBB81_50:
	ds_read_b64 v[37:38], v40
.LBB81_51:
	s_and_saveexec_b64 s[12:13], s[4:5]
	s_cbranch_execz .LBB81_55
; %bb.52:
	v_add_u32_e32 v42, -12, v0
	s_movk_i32 s26, 0xf0
	s_mov_b64 s[4:5], 0
.LBB81_53:                              ; =>This Inner Loop Header: Depth=1
	v_mov_b32_e32 v45, s25
	buffer_load_dword v43, v45, s[0:3], 0 offen
	buffer_load_dword v44, v45, s[0:3], 0 offen offset:4
	v_mov_b32_e32 v45, s26
	ds_read_b64 v[45:46], v45
	v_add_u32_e32 v42, -1, v42
	s_add_i32 s26, s26, 8
	s_add_i32 s25, s25, 8
	v_cmp_eq_u32_e32 vcc, 0, v42
	s_or_b64 s[4:5], vcc, s[4:5]
	s_waitcnt vmcnt(0) lgkmcnt(0)
	v_fma_f64 v[37:38], v[43:44], v[45:46], v[37:38]
	s_andn2_b64 exec, exec, s[4:5]
	s_cbranch_execnz .LBB81_53
; %bb.54:
	s_or_b64 exec, exec, s[4:5]
.LBB81_55:
	s_or_b64 exec, exec, s[12:13]
	v_mov_b32_e32 v42, 0
	ds_read_b64 v[42:43], v42 offset:88
	s_waitcnt lgkmcnt(0)
	v_mul_f64 v[37:38], v[37:38], v[42:43]
	buffer_store_dword v38, off, s[0:3], 0 offset:92
	buffer_store_dword v37, off, s[0:3], 0 offset:88
.LBB81_56:
	s_or_b64 exec, exec, s[8:9]
	buffer_load_dword v37, off, s[0:3], 0 offset:80
	buffer_load_dword v38, off, s[0:3], 0 offset:84
	v_cmp_lt_u32_e64 s[4:5], 10, v0
	s_waitcnt vmcnt(0)
	ds_write_b64 v40, v[37:38]
	s_waitcnt lgkmcnt(0)
	; wave barrier
	s_and_saveexec_b64 s[8:9], s[4:5]
	s_cbranch_execz .LBB81_66
; %bb.57:
	s_andn2_b64 vcc, exec, s[10:11]
	s_cbranch_vccnz .LBB81_59
; %bb.58:
	buffer_load_dword v37, v41, s[0:3], 0 offen
	buffer_load_dword v38, v41, s[0:3], 0 offen offset:4
	ds_read_b64 v[42:43], v40
	s_waitcnt vmcnt(0) lgkmcnt(0)
	v_mul_f64 v[37:38], v[37:38], v[42:43]
	s_cbranch_execz .LBB81_60
	s_branch .LBB81_61
.LBB81_59:
                                        ; implicit-def: $vgpr37_vgpr38
.LBB81_60:
	ds_read_b64 v[37:38], v40
.LBB81_61:
	s_and_saveexec_b64 s[12:13], s[6:7]
	s_cbranch_execz .LBB81_65
; %bb.62:
	v_add_u32_e32 v42, -11, v0
	s_movk_i32 s25, 0xe8
	s_mov_b64 s[6:7], 0
.LBB81_63:                              ; =>This Inner Loop Header: Depth=1
	v_mov_b32_e32 v45, s24
	buffer_load_dword v43, v45, s[0:3], 0 offen
	buffer_load_dword v44, v45, s[0:3], 0 offen offset:4
	v_mov_b32_e32 v45, s25
	ds_read_b64 v[45:46], v45
	v_add_u32_e32 v42, -1, v42
	s_add_i32 s25, s25, 8
	s_add_i32 s24, s24, 8
	v_cmp_eq_u32_e32 vcc, 0, v42
	s_or_b64 s[6:7], vcc, s[6:7]
	s_waitcnt vmcnt(0) lgkmcnt(0)
	v_fma_f64 v[37:38], v[43:44], v[45:46], v[37:38]
	s_andn2_b64 exec, exec, s[6:7]
	s_cbranch_execnz .LBB81_63
; %bb.64:
	s_or_b64 exec, exec, s[6:7]
.LBB81_65:
	s_or_b64 exec, exec, s[12:13]
	v_mov_b32_e32 v42, 0
	ds_read_b64 v[42:43], v42 offset:80
	s_waitcnt lgkmcnt(0)
	v_mul_f64 v[37:38], v[37:38], v[42:43]
	buffer_store_dword v38, off, s[0:3], 0 offset:84
	buffer_store_dword v37, off, s[0:3], 0 offset:80
.LBB81_66:
	s_or_b64 exec, exec, s[8:9]
	buffer_load_dword v37, off, s[0:3], 0 offset:72
	buffer_load_dword v38, off, s[0:3], 0 offset:76
	v_cmp_lt_u32_e64 s[6:7], 9, v0
	s_waitcnt vmcnt(0)
	ds_write_b64 v40, v[37:38]
	s_waitcnt lgkmcnt(0)
	; wave barrier
	s_and_saveexec_b64 s[8:9], s[6:7]
	s_cbranch_execz .LBB81_76
; %bb.67:
	s_andn2_b64 vcc, exec, s[10:11]
	s_cbranch_vccnz .LBB81_69
; %bb.68:
	buffer_load_dword v37, v41, s[0:3], 0 offen
	buffer_load_dword v38, v41, s[0:3], 0 offen offset:4
	ds_read_b64 v[42:43], v40
	s_waitcnt vmcnt(0) lgkmcnt(0)
	v_mul_f64 v[37:38], v[37:38], v[42:43]
	s_cbranch_execz .LBB81_70
	s_branch .LBB81_71
.LBB81_69:
                                        ; implicit-def: $vgpr37_vgpr38
.LBB81_70:
	ds_read_b64 v[37:38], v40
.LBB81_71:
	s_and_saveexec_b64 s[12:13], s[4:5]
	s_cbranch_execz .LBB81_75
; %bb.72:
	v_add_u32_e32 v42, -10, v0
	s_movk_i32 s24, 0xe0
	s_mov_b64 s[4:5], 0
.LBB81_73:                              ; =>This Inner Loop Header: Depth=1
	v_mov_b32_e32 v45, s23
	buffer_load_dword v43, v45, s[0:3], 0 offen
	buffer_load_dword v44, v45, s[0:3], 0 offen offset:4
	v_mov_b32_e32 v45, s24
	ds_read_b64 v[45:46], v45
	v_add_u32_e32 v42, -1, v42
	s_add_i32 s24, s24, 8
	s_add_i32 s23, s23, 8
	v_cmp_eq_u32_e32 vcc, 0, v42
	s_or_b64 s[4:5], vcc, s[4:5]
	s_waitcnt vmcnt(0) lgkmcnt(0)
	v_fma_f64 v[37:38], v[43:44], v[45:46], v[37:38]
	s_andn2_b64 exec, exec, s[4:5]
	s_cbranch_execnz .LBB81_73
; %bb.74:
	s_or_b64 exec, exec, s[4:5]
.LBB81_75:
	s_or_b64 exec, exec, s[12:13]
	v_mov_b32_e32 v42, 0
	ds_read_b64 v[42:43], v42 offset:72
	s_waitcnt lgkmcnt(0)
	v_mul_f64 v[37:38], v[37:38], v[42:43]
	buffer_store_dword v38, off, s[0:3], 0 offset:76
	buffer_store_dword v37, off, s[0:3], 0 offset:72
.LBB81_76:
	s_or_b64 exec, exec, s[8:9]
	buffer_load_dword v37, off, s[0:3], 0 offset:64
	buffer_load_dword v38, off, s[0:3], 0 offset:68
	v_cmp_lt_u32_e64 s[4:5], 8, v0
	s_waitcnt vmcnt(0)
	ds_write_b64 v40, v[37:38]
	s_waitcnt lgkmcnt(0)
	; wave barrier
	s_and_saveexec_b64 s[8:9], s[4:5]
	s_cbranch_execz .LBB81_86
; %bb.77:
	s_andn2_b64 vcc, exec, s[10:11]
	s_cbranch_vccnz .LBB81_79
; %bb.78:
	buffer_load_dword v37, v41, s[0:3], 0 offen
	buffer_load_dword v38, v41, s[0:3], 0 offen offset:4
	ds_read_b64 v[42:43], v40
	s_waitcnt vmcnt(0) lgkmcnt(0)
	v_mul_f64 v[37:38], v[37:38], v[42:43]
	s_cbranch_execz .LBB81_80
	s_branch .LBB81_81
.LBB81_79:
                                        ; implicit-def: $vgpr37_vgpr38
.LBB81_80:
	ds_read_b64 v[37:38], v40
.LBB81_81:
	s_and_saveexec_b64 s[12:13], s[6:7]
	s_cbranch_execz .LBB81_85
; %bb.82:
	v_add_u32_e32 v42, -9, v0
	s_movk_i32 s23, 0xd8
	s_mov_b64 s[6:7], 0
.LBB81_83:                              ; =>This Inner Loop Header: Depth=1
	v_mov_b32_e32 v45, s22
	buffer_load_dword v43, v45, s[0:3], 0 offen
	buffer_load_dword v44, v45, s[0:3], 0 offen offset:4
	v_mov_b32_e32 v45, s23
	ds_read_b64 v[45:46], v45
	v_add_u32_e32 v42, -1, v42
	s_add_i32 s23, s23, 8
	s_add_i32 s22, s22, 8
	v_cmp_eq_u32_e32 vcc, 0, v42
	s_or_b64 s[6:7], vcc, s[6:7]
	s_waitcnt vmcnt(0) lgkmcnt(0)
	v_fma_f64 v[37:38], v[43:44], v[45:46], v[37:38]
	s_andn2_b64 exec, exec, s[6:7]
	s_cbranch_execnz .LBB81_83
; %bb.84:
	s_or_b64 exec, exec, s[6:7]
.LBB81_85:
	s_or_b64 exec, exec, s[12:13]
	v_mov_b32_e32 v42, 0
	ds_read_b64 v[42:43], v42 offset:64
	s_waitcnt lgkmcnt(0)
	v_mul_f64 v[37:38], v[37:38], v[42:43]
	buffer_store_dword v38, off, s[0:3], 0 offset:68
	buffer_store_dword v37, off, s[0:3], 0 offset:64
.LBB81_86:
	s_or_b64 exec, exec, s[8:9]
	buffer_load_dword v37, off, s[0:3], 0 offset:56
	buffer_load_dword v38, off, s[0:3], 0 offset:60
	v_cmp_lt_u32_e64 s[6:7], 7, v0
	s_waitcnt vmcnt(0)
	ds_write_b64 v40, v[37:38]
	s_waitcnt lgkmcnt(0)
	; wave barrier
	s_and_saveexec_b64 s[8:9], s[6:7]
	s_cbranch_execz .LBB81_96
; %bb.87:
	s_andn2_b64 vcc, exec, s[10:11]
	s_cbranch_vccnz .LBB81_89
; %bb.88:
	buffer_load_dword v37, v41, s[0:3], 0 offen
	buffer_load_dword v38, v41, s[0:3], 0 offen offset:4
	ds_read_b64 v[42:43], v40
	s_waitcnt vmcnt(0) lgkmcnt(0)
	v_mul_f64 v[37:38], v[37:38], v[42:43]
	s_cbranch_execz .LBB81_90
	s_branch .LBB81_91
.LBB81_89:
                                        ; implicit-def: $vgpr37_vgpr38
.LBB81_90:
	ds_read_b64 v[37:38], v40
.LBB81_91:
	s_and_saveexec_b64 s[12:13], s[4:5]
	s_cbranch_execz .LBB81_95
; %bb.92:
	v_add_u32_e32 v42, -8, v0
	s_movk_i32 s22, 0xd0
	s_mov_b64 s[4:5], 0
.LBB81_93:                              ; =>This Inner Loop Header: Depth=1
	v_mov_b32_e32 v45, s21
	buffer_load_dword v43, v45, s[0:3], 0 offen
	buffer_load_dword v44, v45, s[0:3], 0 offen offset:4
	v_mov_b32_e32 v45, s22
	ds_read_b64 v[45:46], v45
	v_add_u32_e32 v42, -1, v42
	s_add_i32 s22, s22, 8
	s_add_i32 s21, s21, 8
	v_cmp_eq_u32_e32 vcc, 0, v42
	s_or_b64 s[4:5], vcc, s[4:5]
	s_waitcnt vmcnt(0) lgkmcnt(0)
	v_fma_f64 v[37:38], v[43:44], v[45:46], v[37:38]
	s_andn2_b64 exec, exec, s[4:5]
	s_cbranch_execnz .LBB81_93
; %bb.94:
	s_or_b64 exec, exec, s[4:5]
.LBB81_95:
	s_or_b64 exec, exec, s[12:13]
	v_mov_b32_e32 v42, 0
	ds_read_b64 v[42:43], v42 offset:56
	s_waitcnt lgkmcnt(0)
	v_mul_f64 v[37:38], v[37:38], v[42:43]
	buffer_store_dword v38, off, s[0:3], 0 offset:60
	buffer_store_dword v37, off, s[0:3], 0 offset:56
.LBB81_96:
	s_or_b64 exec, exec, s[8:9]
	buffer_load_dword v37, off, s[0:3], 0 offset:48
	buffer_load_dword v38, off, s[0:3], 0 offset:52
	v_cmp_lt_u32_e64 s[4:5], 6, v0
	s_waitcnt vmcnt(0)
	ds_write_b64 v40, v[37:38]
	s_waitcnt lgkmcnt(0)
	; wave barrier
	s_and_saveexec_b64 s[8:9], s[4:5]
	s_cbranch_execz .LBB81_106
; %bb.97:
	s_andn2_b64 vcc, exec, s[10:11]
	s_cbranch_vccnz .LBB81_99
; %bb.98:
	buffer_load_dword v37, v41, s[0:3], 0 offen
	buffer_load_dword v38, v41, s[0:3], 0 offen offset:4
	ds_read_b64 v[42:43], v40
	s_waitcnt vmcnt(0) lgkmcnt(0)
	v_mul_f64 v[37:38], v[37:38], v[42:43]
	s_cbranch_execz .LBB81_100
	s_branch .LBB81_101
.LBB81_99:
                                        ; implicit-def: $vgpr37_vgpr38
.LBB81_100:
	ds_read_b64 v[37:38], v40
.LBB81_101:
	s_and_saveexec_b64 s[12:13], s[6:7]
	s_cbranch_execz .LBB81_105
; %bb.102:
	v_add_u32_e32 v42, -7, v0
	s_movk_i32 s21, 0xc8
	s_mov_b64 s[6:7], 0
.LBB81_103:                             ; =>This Inner Loop Header: Depth=1
	v_mov_b32_e32 v45, s20
	buffer_load_dword v43, v45, s[0:3], 0 offen
	buffer_load_dword v44, v45, s[0:3], 0 offen offset:4
	v_mov_b32_e32 v45, s21
	ds_read_b64 v[45:46], v45
	v_add_u32_e32 v42, -1, v42
	s_add_i32 s21, s21, 8
	s_add_i32 s20, s20, 8
	v_cmp_eq_u32_e32 vcc, 0, v42
	s_or_b64 s[6:7], vcc, s[6:7]
	s_waitcnt vmcnt(0) lgkmcnt(0)
	v_fma_f64 v[37:38], v[43:44], v[45:46], v[37:38]
	s_andn2_b64 exec, exec, s[6:7]
	s_cbranch_execnz .LBB81_103
; %bb.104:
	s_or_b64 exec, exec, s[6:7]
.LBB81_105:
	s_or_b64 exec, exec, s[12:13]
	v_mov_b32_e32 v42, 0
	ds_read_b64 v[42:43], v42 offset:48
	s_waitcnt lgkmcnt(0)
	v_mul_f64 v[37:38], v[37:38], v[42:43]
	buffer_store_dword v38, off, s[0:3], 0 offset:52
	buffer_store_dword v37, off, s[0:3], 0 offset:48
.LBB81_106:
	s_or_b64 exec, exec, s[8:9]
	buffer_load_dword v37, off, s[0:3], 0 offset:40
	buffer_load_dword v38, off, s[0:3], 0 offset:44
	v_cmp_lt_u32_e64 s[6:7], 5, v0
	s_waitcnt vmcnt(0)
	ds_write_b64 v40, v[37:38]
	s_waitcnt lgkmcnt(0)
	; wave barrier
	s_and_saveexec_b64 s[8:9], s[6:7]
	s_cbranch_execz .LBB81_116
; %bb.107:
	s_andn2_b64 vcc, exec, s[10:11]
	s_cbranch_vccnz .LBB81_109
; %bb.108:
	buffer_load_dword v37, v41, s[0:3], 0 offen
	buffer_load_dword v38, v41, s[0:3], 0 offen offset:4
	ds_read_b64 v[42:43], v40
	s_waitcnt vmcnt(0) lgkmcnt(0)
	v_mul_f64 v[37:38], v[37:38], v[42:43]
	s_cbranch_execz .LBB81_110
	s_branch .LBB81_111
.LBB81_109:
                                        ; implicit-def: $vgpr37_vgpr38
.LBB81_110:
	ds_read_b64 v[37:38], v40
.LBB81_111:
	s_and_saveexec_b64 s[12:13], s[4:5]
	s_cbranch_execz .LBB81_115
; %bb.112:
	v_add_u32_e32 v42, -6, v0
	s_movk_i32 s20, 0xc0
	s_mov_b64 s[4:5], 0
.LBB81_113:                             ; =>This Inner Loop Header: Depth=1
	v_mov_b32_e32 v45, s19
	buffer_load_dword v43, v45, s[0:3], 0 offen
	buffer_load_dword v44, v45, s[0:3], 0 offen offset:4
	v_mov_b32_e32 v45, s20
	ds_read_b64 v[45:46], v45
	v_add_u32_e32 v42, -1, v42
	s_add_i32 s20, s20, 8
	s_add_i32 s19, s19, 8
	v_cmp_eq_u32_e32 vcc, 0, v42
	s_or_b64 s[4:5], vcc, s[4:5]
	s_waitcnt vmcnt(0) lgkmcnt(0)
	v_fma_f64 v[37:38], v[43:44], v[45:46], v[37:38]
	s_andn2_b64 exec, exec, s[4:5]
	s_cbranch_execnz .LBB81_113
; %bb.114:
	s_or_b64 exec, exec, s[4:5]
.LBB81_115:
	s_or_b64 exec, exec, s[12:13]
	v_mov_b32_e32 v42, 0
	ds_read_b64 v[42:43], v42 offset:40
	s_waitcnt lgkmcnt(0)
	v_mul_f64 v[37:38], v[37:38], v[42:43]
	buffer_store_dword v38, off, s[0:3], 0 offset:44
	buffer_store_dword v37, off, s[0:3], 0 offset:40
.LBB81_116:
	s_or_b64 exec, exec, s[8:9]
	buffer_load_dword v37, off, s[0:3], 0 offset:32
	buffer_load_dword v38, off, s[0:3], 0 offset:36
	v_cmp_lt_u32_e64 s[4:5], 4, v0
	s_waitcnt vmcnt(0)
	ds_write_b64 v40, v[37:38]
	s_waitcnt lgkmcnt(0)
	; wave barrier
	s_and_saveexec_b64 s[8:9], s[4:5]
	s_cbranch_execz .LBB81_126
; %bb.117:
	s_andn2_b64 vcc, exec, s[10:11]
	s_cbranch_vccnz .LBB81_119
; %bb.118:
	buffer_load_dword v37, v41, s[0:3], 0 offen
	buffer_load_dword v38, v41, s[0:3], 0 offen offset:4
	ds_read_b64 v[42:43], v40
	s_waitcnt vmcnt(0) lgkmcnt(0)
	v_mul_f64 v[37:38], v[37:38], v[42:43]
	s_cbranch_execz .LBB81_120
	s_branch .LBB81_121
.LBB81_119:
                                        ; implicit-def: $vgpr37_vgpr38
.LBB81_120:
	ds_read_b64 v[37:38], v40
.LBB81_121:
	s_and_saveexec_b64 s[12:13], s[6:7]
	s_cbranch_execz .LBB81_125
; %bb.122:
	v_add_u32_e32 v42, -5, v0
	s_movk_i32 s19, 0xb8
	s_mov_b64 s[6:7], 0
.LBB81_123:                             ; =>This Inner Loop Header: Depth=1
	v_mov_b32_e32 v45, s18
	buffer_load_dword v43, v45, s[0:3], 0 offen
	buffer_load_dword v44, v45, s[0:3], 0 offen offset:4
	v_mov_b32_e32 v45, s19
	ds_read_b64 v[45:46], v45
	v_add_u32_e32 v42, -1, v42
	s_add_i32 s19, s19, 8
	s_add_i32 s18, s18, 8
	v_cmp_eq_u32_e32 vcc, 0, v42
	s_or_b64 s[6:7], vcc, s[6:7]
	s_waitcnt vmcnt(0) lgkmcnt(0)
	v_fma_f64 v[37:38], v[43:44], v[45:46], v[37:38]
	s_andn2_b64 exec, exec, s[6:7]
	s_cbranch_execnz .LBB81_123
; %bb.124:
	s_or_b64 exec, exec, s[6:7]
.LBB81_125:
	s_or_b64 exec, exec, s[12:13]
	v_mov_b32_e32 v42, 0
	ds_read_b64 v[42:43], v42 offset:32
	s_waitcnt lgkmcnt(0)
	v_mul_f64 v[37:38], v[37:38], v[42:43]
	buffer_store_dword v38, off, s[0:3], 0 offset:36
	buffer_store_dword v37, off, s[0:3], 0 offset:32
.LBB81_126:
	s_or_b64 exec, exec, s[8:9]
	buffer_load_dword v37, off, s[0:3], 0 offset:24
	buffer_load_dword v38, off, s[0:3], 0 offset:28
	v_cmp_lt_u32_e64 s[6:7], 3, v0
	s_waitcnt vmcnt(0)
	ds_write_b64 v40, v[37:38]
	s_waitcnt lgkmcnt(0)
	; wave barrier
	s_and_saveexec_b64 s[8:9], s[6:7]
	s_cbranch_execz .LBB81_136
; %bb.127:
	s_andn2_b64 vcc, exec, s[10:11]
	s_cbranch_vccnz .LBB81_129
; %bb.128:
	buffer_load_dword v37, v41, s[0:3], 0 offen
	buffer_load_dword v38, v41, s[0:3], 0 offen offset:4
	ds_read_b64 v[42:43], v40
	s_waitcnt vmcnt(0) lgkmcnt(0)
	v_mul_f64 v[37:38], v[37:38], v[42:43]
	s_cbranch_execz .LBB81_130
	s_branch .LBB81_131
.LBB81_129:
                                        ; implicit-def: $vgpr37_vgpr38
.LBB81_130:
	ds_read_b64 v[37:38], v40
.LBB81_131:
	s_and_saveexec_b64 s[12:13], s[4:5]
	s_cbranch_execz .LBB81_135
; %bb.132:
	v_add_u32_e32 v42, -4, v0
	s_movk_i32 s18, 0xb0
	s_mov_b64 s[4:5], 0
.LBB81_133:                             ; =>This Inner Loop Header: Depth=1
	v_mov_b32_e32 v45, s17
	buffer_load_dword v43, v45, s[0:3], 0 offen
	buffer_load_dword v44, v45, s[0:3], 0 offen offset:4
	v_mov_b32_e32 v45, s18
	ds_read_b64 v[45:46], v45
	v_add_u32_e32 v42, -1, v42
	s_add_i32 s18, s18, 8
	s_add_i32 s17, s17, 8
	v_cmp_eq_u32_e32 vcc, 0, v42
	s_or_b64 s[4:5], vcc, s[4:5]
	s_waitcnt vmcnt(0) lgkmcnt(0)
	v_fma_f64 v[37:38], v[43:44], v[45:46], v[37:38]
	s_andn2_b64 exec, exec, s[4:5]
	s_cbranch_execnz .LBB81_133
; %bb.134:
	s_or_b64 exec, exec, s[4:5]
.LBB81_135:
	s_or_b64 exec, exec, s[12:13]
	v_mov_b32_e32 v42, 0
	ds_read_b64 v[42:43], v42 offset:24
	s_waitcnt lgkmcnt(0)
	v_mul_f64 v[37:38], v[37:38], v[42:43]
	buffer_store_dword v38, off, s[0:3], 0 offset:28
	buffer_store_dword v37, off, s[0:3], 0 offset:24
.LBB81_136:
	s_or_b64 exec, exec, s[8:9]
	buffer_load_dword v37, off, s[0:3], 0 offset:16
	buffer_load_dword v38, off, s[0:3], 0 offset:20
	v_cmp_lt_u32_e64 s[4:5], 2, v0
	s_waitcnt vmcnt(0)
	ds_write_b64 v40, v[37:38]
	s_waitcnt lgkmcnt(0)
	; wave barrier
	s_and_saveexec_b64 s[8:9], s[4:5]
	s_cbranch_execz .LBB81_146
; %bb.137:
	s_andn2_b64 vcc, exec, s[10:11]
	s_cbranch_vccnz .LBB81_139
; %bb.138:
	buffer_load_dword v37, v41, s[0:3], 0 offen
	buffer_load_dword v38, v41, s[0:3], 0 offen offset:4
	ds_read_b64 v[42:43], v40
	s_waitcnt vmcnt(0) lgkmcnt(0)
	v_mul_f64 v[37:38], v[37:38], v[42:43]
	s_cbranch_execz .LBB81_140
	s_branch .LBB81_141
.LBB81_139:
                                        ; implicit-def: $vgpr37_vgpr38
.LBB81_140:
	ds_read_b64 v[37:38], v40
.LBB81_141:
	s_and_saveexec_b64 s[12:13], s[6:7]
	s_cbranch_execz .LBB81_145
; %bb.142:
	v_add_u32_e32 v42, -3, v0
	s_movk_i32 s17, 0xa8
	s_mov_b64 s[6:7], 0
.LBB81_143:                             ; =>This Inner Loop Header: Depth=1
	v_mov_b32_e32 v45, s16
	buffer_load_dword v43, v45, s[0:3], 0 offen
	buffer_load_dword v44, v45, s[0:3], 0 offen offset:4
	v_mov_b32_e32 v45, s17
	ds_read_b64 v[45:46], v45
	v_add_u32_e32 v42, -1, v42
	s_add_i32 s17, s17, 8
	s_add_i32 s16, s16, 8
	v_cmp_eq_u32_e32 vcc, 0, v42
	s_or_b64 s[6:7], vcc, s[6:7]
	s_waitcnt vmcnt(0) lgkmcnt(0)
	v_fma_f64 v[37:38], v[43:44], v[45:46], v[37:38]
	s_andn2_b64 exec, exec, s[6:7]
	s_cbranch_execnz .LBB81_143
; %bb.144:
	s_or_b64 exec, exec, s[6:7]
.LBB81_145:
	s_or_b64 exec, exec, s[12:13]
	v_mov_b32_e32 v42, 0
	ds_read_b64 v[42:43], v42 offset:16
	s_waitcnt lgkmcnt(0)
	v_mul_f64 v[37:38], v[37:38], v[42:43]
	buffer_store_dword v38, off, s[0:3], 0 offset:20
	buffer_store_dword v37, off, s[0:3], 0 offset:16
.LBB81_146:
	s_or_b64 exec, exec, s[8:9]
	buffer_load_dword v37, off, s[0:3], 0 offset:8
	buffer_load_dword v38, off, s[0:3], 0 offset:12
	v_cmp_lt_u32_e64 s[6:7], 1, v0
	s_waitcnt vmcnt(0)
	ds_write_b64 v40, v[37:38]
	s_waitcnt lgkmcnt(0)
	; wave barrier
	s_and_saveexec_b64 s[8:9], s[6:7]
	s_cbranch_execz .LBB81_156
; %bb.147:
	s_andn2_b64 vcc, exec, s[10:11]
	s_cbranch_vccnz .LBB81_149
; %bb.148:
	buffer_load_dword v37, v41, s[0:3], 0 offen
	buffer_load_dword v38, v41, s[0:3], 0 offen offset:4
	ds_read_b64 v[42:43], v40
	s_waitcnt vmcnt(0) lgkmcnt(0)
	v_mul_f64 v[37:38], v[37:38], v[42:43]
	s_cbranch_execz .LBB81_150
	s_branch .LBB81_151
.LBB81_149:
                                        ; implicit-def: $vgpr37_vgpr38
.LBB81_150:
	ds_read_b64 v[37:38], v40
.LBB81_151:
	s_and_saveexec_b64 s[12:13], s[4:5]
	s_cbranch_execz .LBB81_155
; %bb.152:
	v_add_u32_e32 v42, -2, v0
	s_movk_i32 s16, 0xa0
	s_mov_b64 s[4:5], 0
.LBB81_153:                             ; =>This Inner Loop Header: Depth=1
	v_mov_b32_e32 v45, s15
	buffer_load_dword v43, v45, s[0:3], 0 offen
	buffer_load_dword v44, v45, s[0:3], 0 offen offset:4
	v_mov_b32_e32 v45, s16
	ds_read_b64 v[45:46], v45
	v_add_u32_e32 v42, -1, v42
	s_add_i32 s16, s16, 8
	s_add_i32 s15, s15, 8
	v_cmp_eq_u32_e32 vcc, 0, v42
	s_or_b64 s[4:5], vcc, s[4:5]
	s_waitcnt vmcnt(0) lgkmcnt(0)
	v_fma_f64 v[37:38], v[43:44], v[45:46], v[37:38]
	s_andn2_b64 exec, exec, s[4:5]
	s_cbranch_execnz .LBB81_153
; %bb.154:
	s_or_b64 exec, exec, s[4:5]
.LBB81_155:
	s_or_b64 exec, exec, s[12:13]
	v_mov_b32_e32 v42, 0
	ds_read_b64 v[42:43], v42 offset:8
	s_waitcnt lgkmcnt(0)
	v_mul_f64 v[37:38], v[37:38], v[42:43]
	buffer_store_dword v38, off, s[0:3], 0 offset:12
	buffer_store_dword v37, off, s[0:3], 0 offset:8
.LBB81_156:
	s_or_b64 exec, exec, s[8:9]
	buffer_load_dword v37, off, s[0:3], 0
	buffer_load_dword v38, off, s[0:3], 0 offset:4
	v_cmp_ne_u32_e32 vcc, 0, v0
	s_waitcnt vmcnt(0)
	ds_write_b64 v40, v[37:38]
	s_waitcnt lgkmcnt(0)
	; wave barrier
	s_and_saveexec_b64 s[4:5], vcc
	s_cbranch_execz .LBB81_166
; %bb.157:
	s_andn2_b64 vcc, exec, s[10:11]
	s_cbranch_vccnz .LBB81_159
; %bb.158:
	buffer_load_dword v37, v41, s[0:3], 0 offen
	buffer_load_dword v38, v41, s[0:3], 0 offen offset:4
	ds_read_b64 v[42:43], v40
	s_waitcnt vmcnt(0) lgkmcnt(0)
	v_mul_f64 v[37:38], v[37:38], v[42:43]
	s_cbranch_execz .LBB81_160
	s_branch .LBB81_161
.LBB81_159:
                                        ; implicit-def: $vgpr37_vgpr38
.LBB81_160:
	ds_read_b64 v[37:38], v40
.LBB81_161:
	s_and_saveexec_b64 s[8:9], s[6:7]
	s_cbranch_execz .LBB81_165
; %bb.162:
	v_add_u32_e32 v42, -1, v0
	s_movk_i32 s12, 0x98
	s_mov_b64 s[6:7], 0
.LBB81_163:                             ; =>This Inner Loop Header: Depth=1
	v_mov_b32_e32 v45, s14
	buffer_load_dword v43, v45, s[0:3], 0 offen
	buffer_load_dword v44, v45, s[0:3], 0 offen offset:4
	v_mov_b32_e32 v45, s12
	ds_read_b64 v[45:46], v45
	v_add_u32_e32 v42, -1, v42
	s_add_i32 s12, s12, 8
	s_add_i32 s14, s14, 8
	v_cmp_eq_u32_e32 vcc, 0, v42
	s_or_b64 s[6:7], vcc, s[6:7]
	s_waitcnt vmcnt(0) lgkmcnt(0)
	v_fma_f64 v[37:38], v[43:44], v[45:46], v[37:38]
	s_andn2_b64 exec, exec, s[6:7]
	s_cbranch_execnz .LBB81_163
; %bb.164:
	s_or_b64 exec, exec, s[6:7]
.LBB81_165:
	s_or_b64 exec, exec, s[8:9]
	v_mov_b32_e32 v42, 0
	ds_read_b64 v[42:43], v42
	s_waitcnt lgkmcnt(0)
	v_mul_f64 v[37:38], v[37:38], v[42:43]
	buffer_store_dword v38, off, s[0:3], 0 offset:4
	buffer_store_dword v37, off, s[0:3], 0
.LBB81_166:
	s_or_b64 exec, exec, s[4:5]
	s_mov_b64 s[4:5], 0
.LBB81_167:
	s_and_b64 vcc, exec, s[4:5]
	s_cbranch_vccz .LBB81_329
; %bb.168:
	buffer_load_dword v37, off, s[0:3], 0 offset:8
	buffer_load_dword v38, off, s[0:3], 0 offset:12
	v_cmp_eq_u32_e64 s[6:7], 0, v0
	s_waitcnt vmcnt(0)
	ds_write_b64 v40, v[37:38]
	s_waitcnt lgkmcnt(0)
	; wave barrier
	s_and_saveexec_b64 s[4:5], s[6:7]
	s_cbranch_execz .LBB81_174
; %bb.169:
	s_and_b64 vcc, exec, s[10:11]
	s_cbranch_vccz .LBB81_171
; %bb.170:
	buffer_load_dword v37, v41, s[0:3], 0 offen
	buffer_load_dword v38, v41, s[0:3], 0 offen offset:4
	ds_read_b64 v[42:43], v40
	s_waitcnt vmcnt(0) lgkmcnt(0)
	v_mul_f64 v[37:38], v[37:38], v[42:43]
	s_cbranch_execz .LBB81_172
	s_branch .LBB81_173
.LBB81_171:
                                        ; implicit-def: $vgpr37_vgpr38
.LBB81_172:
	ds_read_b64 v[37:38], v40
.LBB81_173:
	v_mov_b32_e32 v42, 0
	ds_read_b64 v[42:43], v42 offset:8
	s_waitcnt lgkmcnt(0)
	v_mul_f64 v[37:38], v[37:38], v[42:43]
	buffer_store_dword v38, off, s[0:3], 0 offset:12
	buffer_store_dword v37, off, s[0:3], 0 offset:8
.LBB81_174:
	s_or_b64 exec, exec, s[4:5]
	buffer_load_dword v37, off, s[0:3], 0 offset:16
	buffer_load_dword v38, off, s[0:3], 0 offset:20
	v_cndmask_b32_e64 v42, 0, 1, s[10:11]
	v_cmp_gt_u32_e32 vcc, 2, v0
	v_cmp_ne_u32_e64 s[4:5], 1, v42
	s_waitcnt vmcnt(0)
	ds_write_b64 v40, v[37:38]
	s_waitcnt lgkmcnt(0)
	; wave barrier
	s_and_saveexec_b64 s[8:9], vcc
	s_cbranch_execz .LBB81_180
; %bb.175:
	s_and_b64 vcc, exec, s[4:5]
	s_cbranch_vccnz .LBB81_177
; %bb.176:
	buffer_load_dword v37, v41, s[0:3], 0 offen
	buffer_load_dword v38, v41, s[0:3], 0 offen offset:4
	ds_read_b64 v[42:43], v40
	s_waitcnt vmcnt(0) lgkmcnt(0)
	v_mul_f64 v[37:38], v[37:38], v[42:43]
	s_cbranch_execz .LBB81_178
	s_branch .LBB81_179
.LBB81_177:
                                        ; implicit-def: $vgpr37_vgpr38
.LBB81_178:
	ds_read_b64 v[37:38], v40
.LBB81_179:
	buffer_load_dword v46, off, s[0:3], 0 offset:8
	buffer_load_dword v47, off, s[0:3], 0 offset:12
	v_mov_b32_e32 v42, 0
	ds_read2_b64 v[42:45], v42 offset0:2 offset1:19
	s_waitcnt vmcnt(0) lgkmcnt(0)
	v_fma_f64 v[44:45], v[46:47], v[44:45], v[37:38]
	v_cndmask_b32_e64 v38, v38, v45, s[6:7]
	v_cndmask_b32_e64 v37, v37, v44, s[6:7]
	v_mul_f64 v[37:38], v[37:38], v[42:43]
	buffer_store_dword v38, off, s[0:3], 0 offset:20
	buffer_store_dword v37, off, s[0:3], 0 offset:16
.LBB81_180:
	s_or_b64 exec, exec, s[8:9]
	buffer_load_dword v37, off, s[0:3], 0 offset:24
	buffer_load_dword v38, off, s[0:3], 0 offset:28
	v_cmp_gt_u32_e32 vcc, 3, v0
	s_waitcnt vmcnt(0)
	ds_write_b64 v40, v[37:38]
	s_waitcnt lgkmcnt(0)
	; wave barrier
	s_and_saveexec_b64 s[8:9], vcc
	s_cbranch_execz .LBB81_188
; %bb.181:
	s_and_b64 vcc, exec, s[4:5]
	s_cbranch_vccnz .LBB81_183
; %bb.182:
	buffer_load_dword v37, v41, s[0:3], 0 offen
	buffer_load_dword v38, v41, s[0:3], 0 offen offset:4
	ds_read_b64 v[42:43], v40
	s_waitcnt vmcnt(0) lgkmcnt(0)
	v_mul_f64 v[37:38], v[37:38], v[42:43]
	s_cbranch_execz .LBB81_184
	s_branch .LBB81_185
.LBB81_183:
                                        ; implicit-def: $vgpr37_vgpr38
.LBB81_184:
	ds_read_b64 v[37:38], v40
.LBB81_185:
	v_cmp_ne_u32_e32 vcc, 2, v0
	s_and_saveexec_b64 s[10:11], vcc
	s_cbranch_execz .LBB81_187
; %bb.186:
	buffer_load_dword v42, v41, s[0:3], 0 offen offset:8
	buffer_load_dword v43, v41, s[0:3], 0 offen offset:12
	buffer_load_dword v44, off, s[0:3], 0 offset:16
	buffer_load_dword v45, off, s[0:3], 0 offset:20
	ds_read_b64 v[46:47], v40 offset:8
	v_mov_b32_e32 v48, 0
	ds_read_b64 v[48:49], v48 offset:160
	s_waitcnt vmcnt(2) lgkmcnt(1)
	v_fma_f64 v[37:38], v[42:43], v[46:47], v[37:38]
	s_waitcnt vmcnt(0) lgkmcnt(0)
	v_fma_f64 v[42:43], v[44:45], v[48:49], v[37:38]
	v_cndmask_b32_e64 v38, v38, v43, s[6:7]
	v_cndmask_b32_e64 v37, v37, v42, s[6:7]
.LBB81_187:
	s_or_b64 exec, exec, s[10:11]
	v_mov_b32_e32 v42, 0
	ds_read_b64 v[42:43], v42 offset:24
	s_waitcnt lgkmcnt(0)
	v_mul_f64 v[37:38], v[37:38], v[42:43]
	buffer_store_dword v38, off, s[0:3], 0 offset:28
	buffer_store_dword v37, off, s[0:3], 0 offset:24
.LBB81_188:
	s_or_b64 exec, exec, s[8:9]
	buffer_load_dword v37, off, s[0:3], 0 offset:32
	buffer_load_dword v38, off, s[0:3], 0 offset:36
	v_cmp_gt_u32_e32 vcc, 4, v0
	s_waitcnt vmcnt(0)
	ds_write_b64 v40, v[37:38]
	s_waitcnt lgkmcnt(0)
	; wave barrier
	s_and_saveexec_b64 s[6:7], vcc
	s_cbranch_execz .LBB81_198
; %bb.189:
	s_and_b64 vcc, exec, s[4:5]
	s_cbranch_vccnz .LBB81_191
; %bb.190:
	buffer_load_dword v37, v41, s[0:3], 0 offen
	buffer_load_dword v38, v41, s[0:3], 0 offen offset:4
	ds_read_b64 v[42:43], v40
	s_waitcnt vmcnt(0) lgkmcnt(0)
	v_mul_f64 v[37:38], v[37:38], v[42:43]
	s_cbranch_execz .LBB81_192
	s_branch .LBB81_193
.LBB81_191:
                                        ; implicit-def: $vgpr37_vgpr38
.LBB81_192:
	ds_read_b64 v[37:38], v40
.LBB81_193:
	v_cmp_ne_u32_e32 vcc, 3, v0
	s_and_saveexec_b64 s[8:9], vcc
	s_cbranch_execz .LBB81_197
; %bb.194:
	s_mov_b32 s10, 0
	v_add_u32_e32 v42, 0x98, v39
	v_add3_u32 v43, v39, s10, 8
	s_mov_b64 s[10:11], 0
	v_mov_b32_e32 v44, v0
.LBB81_195:                             ; =>This Inner Loop Header: Depth=1
	buffer_load_dword v45, v43, s[0:3], 0 offen
	buffer_load_dword v46, v43, s[0:3], 0 offen offset:4
	ds_read_b64 v[47:48], v42
	v_add_u32_e32 v44, 1, v44
	v_cmp_lt_u32_e32 vcc, 2, v44
	v_add_u32_e32 v42, 8, v42
	s_or_b64 s[10:11], vcc, s[10:11]
	v_add_u32_e32 v43, 8, v43
	s_waitcnt vmcnt(0) lgkmcnt(0)
	v_fma_f64 v[37:38], v[45:46], v[47:48], v[37:38]
	s_andn2_b64 exec, exec, s[10:11]
	s_cbranch_execnz .LBB81_195
; %bb.196:
	s_or_b64 exec, exec, s[10:11]
.LBB81_197:
	s_or_b64 exec, exec, s[8:9]
	v_mov_b32_e32 v42, 0
	ds_read_b64 v[42:43], v42 offset:32
	s_waitcnt lgkmcnt(0)
	v_mul_f64 v[37:38], v[37:38], v[42:43]
	buffer_store_dword v38, off, s[0:3], 0 offset:36
	buffer_store_dword v37, off, s[0:3], 0 offset:32
.LBB81_198:
	s_or_b64 exec, exec, s[6:7]
	buffer_load_dword v37, off, s[0:3], 0 offset:40
	buffer_load_dword v38, off, s[0:3], 0 offset:44
	v_cmp_gt_u32_e32 vcc, 5, v0
	s_waitcnt vmcnt(0)
	ds_write_b64 v40, v[37:38]
	s_waitcnt lgkmcnt(0)
	; wave barrier
	s_and_saveexec_b64 s[6:7], vcc
	s_cbranch_execz .LBB81_208
; %bb.199:
	s_and_b64 vcc, exec, s[4:5]
	s_cbranch_vccnz .LBB81_201
; %bb.200:
	buffer_load_dword v37, v41, s[0:3], 0 offen
	buffer_load_dword v38, v41, s[0:3], 0 offen offset:4
	ds_read_b64 v[42:43], v40
	s_waitcnt vmcnt(0) lgkmcnt(0)
	v_mul_f64 v[37:38], v[37:38], v[42:43]
	s_cbranch_execz .LBB81_202
	s_branch .LBB81_203
.LBB81_201:
                                        ; implicit-def: $vgpr37_vgpr38
.LBB81_202:
	ds_read_b64 v[37:38], v40
.LBB81_203:
	v_cmp_ne_u32_e32 vcc, 4, v0
	s_and_saveexec_b64 s[8:9], vcc
	s_cbranch_execz .LBB81_207
; %bb.204:
	s_mov_b32 s10, 0
	v_add_u32_e32 v42, 0x98, v39
	v_add3_u32 v43, v39, s10, 8
	s_mov_b64 s[10:11], 0
	v_mov_b32_e32 v44, v0
.LBB81_205:                             ; =>This Inner Loop Header: Depth=1
	buffer_load_dword v45, v43, s[0:3], 0 offen
	buffer_load_dword v46, v43, s[0:3], 0 offen offset:4
	ds_read_b64 v[47:48], v42
	v_add_u32_e32 v44, 1, v44
	v_cmp_lt_u32_e32 vcc, 3, v44
	v_add_u32_e32 v42, 8, v42
	s_or_b64 s[10:11], vcc, s[10:11]
	v_add_u32_e32 v43, 8, v43
	s_waitcnt vmcnt(0) lgkmcnt(0)
	v_fma_f64 v[37:38], v[45:46], v[47:48], v[37:38]
	s_andn2_b64 exec, exec, s[10:11]
	s_cbranch_execnz .LBB81_205
; %bb.206:
	s_or_b64 exec, exec, s[10:11]
.LBB81_207:
	s_or_b64 exec, exec, s[8:9]
	v_mov_b32_e32 v42, 0
	ds_read_b64 v[42:43], v42 offset:40
	s_waitcnt lgkmcnt(0)
	v_mul_f64 v[37:38], v[37:38], v[42:43]
	buffer_store_dword v38, off, s[0:3], 0 offset:44
	buffer_store_dword v37, off, s[0:3], 0 offset:40
.LBB81_208:
	;; [unrolled: 59-line block ×12, first 2 shown]
	s_or_b64 exec, exec, s[6:7]
	buffer_load_dword v37, off, s[0:3], 0 offset:128
	buffer_load_dword v38, off, s[0:3], 0 offset:132
	v_cmp_gt_u32_e64 s[6:7], 16, v0
	s_waitcnt vmcnt(0)
	ds_write_b64 v40, v[37:38]
	s_waitcnt lgkmcnt(0)
	; wave barrier
	s_and_saveexec_b64 s[8:9], s[6:7]
	s_cbranch_execz .LBB81_318
; %bb.309:
	s_and_b64 vcc, exec, s[4:5]
	s_cbranch_vccnz .LBB81_311
; %bb.310:
	buffer_load_dword v37, v41, s[0:3], 0 offen
	buffer_load_dword v38, v41, s[0:3], 0 offen offset:4
	ds_read_b64 v[42:43], v40
	s_waitcnt vmcnt(0) lgkmcnt(0)
	v_mul_f64 v[37:38], v[37:38], v[42:43]
	s_cbranch_execz .LBB81_312
	s_branch .LBB81_313
.LBB81_311:
                                        ; implicit-def: $vgpr37_vgpr38
.LBB81_312:
	ds_read_b64 v[37:38], v40
.LBB81_313:
	v_cmp_ne_u32_e32 vcc, 15, v0
	s_and_saveexec_b64 s[10:11], vcc
	s_cbranch_execz .LBB81_317
; %bb.314:
	s_mov_b32 s12, 0
	v_add_u32_e32 v42, 0x98, v39
	v_add3_u32 v43, v39, s12, 8
	s_mov_b64 s[12:13], 0
	v_mov_b32_e32 v44, v0
.LBB81_315:                             ; =>This Inner Loop Header: Depth=1
	buffer_load_dword v45, v43, s[0:3], 0 offen
	buffer_load_dword v46, v43, s[0:3], 0 offen offset:4
	ds_read_b64 v[47:48], v42
	v_add_u32_e32 v44, 1, v44
	v_cmp_lt_u32_e32 vcc, 14, v44
	v_add_u32_e32 v42, 8, v42
	s_or_b64 s[12:13], vcc, s[12:13]
	v_add_u32_e32 v43, 8, v43
	s_waitcnt vmcnt(0) lgkmcnt(0)
	v_fma_f64 v[37:38], v[45:46], v[47:48], v[37:38]
	s_andn2_b64 exec, exec, s[12:13]
	s_cbranch_execnz .LBB81_315
; %bb.316:
	s_or_b64 exec, exec, s[12:13]
.LBB81_317:
	s_or_b64 exec, exec, s[10:11]
	v_mov_b32_e32 v42, 0
	ds_read_b64 v[42:43], v42 offset:128
	s_waitcnt lgkmcnt(0)
	v_mul_f64 v[37:38], v[37:38], v[42:43]
	buffer_store_dword v38, off, s[0:3], 0 offset:132
	buffer_store_dword v37, off, s[0:3], 0 offset:128
.LBB81_318:
	s_or_b64 exec, exec, s[8:9]
	buffer_load_dword v37, off, s[0:3], 0 offset:136
	buffer_load_dword v38, off, s[0:3], 0 offset:140
	v_cmp_ne_u32_e32 vcc, 17, v0
	s_waitcnt vmcnt(0)
	ds_write_b64 v40, v[37:38]
	s_waitcnt lgkmcnt(0)
	; wave barrier
	s_and_saveexec_b64 s[8:9], vcc
	s_cbranch_execz .LBB81_328
; %bb.319:
	s_and_b64 vcc, exec, s[4:5]
	s_cbranch_vccnz .LBB81_321
; %bb.320:
	buffer_load_dword v37, v41, s[0:3], 0 offen
	buffer_load_dword v38, v41, s[0:3], 0 offen offset:4
	ds_read_b64 v[41:42], v40
	s_waitcnt vmcnt(0) lgkmcnt(0)
	v_mul_f64 v[37:38], v[37:38], v[41:42]
	s_cbranch_execz .LBB81_322
	s_branch .LBB81_323
.LBB81_321:
                                        ; implicit-def: $vgpr37_vgpr38
.LBB81_322:
	ds_read_b64 v[37:38], v40
.LBB81_323:
	s_and_saveexec_b64 s[4:5], s[6:7]
	s_cbranch_execz .LBB81_327
; %bb.324:
	s_mov_b32 s6, 0
	v_add_u32_e32 v40, 0x98, v39
	v_add3_u32 v39, v39, s6, 8
	s_mov_b64 s[6:7], 0
.LBB81_325:                             ; =>This Inner Loop Header: Depth=1
	buffer_load_dword v41, v39, s[0:3], 0 offen
	buffer_load_dword v42, v39, s[0:3], 0 offen offset:4
	ds_read_b64 v[43:44], v40
	v_add_u32_e32 v0, 1, v0
	v_cmp_lt_u32_e32 vcc, 15, v0
	v_add_u32_e32 v40, 8, v40
	s_or_b64 s[6:7], vcc, s[6:7]
	v_add_u32_e32 v39, 8, v39
	s_waitcnt vmcnt(0) lgkmcnt(0)
	v_fma_f64 v[37:38], v[41:42], v[43:44], v[37:38]
	s_andn2_b64 exec, exec, s[6:7]
	s_cbranch_execnz .LBB81_325
; %bb.326:
	s_or_b64 exec, exec, s[6:7]
.LBB81_327:
	s_or_b64 exec, exec, s[4:5]
	v_mov_b32_e32 v0, 0
	ds_read_b64 v[39:40], v0 offset:136
	s_waitcnt lgkmcnt(0)
	v_mul_f64 v[37:38], v[37:38], v[39:40]
	buffer_store_dword v38, off, s[0:3], 0 offset:140
	buffer_store_dword v37, off, s[0:3], 0 offset:136
.LBB81_328:
	s_or_b64 exec, exec, s[8:9]
.LBB81_329:
	buffer_load_dword v37, off, s[0:3], 0
	buffer_load_dword v38, off, s[0:3], 0 offset:4
	s_waitcnt vmcnt(0)
	flat_store_dwordx2 v[1:2], v[37:38]
	buffer_load_dword v0, off, s[0:3], 0 offset:8
	s_nop 0
	buffer_load_dword v1, off, s[0:3], 0 offset:12
	s_waitcnt vmcnt(0)
	flat_store_dwordx2 v[3:4], v[0:1]
	buffer_load_dword v0, off, s[0:3], 0 offset:16
	s_nop 0
	;; [unrolled: 5-line block ×17, first 2 shown]
	buffer_load_dword v1, off, s[0:3], 0 offset:140
	s_waitcnt vmcnt(0)
	flat_store_dwordx2 v[35:36], v[0:1]
.LBB81_330:
	s_endpgm
	.section	.rodata,"a",@progbits
	.p2align	6, 0x0
	.amdhsa_kernel _ZN9rocsolver6v33100L18trti2_kernel_smallILi18EdPKPdEEv13rocblas_fill_17rocblas_diagonal_T1_iil
		.amdhsa_group_segment_fixed_size 288
		.amdhsa_private_segment_fixed_size 160
		.amdhsa_kernarg_size 32
		.amdhsa_user_sgpr_count 6
		.amdhsa_user_sgpr_private_segment_buffer 1
		.amdhsa_user_sgpr_dispatch_ptr 0
		.amdhsa_user_sgpr_queue_ptr 0
		.amdhsa_user_sgpr_kernarg_segment_ptr 1
		.amdhsa_user_sgpr_dispatch_id 0
		.amdhsa_user_sgpr_flat_scratch_init 0
		.amdhsa_user_sgpr_private_segment_size 0
		.amdhsa_uses_dynamic_stack 0
		.amdhsa_system_sgpr_private_segment_wavefront_offset 1
		.amdhsa_system_sgpr_workgroup_id_x 1
		.amdhsa_system_sgpr_workgroup_id_y 0
		.amdhsa_system_sgpr_workgroup_id_z 0
		.amdhsa_system_sgpr_workgroup_info 0
		.amdhsa_system_vgpr_workitem_id 0
		.amdhsa_next_free_vgpr 50
		.amdhsa_next_free_sgpr 30
		.amdhsa_reserve_vcc 1
		.amdhsa_reserve_flat_scratch 0
		.amdhsa_float_round_mode_32 0
		.amdhsa_float_round_mode_16_64 0
		.amdhsa_float_denorm_mode_32 3
		.amdhsa_float_denorm_mode_16_64 3
		.amdhsa_dx10_clamp 1
		.amdhsa_ieee_mode 1
		.amdhsa_fp16_overflow 0
		.amdhsa_exception_fp_ieee_invalid_op 0
		.amdhsa_exception_fp_denorm_src 0
		.amdhsa_exception_fp_ieee_div_zero 0
		.amdhsa_exception_fp_ieee_overflow 0
		.amdhsa_exception_fp_ieee_underflow 0
		.amdhsa_exception_fp_ieee_inexact 0
		.amdhsa_exception_int_div_zero 0
	.end_amdhsa_kernel
	.section	.text._ZN9rocsolver6v33100L18trti2_kernel_smallILi18EdPKPdEEv13rocblas_fill_17rocblas_diagonal_T1_iil,"axG",@progbits,_ZN9rocsolver6v33100L18trti2_kernel_smallILi18EdPKPdEEv13rocblas_fill_17rocblas_diagonal_T1_iil,comdat
.Lfunc_end81:
	.size	_ZN9rocsolver6v33100L18trti2_kernel_smallILi18EdPKPdEEv13rocblas_fill_17rocblas_diagonal_T1_iil, .Lfunc_end81-_ZN9rocsolver6v33100L18trti2_kernel_smallILi18EdPKPdEEv13rocblas_fill_17rocblas_diagonal_T1_iil
                                        ; -- End function
	.set _ZN9rocsolver6v33100L18trti2_kernel_smallILi18EdPKPdEEv13rocblas_fill_17rocblas_diagonal_T1_iil.num_vgpr, 50
	.set _ZN9rocsolver6v33100L18trti2_kernel_smallILi18EdPKPdEEv13rocblas_fill_17rocblas_diagonal_T1_iil.num_agpr, 0
	.set _ZN9rocsolver6v33100L18trti2_kernel_smallILi18EdPKPdEEv13rocblas_fill_17rocblas_diagonal_T1_iil.numbered_sgpr, 30
	.set _ZN9rocsolver6v33100L18trti2_kernel_smallILi18EdPKPdEEv13rocblas_fill_17rocblas_diagonal_T1_iil.num_named_barrier, 0
	.set _ZN9rocsolver6v33100L18trti2_kernel_smallILi18EdPKPdEEv13rocblas_fill_17rocblas_diagonal_T1_iil.private_seg_size, 160
	.set _ZN9rocsolver6v33100L18trti2_kernel_smallILi18EdPKPdEEv13rocblas_fill_17rocblas_diagonal_T1_iil.uses_vcc, 1
	.set _ZN9rocsolver6v33100L18trti2_kernel_smallILi18EdPKPdEEv13rocblas_fill_17rocblas_diagonal_T1_iil.uses_flat_scratch, 0
	.set _ZN9rocsolver6v33100L18trti2_kernel_smallILi18EdPKPdEEv13rocblas_fill_17rocblas_diagonal_T1_iil.has_dyn_sized_stack, 0
	.set _ZN9rocsolver6v33100L18trti2_kernel_smallILi18EdPKPdEEv13rocblas_fill_17rocblas_diagonal_T1_iil.has_recursion, 0
	.set _ZN9rocsolver6v33100L18trti2_kernel_smallILi18EdPKPdEEv13rocblas_fill_17rocblas_diagonal_T1_iil.has_indirect_call, 0
	.section	.AMDGPU.csdata,"",@progbits
; Kernel info:
; codeLenInByte = 10304
; TotalNumSgprs: 34
; NumVgprs: 50
; ScratchSize: 160
; MemoryBound: 0
; FloatMode: 240
; IeeeMode: 1
; LDSByteSize: 288 bytes/workgroup (compile time only)
; SGPRBlocks: 4
; VGPRBlocks: 12
; NumSGPRsForWavesPerEU: 34
; NumVGPRsForWavesPerEU: 50
; Occupancy: 4
; WaveLimiterHint : 1
; COMPUTE_PGM_RSRC2:SCRATCH_EN: 1
; COMPUTE_PGM_RSRC2:USER_SGPR: 6
; COMPUTE_PGM_RSRC2:TRAP_HANDLER: 0
; COMPUTE_PGM_RSRC2:TGID_X_EN: 1
; COMPUTE_PGM_RSRC2:TGID_Y_EN: 0
; COMPUTE_PGM_RSRC2:TGID_Z_EN: 0
; COMPUTE_PGM_RSRC2:TIDIG_COMP_CNT: 0
	.section	.text._ZN9rocsolver6v33100L18trti2_kernel_smallILi19EdPKPdEEv13rocblas_fill_17rocblas_diagonal_T1_iil,"axG",@progbits,_ZN9rocsolver6v33100L18trti2_kernel_smallILi19EdPKPdEEv13rocblas_fill_17rocblas_diagonal_T1_iil,comdat
	.globl	_ZN9rocsolver6v33100L18trti2_kernel_smallILi19EdPKPdEEv13rocblas_fill_17rocblas_diagonal_T1_iil ; -- Begin function _ZN9rocsolver6v33100L18trti2_kernel_smallILi19EdPKPdEEv13rocblas_fill_17rocblas_diagonal_T1_iil
	.p2align	8
	.type	_ZN9rocsolver6v33100L18trti2_kernel_smallILi19EdPKPdEEv13rocblas_fill_17rocblas_diagonal_T1_iil,@function
_ZN9rocsolver6v33100L18trti2_kernel_smallILi19EdPKPdEEv13rocblas_fill_17rocblas_diagonal_T1_iil: ; @_ZN9rocsolver6v33100L18trti2_kernel_smallILi19EdPKPdEEv13rocblas_fill_17rocblas_diagonal_T1_iil
; %bb.0:
	s_add_u32 s0, s0, s7
	s_addc_u32 s1, s1, 0
	v_cmp_gt_u32_e32 vcc, 19, v0
	s_and_saveexec_b64 s[8:9], vcc
	s_cbranch_execz .LBB82_350
; %bb.1:
	s_load_dwordx2 s[12:13], s[4:5], 0x10
	s_load_dwordx4 s[8:11], s[4:5], 0x0
	s_ashr_i32 s7, s6, 31
	s_lshl_b64 s[6:7], s[6:7], 3
	v_lshlrev_b32_e32 v41, 3, v0
	s_waitcnt lgkmcnt(0)
	s_ashr_i32 s5, s12, 31
	s_add_u32 s6, s10, s6
	s_addc_u32 s7, s11, s7
	s_load_dwordx2 s[6:7], s[6:7], 0x0
	s_mov_b32 s4, s12
	s_lshl_b64 s[4:5], s[4:5], 3
	s_waitcnt lgkmcnt(0)
	s_add_u32 s6, s6, s4
	s_addc_u32 s7, s7, s5
	v_mov_b32_e32 v2, s7
	v_add_co_u32_e32 v1, vcc, s6, v41
	v_addc_co_u32_e32 v2, vcc, 0, v2, vcc
	flat_load_dwordx2 v[5:6], v[1:2]
	s_mov_b32 s4, s13
	s_ashr_i32 s5, s13, 31
	s_lshl_b64 s[4:5], s[4:5], 3
	v_mov_b32_e32 v4, s5
	v_add_co_u32_e32 v3, vcc, s4, v1
	v_addc_co_u32_e32 v4, vcc, v2, v4, vcc
	s_add_i32 s4, s13, s13
	v_add_u32_e32 v9, s4, v0
	v_ashrrev_i32_e32 v10, 31, v9
	v_mov_b32_e32 v11, s7
	v_add_u32_e32 v12, s13, v9
	v_ashrrev_i32_e32 v13, 31, v12
	v_mov_b32_e32 v14, s7
	v_mov_b32_e32 v15, s7
	;; [unrolled: 1-line block ×15, first 2 shown]
	s_cmpk_lg_i32 s9, 0x84
	s_cselect_b64 s[10:11], -1, 0
	s_cmpk_eq_i32 s9, 0x84
	s_waitcnt vmcnt(0) lgkmcnt(0)
	buffer_store_dword v6, off, s[0:3], 0 offset:4
	buffer_store_dword v5, off, s[0:3], 0
	flat_load_dwordx2 v[7:8], v[3:4]
	v_lshlrev_b64 v[5:6], 3, v[9:10]
	s_waitcnt vmcnt(0) lgkmcnt(0)
	buffer_store_dword v8, off, s[0:3], 0 offset:12
	buffer_store_dword v7, off, s[0:3], 0 offset:8
	v_add_co_u32_e32 v5, vcc, s6, v5
	v_addc_co_u32_e32 v6, vcc, v11, v6, vcc
	flat_load_dwordx2 v[10:11], v[5:6]
	v_lshlrev_b64 v[7:8], 3, v[12:13]
	s_waitcnt vmcnt(0) lgkmcnt(0)
	buffer_store_dword v11, off, s[0:3], 0 offset:20
	buffer_store_dword v10, off, s[0:3], 0 offset:16
	v_add_co_u32_e32 v7, vcc, s6, v7
	v_addc_co_u32_e32 v8, vcc, v14, v8, vcc
	flat_load_dwordx2 v[13:14], v[7:8]
	v_add_u32_e32 v11, s13, v12
	v_ashrrev_i32_e32 v12, 31, v11
	v_lshlrev_b64 v[9:10], 3, v[11:12]
	s_waitcnt vmcnt(0) lgkmcnt(0)
	buffer_store_dword v14, off, s[0:3], 0 offset:28
	buffer_store_dword v13, off, s[0:3], 0 offset:24
	v_add_co_u32_e32 v9, vcc, s6, v9
	v_addc_co_u32_e32 v10, vcc, v15, v10, vcc
	flat_load_dwordx2 v[13:14], v[9:10]
	v_add_u32_e32 v15, s13, v11
	v_ashrrev_i32_e32 v16, 31, v15
	v_lshlrev_b64 v[11:12], 3, v[15:16]
	v_add_u32_e32 v18, s13, v15
	v_add_co_u32_e32 v11, vcc, s6, v11
	v_addc_co_u32_e32 v12, vcc, v17, v12, vcc
	v_ashrrev_i32_e32 v19, 31, v18
	s_waitcnt vmcnt(0) lgkmcnt(0)
	buffer_store_dword v14, off, s[0:3], 0 offset:36
	buffer_store_dword v13, off, s[0:3], 0 offset:32
	flat_load_dwordx2 v[16:17], v[11:12]
	v_lshlrev_b64 v[13:14], 3, v[18:19]
	s_waitcnt vmcnt(0) lgkmcnt(0)
	buffer_store_dword v17, off, s[0:3], 0 offset:44
	buffer_store_dword v16, off, s[0:3], 0 offset:40
	v_add_co_u32_e32 v13, vcc, s6, v13
	v_addc_co_u32_e32 v14, vcc, v20, v14, vcc
	flat_load_dwordx2 v[19:20], v[13:14]
	v_add_u32_e32 v17, s13, v18
	v_ashrrev_i32_e32 v18, 31, v17
	v_lshlrev_b64 v[15:16], 3, v[17:18]
	s_waitcnt vmcnt(0) lgkmcnt(0)
	buffer_store_dword v20, off, s[0:3], 0 offset:52
	buffer_store_dword v19, off, s[0:3], 0 offset:48
	v_add_co_u32_e32 v15, vcc, s6, v15
	v_addc_co_u32_e32 v16, vcc, v21, v16, vcc
	flat_load_dwordx2 v[19:20], v[15:16]
	v_add_u32_e32 v21, s13, v17
	v_ashrrev_i32_e32 v22, 31, v21
	v_lshlrev_b64 v[17:18], 3, v[21:22]
	v_add_u32_e32 v24, s13, v21
	v_add_co_u32_e32 v17, vcc, s6, v17
	v_addc_co_u32_e32 v18, vcc, v23, v18, vcc
	v_ashrrev_i32_e32 v25, 31, v24
	s_waitcnt vmcnt(0) lgkmcnt(0)
	buffer_store_dword v20, off, s[0:3], 0 offset:60
	buffer_store_dword v19, off, s[0:3], 0 offset:56
	;; [unrolled: 27-line block ×4, first 2 shown]
	flat_load_dwordx2 v[34:35], v[29:30]
	v_lshlrev_b64 v[31:32], 3, v[36:37]
	s_waitcnt vmcnt(0) lgkmcnt(0)
	buffer_store_dword v35, off, s[0:3], 0 offset:116
	buffer_store_dword v34, off, s[0:3], 0 offset:112
	v_add_co_u32_e32 v31, vcc, s6, v31
	v_addc_co_u32_e32 v32, vcc, v38, v32, vcc
	flat_load_dwordx2 v[37:38], v[31:32]
	v_add_u32_e32 v35, s13, v36
	v_ashrrev_i32_e32 v36, 31, v35
	v_lshlrev_b64 v[33:34], 3, v[35:36]
	s_waitcnt vmcnt(0) lgkmcnt(0)
	buffer_store_dword v38, off, s[0:3], 0 offset:124
	buffer_store_dword v37, off, s[0:3], 0 offset:120
	v_add_co_u32_e32 v33, vcc, s6, v33
	v_addc_co_u32_e32 v34, vcc, v39, v34, vcc
	flat_load_dwordx2 v[37:38], v[33:34]
	v_add_u32_e32 v39, s13, v35
	v_ashrrev_i32_e32 v40, 31, v39
	v_lshlrev_b64 v[35:36], 3, v[39:40]
	v_mov_b32_e32 v40, s7
	v_add_co_u32_e32 v35, vcc, s6, v35
	v_addc_co_u32_e32 v36, vcc, v42, v36, vcc
	s_waitcnt vmcnt(0) lgkmcnt(0)
	buffer_store_dword v38, off, s[0:3], 0 offset:132
	buffer_store_dword v37, off, s[0:3], 0 offset:128
	flat_load_dwordx2 v[42:43], v[35:36]
	v_add_u32_e32 v37, s13, v39
	v_ashrrev_i32_e32 v38, 31, v37
	v_lshlrev_b64 v[37:38], 3, v[37:38]
	s_waitcnt vmcnt(0) lgkmcnt(0)
	buffer_store_dword v43, off, s[0:3], 0 offset:140
	buffer_store_dword v42, off, s[0:3], 0 offset:136
	v_add_co_u32_e32 v37, vcc, s6, v37
	v_addc_co_u32_e32 v38, vcc, v40, v38, vcc
	flat_load_dwordx2 v[42:43], v[37:38]
	v_mov_b32_e32 v39, 0
	v_mov_b32_e32 v40, 0xbff00000
	s_waitcnt vmcnt(0) lgkmcnt(0)
	buffer_store_dword v43, off, s[0:3], 0 offset:148
	buffer_store_dword v42, off, s[0:3], 0 offset:144
	s_cbranch_scc1 .LBB82_3
; %bb.2:
	v_mov_b32_e32 v39, 0
	v_lshl_add_u32 v50, v0, 3, v39
	buffer_load_dword v39, v50, s[0:3], 0 offen
	buffer_load_dword v40, v50, s[0:3], 0 offen offset:4
	s_waitcnt vmcnt(0)
	v_div_scale_f64 v[42:43], s[4:5], v[39:40], v[39:40], 1.0
	v_rcp_f64_e32 v[44:45], v[42:43]
	v_fma_f64 v[46:47], -v[42:43], v[44:45], 1.0
	v_fma_f64 v[44:45], v[44:45], v[46:47], v[44:45]
	v_div_scale_f64 v[46:47], vcc, 1.0, v[39:40], 1.0
	v_fma_f64 v[48:49], -v[42:43], v[44:45], 1.0
	v_fma_f64 v[44:45], v[44:45], v[48:49], v[44:45]
	v_mul_f64 v[48:49], v[46:47], v[44:45]
	v_fma_f64 v[42:43], -v[42:43], v[48:49], v[46:47]
	v_div_fmas_f64 v[42:43], v[42:43], v[44:45], v[48:49]
	v_div_fixup_f64 v[39:40], v[42:43], v[39:40], 1.0
	buffer_store_dword v39, v50, s[0:3], 0 offen
	buffer_store_dword v40, v50, s[0:3], 0 offen offset:4
	v_xor_b32_e32 v40, 0x80000000, v40
.LBB82_3:
	s_cmpk_eq_i32 s8, 0x79
	v_add_u32_e32 v42, 0xa0, v41
	v_mov_b32_e32 v43, v41
	s_mov_b64 s[4:5], -1
	ds_write_b64 v41, v[39:40]
	s_cbranch_scc1 .LBB82_177
; %bb.4:
	buffer_load_dword v39, off, s[0:3], 0 offset:136
	buffer_load_dword v40, off, s[0:3], 0 offset:140
	s_movk_i32 s12, 0x48
	s_movk_i32 s13, 0x50
	;; [unrolled: 1-line block ×8, first 2 shown]
	v_cmp_eq_u32_e64 s[4:5], 18, v0
	s_waitcnt vmcnt(0)
	ds_write_b64 v42, v[39:40]
	s_waitcnt lgkmcnt(0)
	; wave barrier
	s_and_saveexec_b64 s[6:7], s[4:5]
	s_cbranch_execz .LBB82_10
; %bb.5:
	s_and_b64 vcc, exec, s[10:11]
	s_cbranch_vccz .LBB82_7
; %bb.6:
	buffer_load_dword v39, v43, s[0:3], 0 offen
	buffer_load_dword v40, v43, s[0:3], 0 offen offset:4
	ds_read_b64 v[44:45], v42
	s_waitcnt vmcnt(0) lgkmcnt(0)
	v_mul_f64 v[39:40], v[39:40], v[44:45]
	s_cbranch_execz .LBB82_8
	s_branch .LBB82_9
.LBB82_7:
                                        ; implicit-def: $vgpr39_vgpr40
.LBB82_8:
	ds_read_b64 v[39:40], v42
.LBB82_9:
	v_mov_b32_e32 v44, 0
	ds_read_b64 v[44:45], v44 offset:136
	s_waitcnt lgkmcnt(0)
	v_mul_f64 v[39:40], v[39:40], v[44:45]
	buffer_store_dword v40, off, s[0:3], 0 offset:140
	buffer_store_dword v39, off, s[0:3], 0 offset:136
.LBB82_10:
	s_or_b64 exec, exec, s[6:7]
	buffer_load_dword v39, off, s[0:3], 0 offset:128
	buffer_load_dword v40, off, s[0:3], 0 offset:132
	s_or_b32 s14, 0, 8
	s_mov_b32 s15, 16
	s_mov_b32 s16, 24
	;; [unrolled: 1-line block ×9, first 2 shown]
	v_cmp_lt_u32_e64 s[6:7], 16, v0
	s_waitcnt vmcnt(0)
	ds_write_b64 v42, v[39:40]
	s_waitcnt lgkmcnt(0)
	; wave barrier
	s_and_saveexec_b64 s[8:9], s[6:7]
	s_cbranch_execz .LBB82_16
; %bb.11:
	s_andn2_b64 vcc, exec, s[10:11]
	s_cbranch_vccnz .LBB82_13
; %bb.12:
	buffer_load_dword v39, v43, s[0:3], 0 offen
	buffer_load_dword v40, v43, s[0:3], 0 offen offset:4
	ds_read_b64 v[44:45], v42
	s_waitcnt vmcnt(0) lgkmcnt(0)
	v_mul_f64 v[39:40], v[39:40], v[44:45]
	s_cbranch_execz .LBB82_14
	s_branch .LBB82_15
.LBB82_13:
                                        ; implicit-def: $vgpr39_vgpr40
.LBB82_14:
	ds_read_b64 v[39:40], v42
.LBB82_15:
	buffer_load_dword v48, off, s[0:3], 0 offset:136
	buffer_load_dword v49, off, s[0:3], 0 offset:140
	v_mov_b32_e32 v44, 0
	ds_read2_b64 v[44:47], v44 offset0:16 offset1:37
	s_waitcnt vmcnt(0) lgkmcnt(0)
	v_fma_f64 v[46:47], v[48:49], v[46:47], v[39:40]
	v_cndmask_b32_e64 v40, v40, v47, s[4:5]
	v_cndmask_b32_e64 v39, v39, v46, s[4:5]
	v_mul_f64 v[39:40], v[39:40], v[44:45]
	buffer_store_dword v40, off, s[0:3], 0 offset:132
	buffer_store_dword v39, off, s[0:3], 0 offset:128
.LBB82_16:
	s_or_b64 exec, exec, s[8:9]
	buffer_load_dword v39, off, s[0:3], 0 offset:120
	buffer_load_dword v40, off, s[0:3], 0 offset:124
	v_cmp_lt_u32_e64 s[4:5], 15, v0
	s_waitcnt vmcnt(0)
	ds_write_b64 v42, v[39:40]
	s_waitcnt lgkmcnt(0)
	; wave barrier
	s_and_saveexec_b64 s[8:9], s[4:5]
	s_cbranch_execz .LBB82_26
; %bb.17:
	s_andn2_b64 vcc, exec, s[10:11]
	s_cbranch_vccnz .LBB82_19
; %bb.18:
	buffer_load_dword v39, v43, s[0:3], 0 offen
	buffer_load_dword v40, v43, s[0:3], 0 offen offset:4
	ds_read_b64 v[44:45], v42
	s_waitcnt vmcnt(0) lgkmcnt(0)
	v_mul_f64 v[39:40], v[39:40], v[44:45]
	s_cbranch_execz .LBB82_20
	s_branch .LBB82_21
.LBB82_19:
                                        ; implicit-def: $vgpr39_vgpr40
.LBB82_20:
	ds_read_b64 v[39:40], v42
.LBB82_21:
	s_and_saveexec_b64 s[12:13], s[6:7]
	s_cbranch_execz .LBB82_25
; %bb.22:
	v_add_u32_e32 v44, -16, v0
	s_movk_i32 s30, 0x120
	s_mov_b64 s[6:7], 0
.LBB82_23:                              ; =>This Inner Loop Header: Depth=1
	v_mov_b32_e32 v47, s29
	buffer_load_dword v45, v47, s[0:3], 0 offen
	buffer_load_dword v46, v47, s[0:3], 0 offen offset:4
	v_mov_b32_e32 v47, s30
	ds_read_b64 v[47:48], v47
	v_add_u32_e32 v44, -1, v44
	s_add_i32 s30, s30, 8
	s_add_i32 s29, s29, 8
	v_cmp_eq_u32_e32 vcc, 0, v44
	s_or_b64 s[6:7], vcc, s[6:7]
	s_waitcnt vmcnt(0) lgkmcnt(0)
	v_fma_f64 v[39:40], v[45:46], v[47:48], v[39:40]
	s_andn2_b64 exec, exec, s[6:7]
	s_cbranch_execnz .LBB82_23
; %bb.24:
	s_or_b64 exec, exec, s[6:7]
.LBB82_25:
	s_or_b64 exec, exec, s[12:13]
	v_mov_b32_e32 v44, 0
	ds_read_b64 v[44:45], v44 offset:120
	s_waitcnt lgkmcnt(0)
	v_mul_f64 v[39:40], v[39:40], v[44:45]
	buffer_store_dword v40, off, s[0:3], 0 offset:124
	buffer_store_dword v39, off, s[0:3], 0 offset:120
.LBB82_26:
	s_or_b64 exec, exec, s[8:9]
	buffer_load_dword v39, off, s[0:3], 0 offset:112
	buffer_load_dword v40, off, s[0:3], 0 offset:116
	v_cmp_lt_u32_e64 s[6:7], 14, v0
	s_waitcnt vmcnt(0)
	ds_write_b64 v42, v[39:40]
	s_waitcnt lgkmcnt(0)
	; wave barrier
	s_and_saveexec_b64 s[8:9], s[6:7]
	s_cbranch_execz .LBB82_36
; %bb.27:
	s_andn2_b64 vcc, exec, s[10:11]
	s_cbranch_vccnz .LBB82_29
; %bb.28:
	buffer_load_dword v39, v43, s[0:3], 0 offen
	buffer_load_dword v40, v43, s[0:3], 0 offen offset:4
	ds_read_b64 v[44:45], v42
	s_waitcnt vmcnt(0) lgkmcnt(0)
	v_mul_f64 v[39:40], v[39:40], v[44:45]
	s_cbranch_execz .LBB82_30
	s_branch .LBB82_31
.LBB82_29:
                                        ; implicit-def: $vgpr39_vgpr40
.LBB82_30:
	ds_read_b64 v[39:40], v42
.LBB82_31:
	s_and_saveexec_b64 s[12:13], s[4:5]
	s_cbranch_execz .LBB82_35
; %bb.32:
	v_add_u32_e32 v44, -15, v0
	s_movk_i32 s29, 0x118
	s_mov_b64 s[4:5], 0
.LBB82_33:                              ; =>This Inner Loop Header: Depth=1
	v_mov_b32_e32 v47, s28
	buffer_load_dword v45, v47, s[0:3], 0 offen
	buffer_load_dword v46, v47, s[0:3], 0 offen offset:4
	v_mov_b32_e32 v47, s29
	ds_read_b64 v[47:48], v47
	v_add_u32_e32 v44, -1, v44
	s_add_i32 s29, s29, 8
	s_add_i32 s28, s28, 8
	v_cmp_eq_u32_e32 vcc, 0, v44
	s_or_b64 s[4:5], vcc, s[4:5]
	s_waitcnt vmcnt(0) lgkmcnt(0)
	v_fma_f64 v[39:40], v[45:46], v[47:48], v[39:40]
	s_andn2_b64 exec, exec, s[4:5]
	s_cbranch_execnz .LBB82_33
; %bb.34:
	s_or_b64 exec, exec, s[4:5]
.LBB82_35:
	s_or_b64 exec, exec, s[12:13]
	v_mov_b32_e32 v44, 0
	ds_read_b64 v[44:45], v44 offset:112
	s_waitcnt lgkmcnt(0)
	v_mul_f64 v[39:40], v[39:40], v[44:45]
	buffer_store_dword v40, off, s[0:3], 0 offset:116
	buffer_store_dword v39, off, s[0:3], 0 offset:112
.LBB82_36:
	;; [unrolled: 58-line block ×8, first 2 shown]
	s_or_b64 exec, exec, s[8:9]
	buffer_load_dword v39, off, s[0:3], 0 offset:56
	buffer_load_dword v40, off, s[0:3], 0 offset:60
	v_cmp_lt_u32_e64 s[4:5], 7, v0
	s_waitcnt vmcnt(0)
	ds_write_b64 v42, v[39:40]
	s_waitcnt lgkmcnt(0)
	; wave barrier
	s_and_saveexec_b64 s[8:9], s[4:5]
	s_cbranch_execz .LBB82_106
; %bb.97:
	s_andn2_b64 vcc, exec, s[10:11]
	s_cbranch_vccnz .LBB82_99
; %bb.98:
	buffer_load_dword v39, v43, s[0:3], 0 offen
	buffer_load_dword v40, v43, s[0:3], 0 offen offset:4
	ds_read_b64 v[44:45], v42
	s_waitcnt vmcnt(0) lgkmcnt(0)
	v_mul_f64 v[39:40], v[39:40], v[44:45]
	s_cbranch_execz .LBB82_100
	s_branch .LBB82_101
.LBB82_99:
                                        ; implicit-def: $vgpr39_vgpr40
.LBB82_100:
	ds_read_b64 v[39:40], v42
.LBB82_101:
	s_and_saveexec_b64 s[12:13], s[6:7]
	s_cbranch_execz .LBB82_105
; %bb.102:
	v_add_u32_e32 v44, -8, v0
	s_movk_i32 s22, 0xe0
	s_mov_b64 s[6:7], 0
.LBB82_103:                             ; =>This Inner Loop Header: Depth=1
	v_mov_b32_e32 v47, s21
	buffer_load_dword v45, v47, s[0:3], 0 offen
	buffer_load_dword v46, v47, s[0:3], 0 offen offset:4
	v_mov_b32_e32 v47, s22
	ds_read_b64 v[47:48], v47
	v_add_u32_e32 v44, -1, v44
	s_add_i32 s22, s22, 8
	s_add_i32 s21, s21, 8
	v_cmp_eq_u32_e32 vcc, 0, v44
	s_or_b64 s[6:7], vcc, s[6:7]
	s_waitcnt vmcnt(0) lgkmcnt(0)
	v_fma_f64 v[39:40], v[45:46], v[47:48], v[39:40]
	s_andn2_b64 exec, exec, s[6:7]
	s_cbranch_execnz .LBB82_103
; %bb.104:
	s_or_b64 exec, exec, s[6:7]
.LBB82_105:
	s_or_b64 exec, exec, s[12:13]
	v_mov_b32_e32 v44, 0
	ds_read_b64 v[44:45], v44 offset:56
	s_waitcnt lgkmcnt(0)
	v_mul_f64 v[39:40], v[39:40], v[44:45]
	buffer_store_dword v40, off, s[0:3], 0 offset:60
	buffer_store_dword v39, off, s[0:3], 0 offset:56
.LBB82_106:
	s_or_b64 exec, exec, s[8:9]
	buffer_load_dword v39, off, s[0:3], 0 offset:48
	buffer_load_dword v40, off, s[0:3], 0 offset:52
	v_cmp_lt_u32_e64 s[6:7], 6, v0
	s_waitcnt vmcnt(0)
	ds_write_b64 v42, v[39:40]
	s_waitcnt lgkmcnt(0)
	; wave barrier
	s_and_saveexec_b64 s[8:9], s[6:7]
	s_cbranch_execz .LBB82_116
; %bb.107:
	s_andn2_b64 vcc, exec, s[10:11]
	s_cbranch_vccnz .LBB82_109
; %bb.108:
	buffer_load_dword v39, v43, s[0:3], 0 offen
	buffer_load_dword v40, v43, s[0:3], 0 offen offset:4
	ds_read_b64 v[44:45], v42
	s_waitcnt vmcnt(0) lgkmcnt(0)
	v_mul_f64 v[39:40], v[39:40], v[44:45]
	s_cbranch_execz .LBB82_110
	s_branch .LBB82_111
.LBB82_109:
                                        ; implicit-def: $vgpr39_vgpr40
.LBB82_110:
	ds_read_b64 v[39:40], v42
.LBB82_111:
	s_and_saveexec_b64 s[12:13], s[4:5]
	s_cbranch_execz .LBB82_115
; %bb.112:
	v_add_u32_e32 v44, -7, v0
	s_movk_i32 s21, 0xd8
	s_mov_b64 s[4:5], 0
.LBB82_113:                             ; =>This Inner Loop Header: Depth=1
	v_mov_b32_e32 v47, s20
	buffer_load_dword v45, v47, s[0:3], 0 offen
	buffer_load_dword v46, v47, s[0:3], 0 offen offset:4
	v_mov_b32_e32 v47, s21
	ds_read_b64 v[47:48], v47
	v_add_u32_e32 v44, -1, v44
	s_add_i32 s21, s21, 8
	s_add_i32 s20, s20, 8
	v_cmp_eq_u32_e32 vcc, 0, v44
	s_or_b64 s[4:5], vcc, s[4:5]
	s_waitcnt vmcnt(0) lgkmcnt(0)
	v_fma_f64 v[39:40], v[45:46], v[47:48], v[39:40]
	s_andn2_b64 exec, exec, s[4:5]
	s_cbranch_execnz .LBB82_113
; %bb.114:
	s_or_b64 exec, exec, s[4:5]
.LBB82_115:
	s_or_b64 exec, exec, s[12:13]
	v_mov_b32_e32 v44, 0
	ds_read_b64 v[44:45], v44 offset:48
	s_waitcnt lgkmcnt(0)
	v_mul_f64 v[39:40], v[39:40], v[44:45]
	buffer_store_dword v40, off, s[0:3], 0 offset:52
	buffer_store_dword v39, off, s[0:3], 0 offset:48
.LBB82_116:
	;; [unrolled: 58-line block ×7, first 2 shown]
	s_or_b64 exec, exec, s[8:9]
	buffer_load_dword v39, off, s[0:3], 0
	buffer_load_dword v40, off, s[0:3], 0 offset:4
	v_cmp_ne_u32_e32 vcc, 0, v0
	s_waitcnt vmcnt(0)
	ds_write_b64 v42, v[39:40]
	s_waitcnt lgkmcnt(0)
	; wave barrier
	s_and_saveexec_b64 s[6:7], vcc
	s_cbranch_execz .LBB82_176
; %bb.167:
	s_andn2_b64 vcc, exec, s[10:11]
	s_cbranch_vccnz .LBB82_169
; %bb.168:
	buffer_load_dword v39, v43, s[0:3], 0 offen
	buffer_load_dword v40, v43, s[0:3], 0 offen offset:4
	ds_read_b64 v[44:45], v42
	s_waitcnt vmcnt(0) lgkmcnt(0)
	v_mul_f64 v[39:40], v[39:40], v[44:45]
	s_cbranch_execz .LBB82_170
	s_branch .LBB82_171
.LBB82_169:
                                        ; implicit-def: $vgpr39_vgpr40
.LBB82_170:
	ds_read_b64 v[39:40], v42
.LBB82_171:
	s_and_saveexec_b64 s[8:9], s[4:5]
	s_cbranch_execz .LBB82_175
; %bb.172:
	v_add_u32_e32 v44, -1, v0
	s_movk_i32 s12, 0xa8
	s_mov_b64 s[4:5], 0
.LBB82_173:                             ; =>This Inner Loop Header: Depth=1
	v_mov_b32_e32 v47, s14
	buffer_load_dword v45, v47, s[0:3], 0 offen
	buffer_load_dword v46, v47, s[0:3], 0 offen offset:4
	v_mov_b32_e32 v47, s12
	ds_read_b64 v[47:48], v47
	v_add_u32_e32 v44, -1, v44
	s_add_i32 s12, s12, 8
	s_add_i32 s14, s14, 8
	v_cmp_eq_u32_e32 vcc, 0, v44
	s_or_b64 s[4:5], vcc, s[4:5]
	s_waitcnt vmcnt(0) lgkmcnt(0)
	v_fma_f64 v[39:40], v[45:46], v[47:48], v[39:40]
	s_andn2_b64 exec, exec, s[4:5]
	s_cbranch_execnz .LBB82_173
; %bb.174:
	s_or_b64 exec, exec, s[4:5]
.LBB82_175:
	s_or_b64 exec, exec, s[8:9]
	v_mov_b32_e32 v44, 0
	ds_read_b64 v[44:45], v44
	s_waitcnt lgkmcnt(0)
	v_mul_f64 v[39:40], v[39:40], v[44:45]
	buffer_store_dword v40, off, s[0:3], 0 offset:4
	buffer_store_dword v39, off, s[0:3], 0
.LBB82_176:
	s_or_b64 exec, exec, s[6:7]
	s_mov_b64 s[4:5], 0
.LBB82_177:
	s_and_b64 vcc, exec, s[4:5]
	s_cbranch_vccz .LBB82_349
; %bb.178:
	buffer_load_dword v39, off, s[0:3], 0 offset:8
	buffer_load_dword v40, off, s[0:3], 0 offset:12
	v_cmp_eq_u32_e64 s[6:7], 0, v0
	s_waitcnt vmcnt(0)
	ds_write_b64 v42, v[39:40]
	s_waitcnt lgkmcnt(0)
	; wave barrier
	s_and_saveexec_b64 s[4:5], s[6:7]
	s_cbranch_execz .LBB82_184
; %bb.179:
	s_and_b64 vcc, exec, s[10:11]
	s_cbranch_vccz .LBB82_181
; %bb.180:
	buffer_load_dword v39, v43, s[0:3], 0 offen
	buffer_load_dword v40, v43, s[0:3], 0 offen offset:4
	ds_read_b64 v[44:45], v42
	s_waitcnt vmcnt(0) lgkmcnt(0)
	v_mul_f64 v[39:40], v[39:40], v[44:45]
	s_cbranch_execz .LBB82_182
	s_branch .LBB82_183
.LBB82_181:
                                        ; implicit-def: $vgpr39_vgpr40
.LBB82_182:
	ds_read_b64 v[39:40], v42
.LBB82_183:
	v_mov_b32_e32 v44, 0
	ds_read_b64 v[44:45], v44 offset:8
	s_waitcnt lgkmcnt(0)
	v_mul_f64 v[39:40], v[39:40], v[44:45]
	buffer_store_dword v40, off, s[0:3], 0 offset:12
	buffer_store_dword v39, off, s[0:3], 0 offset:8
.LBB82_184:
	s_or_b64 exec, exec, s[4:5]
	buffer_load_dword v39, off, s[0:3], 0 offset:16
	buffer_load_dword v40, off, s[0:3], 0 offset:20
	v_cndmask_b32_e64 v44, 0, 1, s[10:11]
	v_cmp_gt_u32_e32 vcc, 2, v0
	v_cmp_ne_u32_e64 s[4:5], 1, v44
	s_waitcnt vmcnt(0)
	ds_write_b64 v42, v[39:40]
	s_waitcnt lgkmcnt(0)
	; wave barrier
	s_and_saveexec_b64 s[8:9], vcc
	s_cbranch_execz .LBB82_190
; %bb.185:
	s_and_b64 vcc, exec, s[4:5]
	s_cbranch_vccnz .LBB82_187
; %bb.186:
	buffer_load_dword v39, v43, s[0:3], 0 offen
	buffer_load_dword v40, v43, s[0:3], 0 offen offset:4
	ds_read_b64 v[44:45], v42
	s_waitcnt vmcnt(0) lgkmcnt(0)
	v_mul_f64 v[39:40], v[39:40], v[44:45]
	s_cbranch_execz .LBB82_188
	s_branch .LBB82_189
.LBB82_187:
                                        ; implicit-def: $vgpr39_vgpr40
.LBB82_188:
	ds_read_b64 v[39:40], v42
.LBB82_189:
	buffer_load_dword v48, off, s[0:3], 0 offset:8
	buffer_load_dword v49, off, s[0:3], 0 offset:12
	v_mov_b32_e32 v44, 0
	ds_read2_b64 v[44:47], v44 offset0:2 offset1:21
	s_waitcnt vmcnt(0) lgkmcnt(0)
	v_fma_f64 v[46:47], v[48:49], v[46:47], v[39:40]
	v_cndmask_b32_e64 v40, v40, v47, s[6:7]
	v_cndmask_b32_e64 v39, v39, v46, s[6:7]
	v_mul_f64 v[39:40], v[39:40], v[44:45]
	buffer_store_dword v40, off, s[0:3], 0 offset:20
	buffer_store_dword v39, off, s[0:3], 0 offset:16
.LBB82_190:
	s_or_b64 exec, exec, s[8:9]
	buffer_load_dword v39, off, s[0:3], 0 offset:24
	buffer_load_dword v40, off, s[0:3], 0 offset:28
	v_cmp_gt_u32_e32 vcc, 3, v0
	s_waitcnt vmcnt(0)
	ds_write_b64 v42, v[39:40]
	s_waitcnt lgkmcnt(0)
	; wave barrier
	s_and_saveexec_b64 s[8:9], vcc
	s_cbranch_execz .LBB82_198
; %bb.191:
	s_and_b64 vcc, exec, s[4:5]
	s_cbranch_vccnz .LBB82_193
; %bb.192:
	buffer_load_dword v39, v43, s[0:3], 0 offen
	buffer_load_dword v40, v43, s[0:3], 0 offen offset:4
	ds_read_b64 v[44:45], v42
	s_waitcnt vmcnt(0) lgkmcnt(0)
	v_mul_f64 v[39:40], v[39:40], v[44:45]
	s_cbranch_execz .LBB82_194
	s_branch .LBB82_195
.LBB82_193:
                                        ; implicit-def: $vgpr39_vgpr40
.LBB82_194:
	ds_read_b64 v[39:40], v42
.LBB82_195:
	v_cmp_ne_u32_e32 vcc, 2, v0
	s_and_saveexec_b64 s[10:11], vcc
	s_cbranch_execz .LBB82_197
; %bb.196:
	buffer_load_dword v44, v43, s[0:3], 0 offen offset:8
	buffer_load_dword v45, v43, s[0:3], 0 offen offset:12
	buffer_load_dword v46, off, s[0:3], 0 offset:16
	buffer_load_dword v47, off, s[0:3], 0 offset:20
	ds_read_b64 v[48:49], v42 offset:8
	v_mov_b32_e32 v50, 0
	ds_read_b64 v[50:51], v50 offset:176
	s_waitcnt vmcnt(2) lgkmcnt(1)
	v_fma_f64 v[39:40], v[44:45], v[48:49], v[39:40]
	s_waitcnt vmcnt(0) lgkmcnt(0)
	v_fma_f64 v[44:45], v[46:47], v[50:51], v[39:40]
	v_cndmask_b32_e64 v40, v40, v45, s[6:7]
	v_cndmask_b32_e64 v39, v39, v44, s[6:7]
.LBB82_197:
	s_or_b64 exec, exec, s[10:11]
	v_mov_b32_e32 v44, 0
	ds_read_b64 v[44:45], v44 offset:24
	s_waitcnt lgkmcnt(0)
	v_mul_f64 v[39:40], v[39:40], v[44:45]
	buffer_store_dword v40, off, s[0:3], 0 offset:28
	buffer_store_dword v39, off, s[0:3], 0 offset:24
.LBB82_198:
	s_or_b64 exec, exec, s[8:9]
	buffer_load_dword v39, off, s[0:3], 0 offset:32
	buffer_load_dword v40, off, s[0:3], 0 offset:36
	v_cmp_gt_u32_e32 vcc, 4, v0
	s_waitcnt vmcnt(0)
	ds_write_b64 v42, v[39:40]
	s_waitcnt lgkmcnt(0)
	; wave barrier
	s_and_saveexec_b64 s[6:7], vcc
	s_cbranch_execz .LBB82_208
; %bb.199:
	s_and_b64 vcc, exec, s[4:5]
	s_cbranch_vccnz .LBB82_201
; %bb.200:
	buffer_load_dword v39, v43, s[0:3], 0 offen
	buffer_load_dword v40, v43, s[0:3], 0 offen offset:4
	ds_read_b64 v[44:45], v42
	s_waitcnt vmcnt(0) lgkmcnt(0)
	v_mul_f64 v[39:40], v[39:40], v[44:45]
	s_cbranch_execz .LBB82_202
	s_branch .LBB82_203
.LBB82_201:
                                        ; implicit-def: $vgpr39_vgpr40
.LBB82_202:
	ds_read_b64 v[39:40], v42
.LBB82_203:
	v_cmp_ne_u32_e32 vcc, 3, v0
	s_and_saveexec_b64 s[8:9], vcc
	s_cbranch_execz .LBB82_207
; %bb.204:
	s_mov_b32 s10, 0
	v_add_u32_e32 v44, 0xa8, v41
	v_add3_u32 v45, v41, s10, 8
	s_mov_b64 s[10:11], 0
	v_mov_b32_e32 v46, v0
.LBB82_205:                             ; =>This Inner Loop Header: Depth=1
	buffer_load_dword v47, v45, s[0:3], 0 offen
	buffer_load_dword v48, v45, s[0:3], 0 offen offset:4
	ds_read_b64 v[49:50], v44
	v_add_u32_e32 v46, 1, v46
	v_cmp_lt_u32_e32 vcc, 2, v46
	v_add_u32_e32 v44, 8, v44
	s_or_b64 s[10:11], vcc, s[10:11]
	v_add_u32_e32 v45, 8, v45
	s_waitcnt vmcnt(0) lgkmcnt(0)
	v_fma_f64 v[39:40], v[47:48], v[49:50], v[39:40]
	s_andn2_b64 exec, exec, s[10:11]
	s_cbranch_execnz .LBB82_205
; %bb.206:
	s_or_b64 exec, exec, s[10:11]
.LBB82_207:
	s_or_b64 exec, exec, s[8:9]
	v_mov_b32_e32 v44, 0
	ds_read_b64 v[44:45], v44 offset:32
	s_waitcnt lgkmcnt(0)
	v_mul_f64 v[39:40], v[39:40], v[44:45]
	buffer_store_dword v40, off, s[0:3], 0 offset:36
	buffer_store_dword v39, off, s[0:3], 0 offset:32
.LBB82_208:
	s_or_b64 exec, exec, s[6:7]
	buffer_load_dword v39, off, s[0:3], 0 offset:40
	buffer_load_dword v40, off, s[0:3], 0 offset:44
	v_cmp_gt_u32_e32 vcc, 5, v0
	s_waitcnt vmcnt(0)
	ds_write_b64 v42, v[39:40]
	s_waitcnt lgkmcnt(0)
	; wave barrier
	s_and_saveexec_b64 s[6:7], vcc
	s_cbranch_execz .LBB82_218
; %bb.209:
	s_and_b64 vcc, exec, s[4:5]
	s_cbranch_vccnz .LBB82_211
; %bb.210:
	buffer_load_dword v39, v43, s[0:3], 0 offen
	buffer_load_dword v40, v43, s[0:3], 0 offen offset:4
	ds_read_b64 v[44:45], v42
	s_waitcnt vmcnt(0) lgkmcnt(0)
	v_mul_f64 v[39:40], v[39:40], v[44:45]
	s_cbranch_execz .LBB82_212
	s_branch .LBB82_213
.LBB82_211:
                                        ; implicit-def: $vgpr39_vgpr40
.LBB82_212:
	ds_read_b64 v[39:40], v42
.LBB82_213:
	v_cmp_ne_u32_e32 vcc, 4, v0
	s_and_saveexec_b64 s[8:9], vcc
	s_cbranch_execz .LBB82_217
; %bb.214:
	s_mov_b32 s10, 0
	v_add_u32_e32 v44, 0xa8, v41
	v_add3_u32 v45, v41, s10, 8
	s_mov_b64 s[10:11], 0
	v_mov_b32_e32 v46, v0
.LBB82_215:                             ; =>This Inner Loop Header: Depth=1
	buffer_load_dword v47, v45, s[0:3], 0 offen
	buffer_load_dword v48, v45, s[0:3], 0 offen offset:4
	ds_read_b64 v[49:50], v44
	v_add_u32_e32 v46, 1, v46
	v_cmp_lt_u32_e32 vcc, 3, v46
	v_add_u32_e32 v44, 8, v44
	s_or_b64 s[10:11], vcc, s[10:11]
	v_add_u32_e32 v45, 8, v45
	s_waitcnt vmcnt(0) lgkmcnt(0)
	v_fma_f64 v[39:40], v[47:48], v[49:50], v[39:40]
	s_andn2_b64 exec, exec, s[10:11]
	s_cbranch_execnz .LBB82_215
; %bb.216:
	s_or_b64 exec, exec, s[10:11]
.LBB82_217:
	s_or_b64 exec, exec, s[8:9]
	v_mov_b32_e32 v44, 0
	ds_read_b64 v[44:45], v44 offset:40
	s_waitcnt lgkmcnt(0)
	v_mul_f64 v[39:40], v[39:40], v[44:45]
	buffer_store_dword v40, off, s[0:3], 0 offset:44
	buffer_store_dword v39, off, s[0:3], 0 offset:40
.LBB82_218:
	;; [unrolled: 59-line block ×13, first 2 shown]
	s_or_b64 exec, exec, s[6:7]
	buffer_load_dword v39, off, s[0:3], 0 offset:136
	buffer_load_dword v40, off, s[0:3], 0 offset:140
	v_cmp_gt_u32_e64 s[6:7], 17, v0
	s_waitcnt vmcnt(0)
	ds_write_b64 v42, v[39:40]
	s_waitcnt lgkmcnt(0)
	; wave barrier
	s_and_saveexec_b64 s[8:9], s[6:7]
	s_cbranch_execz .LBB82_338
; %bb.329:
	s_and_b64 vcc, exec, s[4:5]
	s_cbranch_vccnz .LBB82_331
; %bb.330:
	buffer_load_dword v39, v43, s[0:3], 0 offen
	buffer_load_dword v40, v43, s[0:3], 0 offen offset:4
	ds_read_b64 v[44:45], v42
	s_waitcnt vmcnt(0) lgkmcnt(0)
	v_mul_f64 v[39:40], v[39:40], v[44:45]
	s_cbranch_execz .LBB82_332
	s_branch .LBB82_333
.LBB82_331:
                                        ; implicit-def: $vgpr39_vgpr40
.LBB82_332:
	ds_read_b64 v[39:40], v42
.LBB82_333:
	v_cmp_ne_u32_e32 vcc, 16, v0
	s_and_saveexec_b64 s[10:11], vcc
	s_cbranch_execz .LBB82_337
; %bb.334:
	s_mov_b32 s12, 0
	v_add_u32_e32 v44, 0xa8, v41
	v_add3_u32 v45, v41, s12, 8
	s_mov_b64 s[12:13], 0
	v_mov_b32_e32 v46, v0
.LBB82_335:                             ; =>This Inner Loop Header: Depth=1
	buffer_load_dword v47, v45, s[0:3], 0 offen
	buffer_load_dword v48, v45, s[0:3], 0 offen offset:4
	ds_read_b64 v[49:50], v44
	v_add_u32_e32 v46, 1, v46
	v_cmp_lt_u32_e32 vcc, 15, v46
	v_add_u32_e32 v44, 8, v44
	s_or_b64 s[12:13], vcc, s[12:13]
	v_add_u32_e32 v45, 8, v45
	s_waitcnt vmcnt(0) lgkmcnt(0)
	v_fma_f64 v[39:40], v[47:48], v[49:50], v[39:40]
	s_andn2_b64 exec, exec, s[12:13]
	s_cbranch_execnz .LBB82_335
; %bb.336:
	s_or_b64 exec, exec, s[12:13]
.LBB82_337:
	s_or_b64 exec, exec, s[10:11]
	v_mov_b32_e32 v44, 0
	ds_read_b64 v[44:45], v44 offset:136
	s_waitcnt lgkmcnt(0)
	v_mul_f64 v[39:40], v[39:40], v[44:45]
	buffer_store_dword v40, off, s[0:3], 0 offset:140
	buffer_store_dword v39, off, s[0:3], 0 offset:136
.LBB82_338:
	s_or_b64 exec, exec, s[8:9]
	buffer_load_dword v39, off, s[0:3], 0 offset:144
	buffer_load_dword v40, off, s[0:3], 0 offset:148
	v_cmp_ne_u32_e32 vcc, 18, v0
	s_waitcnt vmcnt(0)
	ds_write_b64 v42, v[39:40]
	s_waitcnt lgkmcnt(0)
	; wave barrier
	s_and_saveexec_b64 s[8:9], vcc
	s_cbranch_execz .LBB82_348
; %bb.339:
	s_and_b64 vcc, exec, s[4:5]
	s_cbranch_vccnz .LBB82_341
; %bb.340:
	buffer_load_dword v39, v43, s[0:3], 0 offen
	buffer_load_dword v40, v43, s[0:3], 0 offen offset:4
	ds_read_b64 v[43:44], v42
	s_waitcnt vmcnt(0) lgkmcnt(0)
	v_mul_f64 v[39:40], v[39:40], v[43:44]
	s_cbranch_execz .LBB82_342
	s_branch .LBB82_343
.LBB82_341:
                                        ; implicit-def: $vgpr39_vgpr40
.LBB82_342:
	ds_read_b64 v[39:40], v42
.LBB82_343:
	s_and_saveexec_b64 s[4:5], s[6:7]
	s_cbranch_execz .LBB82_347
; %bb.344:
	s_mov_b32 s6, 0
	v_add_u32_e32 v42, 0xa8, v41
	v_add3_u32 v41, v41, s6, 8
	s_mov_b64 s[6:7], 0
.LBB82_345:                             ; =>This Inner Loop Header: Depth=1
	buffer_load_dword v43, v41, s[0:3], 0 offen
	buffer_load_dword v44, v41, s[0:3], 0 offen offset:4
	ds_read_b64 v[45:46], v42
	v_add_u32_e32 v0, 1, v0
	v_cmp_lt_u32_e32 vcc, 16, v0
	v_add_u32_e32 v42, 8, v42
	s_or_b64 s[6:7], vcc, s[6:7]
	v_add_u32_e32 v41, 8, v41
	s_waitcnt vmcnt(0) lgkmcnt(0)
	v_fma_f64 v[39:40], v[43:44], v[45:46], v[39:40]
	s_andn2_b64 exec, exec, s[6:7]
	s_cbranch_execnz .LBB82_345
; %bb.346:
	s_or_b64 exec, exec, s[6:7]
.LBB82_347:
	s_or_b64 exec, exec, s[4:5]
	v_mov_b32_e32 v0, 0
	ds_read_b64 v[41:42], v0 offset:144
	s_waitcnt lgkmcnt(0)
	v_mul_f64 v[39:40], v[39:40], v[41:42]
	buffer_store_dword v40, off, s[0:3], 0 offset:148
	buffer_store_dword v39, off, s[0:3], 0 offset:144
.LBB82_348:
	s_or_b64 exec, exec, s[8:9]
.LBB82_349:
	buffer_load_dword v39, off, s[0:3], 0
	buffer_load_dword v40, off, s[0:3], 0 offset:4
	s_waitcnt vmcnt(0)
	flat_store_dwordx2 v[1:2], v[39:40]
	buffer_load_dword v0, off, s[0:3], 0 offset:8
	s_nop 0
	buffer_load_dword v1, off, s[0:3], 0 offset:12
	s_waitcnt vmcnt(0)
	flat_store_dwordx2 v[3:4], v[0:1]
	buffer_load_dword v0, off, s[0:3], 0 offset:16
	s_nop 0
	;; [unrolled: 5-line block ×18, first 2 shown]
	buffer_load_dword v1, off, s[0:3], 0 offset:148
	s_waitcnt vmcnt(0)
	flat_store_dwordx2 v[37:38], v[0:1]
.LBB82_350:
	s_endpgm
	.section	.rodata,"a",@progbits
	.p2align	6, 0x0
	.amdhsa_kernel _ZN9rocsolver6v33100L18trti2_kernel_smallILi19EdPKPdEEv13rocblas_fill_17rocblas_diagonal_T1_iil
		.amdhsa_group_segment_fixed_size 312
		.amdhsa_private_segment_fixed_size 160
		.amdhsa_kernarg_size 32
		.amdhsa_user_sgpr_count 6
		.amdhsa_user_sgpr_private_segment_buffer 1
		.amdhsa_user_sgpr_dispatch_ptr 0
		.amdhsa_user_sgpr_queue_ptr 0
		.amdhsa_user_sgpr_kernarg_segment_ptr 1
		.amdhsa_user_sgpr_dispatch_id 0
		.amdhsa_user_sgpr_flat_scratch_init 0
		.amdhsa_user_sgpr_private_segment_size 0
		.amdhsa_uses_dynamic_stack 0
		.amdhsa_system_sgpr_private_segment_wavefront_offset 1
		.amdhsa_system_sgpr_workgroup_id_x 1
		.amdhsa_system_sgpr_workgroup_id_y 0
		.amdhsa_system_sgpr_workgroup_id_z 0
		.amdhsa_system_sgpr_workgroup_info 0
		.amdhsa_system_vgpr_workitem_id 0
		.amdhsa_next_free_vgpr 52
		.amdhsa_next_free_sgpr 31
		.amdhsa_reserve_vcc 1
		.amdhsa_reserve_flat_scratch 0
		.amdhsa_float_round_mode_32 0
		.amdhsa_float_round_mode_16_64 0
		.amdhsa_float_denorm_mode_32 3
		.amdhsa_float_denorm_mode_16_64 3
		.amdhsa_dx10_clamp 1
		.amdhsa_ieee_mode 1
		.amdhsa_fp16_overflow 0
		.amdhsa_exception_fp_ieee_invalid_op 0
		.amdhsa_exception_fp_denorm_src 0
		.amdhsa_exception_fp_ieee_div_zero 0
		.amdhsa_exception_fp_ieee_overflow 0
		.amdhsa_exception_fp_ieee_underflow 0
		.amdhsa_exception_fp_ieee_inexact 0
		.amdhsa_exception_int_div_zero 0
	.end_amdhsa_kernel
	.section	.text._ZN9rocsolver6v33100L18trti2_kernel_smallILi19EdPKPdEEv13rocblas_fill_17rocblas_diagonal_T1_iil,"axG",@progbits,_ZN9rocsolver6v33100L18trti2_kernel_smallILi19EdPKPdEEv13rocblas_fill_17rocblas_diagonal_T1_iil,comdat
.Lfunc_end82:
	.size	_ZN9rocsolver6v33100L18trti2_kernel_smallILi19EdPKPdEEv13rocblas_fill_17rocblas_diagonal_T1_iil, .Lfunc_end82-_ZN9rocsolver6v33100L18trti2_kernel_smallILi19EdPKPdEEv13rocblas_fill_17rocblas_diagonal_T1_iil
                                        ; -- End function
	.set _ZN9rocsolver6v33100L18trti2_kernel_smallILi19EdPKPdEEv13rocblas_fill_17rocblas_diagonal_T1_iil.num_vgpr, 52
	.set _ZN9rocsolver6v33100L18trti2_kernel_smallILi19EdPKPdEEv13rocblas_fill_17rocblas_diagonal_T1_iil.num_agpr, 0
	.set _ZN9rocsolver6v33100L18trti2_kernel_smallILi19EdPKPdEEv13rocblas_fill_17rocblas_diagonal_T1_iil.numbered_sgpr, 31
	.set _ZN9rocsolver6v33100L18trti2_kernel_smallILi19EdPKPdEEv13rocblas_fill_17rocblas_diagonal_T1_iil.num_named_barrier, 0
	.set _ZN9rocsolver6v33100L18trti2_kernel_smallILi19EdPKPdEEv13rocblas_fill_17rocblas_diagonal_T1_iil.private_seg_size, 160
	.set _ZN9rocsolver6v33100L18trti2_kernel_smallILi19EdPKPdEEv13rocblas_fill_17rocblas_diagonal_T1_iil.uses_vcc, 1
	.set _ZN9rocsolver6v33100L18trti2_kernel_smallILi19EdPKPdEEv13rocblas_fill_17rocblas_diagonal_T1_iil.uses_flat_scratch, 0
	.set _ZN9rocsolver6v33100L18trti2_kernel_smallILi19EdPKPdEEv13rocblas_fill_17rocblas_diagonal_T1_iil.has_dyn_sized_stack, 0
	.set _ZN9rocsolver6v33100L18trti2_kernel_smallILi19EdPKPdEEv13rocblas_fill_17rocblas_diagonal_T1_iil.has_recursion, 0
	.set _ZN9rocsolver6v33100L18trti2_kernel_smallILi19EdPKPdEEv13rocblas_fill_17rocblas_diagonal_T1_iil.has_indirect_call, 0
	.section	.AMDGPU.csdata,"",@progbits
; Kernel info:
; codeLenInByte = 10912
; TotalNumSgprs: 35
; NumVgprs: 52
; ScratchSize: 160
; MemoryBound: 0
; FloatMode: 240
; IeeeMode: 1
; LDSByteSize: 312 bytes/workgroup (compile time only)
; SGPRBlocks: 4
; VGPRBlocks: 12
; NumSGPRsForWavesPerEU: 35
; NumVGPRsForWavesPerEU: 52
; Occupancy: 4
; WaveLimiterHint : 1
; COMPUTE_PGM_RSRC2:SCRATCH_EN: 1
; COMPUTE_PGM_RSRC2:USER_SGPR: 6
; COMPUTE_PGM_RSRC2:TRAP_HANDLER: 0
; COMPUTE_PGM_RSRC2:TGID_X_EN: 1
; COMPUTE_PGM_RSRC2:TGID_Y_EN: 0
; COMPUTE_PGM_RSRC2:TGID_Z_EN: 0
; COMPUTE_PGM_RSRC2:TIDIG_COMP_CNT: 0
	.section	.text._ZN9rocsolver6v33100L18trti2_kernel_smallILi20EdPKPdEEv13rocblas_fill_17rocblas_diagonal_T1_iil,"axG",@progbits,_ZN9rocsolver6v33100L18trti2_kernel_smallILi20EdPKPdEEv13rocblas_fill_17rocblas_diagonal_T1_iil,comdat
	.globl	_ZN9rocsolver6v33100L18trti2_kernel_smallILi20EdPKPdEEv13rocblas_fill_17rocblas_diagonal_T1_iil ; -- Begin function _ZN9rocsolver6v33100L18trti2_kernel_smallILi20EdPKPdEEv13rocblas_fill_17rocblas_diagonal_T1_iil
	.p2align	8
	.type	_ZN9rocsolver6v33100L18trti2_kernel_smallILi20EdPKPdEEv13rocblas_fill_17rocblas_diagonal_T1_iil,@function
_ZN9rocsolver6v33100L18trti2_kernel_smallILi20EdPKPdEEv13rocblas_fill_17rocblas_diagonal_T1_iil: ; @_ZN9rocsolver6v33100L18trti2_kernel_smallILi20EdPKPdEEv13rocblas_fill_17rocblas_diagonal_T1_iil
; %bb.0:
	s_add_u32 s0, s0, s7
	s_addc_u32 s1, s1, 0
	v_cmp_gt_u32_e32 vcc, 20, v0
	s_and_saveexec_b64 s[8:9], vcc
	s_cbranch_execz .LBB83_370
; %bb.1:
	s_load_dwordx2 s[12:13], s[4:5], 0x10
	s_load_dwordx4 s[8:11], s[4:5], 0x0
	s_ashr_i32 s7, s6, 31
	s_lshl_b64 s[6:7], s[6:7], 3
	v_lshlrev_b32_e32 v43, 3, v0
	s_waitcnt lgkmcnt(0)
	s_ashr_i32 s5, s12, 31
	s_add_u32 s6, s10, s6
	s_addc_u32 s7, s11, s7
	s_load_dwordx2 s[6:7], s[6:7], 0x0
	s_mov_b32 s4, s12
	s_lshl_b64 s[4:5], s[4:5], 3
	s_waitcnt lgkmcnt(0)
	s_add_u32 s6, s6, s4
	s_addc_u32 s7, s7, s5
	v_mov_b32_e32 v2, s7
	v_add_co_u32_e32 v1, vcc, s6, v43
	v_addc_co_u32_e32 v2, vcc, 0, v2, vcc
	flat_load_dwordx2 v[5:6], v[1:2]
	s_mov_b32 s4, s13
	s_ashr_i32 s5, s13, 31
	s_lshl_b64 s[4:5], s[4:5], 3
	v_mov_b32_e32 v4, s5
	v_add_co_u32_e32 v3, vcc, s4, v1
	v_addc_co_u32_e32 v4, vcc, v2, v4, vcc
	s_add_i32 s4, s13, s13
	v_add_u32_e32 v9, s4, v0
	v_ashrrev_i32_e32 v10, 31, v9
	v_mov_b32_e32 v11, s7
	v_add_u32_e32 v12, s13, v9
	v_ashrrev_i32_e32 v13, 31, v12
	v_mov_b32_e32 v14, s7
	v_mov_b32_e32 v15, s7
	;; [unrolled: 1-line block ×16, first 2 shown]
	s_cmpk_lg_i32 s9, 0x84
	s_cselect_b64 s[10:11], -1, 0
	s_cmpk_eq_i32 s9, 0x84
	s_waitcnt vmcnt(0) lgkmcnt(0)
	buffer_store_dword v6, off, s[0:3], 0 offset:4
	buffer_store_dword v5, off, s[0:3], 0
	flat_load_dwordx2 v[7:8], v[3:4]
	v_lshlrev_b64 v[5:6], 3, v[9:10]
	s_waitcnt vmcnt(0) lgkmcnt(0)
	buffer_store_dword v8, off, s[0:3], 0 offset:12
	buffer_store_dword v7, off, s[0:3], 0 offset:8
	v_add_co_u32_e32 v5, vcc, s6, v5
	v_addc_co_u32_e32 v6, vcc, v11, v6, vcc
	flat_load_dwordx2 v[10:11], v[5:6]
	v_lshlrev_b64 v[7:8], 3, v[12:13]
	s_waitcnt vmcnt(0) lgkmcnt(0)
	buffer_store_dword v11, off, s[0:3], 0 offset:20
	buffer_store_dword v10, off, s[0:3], 0 offset:16
	v_add_co_u32_e32 v7, vcc, s6, v7
	v_addc_co_u32_e32 v8, vcc, v14, v8, vcc
	flat_load_dwordx2 v[13:14], v[7:8]
	v_add_u32_e32 v11, s13, v12
	v_ashrrev_i32_e32 v12, 31, v11
	v_lshlrev_b64 v[9:10], 3, v[11:12]
	s_waitcnt vmcnt(0) lgkmcnt(0)
	buffer_store_dword v14, off, s[0:3], 0 offset:28
	buffer_store_dword v13, off, s[0:3], 0 offset:24
	v_add_co_u32_e32 v9, vcc, s6, v9
	v_addc_co_u32_e32 v10, vcc, v15, v10, vcc
	flat_load_dwordx2 v[13:14], v[9:10]
	v_add_u32_e32 v15, s13, v11
	v_ashrrev_i32_e32 v16, 31, v15
	v_lshlrev_b64 v[11:12], 3, v[15:16]
	v_add_u32_e32 v18, s13, v15
	v_add_co_u32_e32 v11, vcc, s6, v11
	v_addc_co_u32_e32 v12, vcc, v17, v12, vcc
	v_ashrrev_i32_e32 v19, 31, v18
	s_waitcnt vmcnt(0) lgkmcnt(0)
	buffer_store_dword v14, off, s[0:3], 0 offset:36
	buffer_store_dword v13, off, s[0:3], 0 offset:32
	flat_load_dwordx2 v[16:17], v[11:12]
	v_lshlrev_b64 v[13:14], 3, v[18:19]
	s_waitcnt vmcnt(0) lgkmcnt(0)
	buffer_store_dword v17, off, s[0:3], 0 offset:44
	buffer_store_dword v16, off, s[0:3], 0 offset:40
	v_add_co_u32_e32 v13, vcc, s6, v13
	v_addc_co_u32_e32 v14, vcc, v20, v14, vcc
	flat_load_dwordx2 v[19:20], v[13:14]
	v_add_u32_e32 v17, s13, v18
	v_ashrrev_i32_e32 v18, 31, v17
	v_lshlrev_b64 v[15:16], 3, v[17:18]
	s_waitcnt vmcnt(0) lgkmcnt(0)
	buffer_store_dword v20, off, s[0:3], 0 offset:52
	buffer_store_dword v19, off, s[0:3], 0 offset:48
	v_add_co_u32_e32 v15, vcc, s6, v15
	v_addc_co_u32_e32 v16, vcc, v21, v16, vcc
	flat_load_dwordx2 v[19:20], v[15:16]
	v_add_u32_e32 v21, s13, v17
	v_ashrrev_i32_e32 v22, 31, v21
	v_lshlrev_b64 v[17:18], 3, v[21:22]
	v_add_u32_e32 v24, s13, v21
	v_add_co_u32_e32 v17, vcc, s6, v17
	v_addc_co_u32_e32 v18, vcc, v23, v18, vcc
	v_ashrrev_i32_e32 v25, 31, v24
	s_waitcnt vmcnt(0) lgkmcnt(0)
	buffer_store_dword v20, off, s[0:3], 0 offset:60
	buffer_store_dword v19, off, s[0:3], 0 offset:56
	;; [unrolled: 27-line block ×4, first 2 shown]
	flat_load_dwordx2 v[34:35], v[29:30]
	v_lshlrev_b64 v[31:32], 3, v[36:37]
	s_waitcnt vmcnt(0) lgkmcnt(0)
	buffer_store_dword v35, off, s[0:3], 0 offset:116
	buffer_store_dword v34, off, s[0:3], 0 offset:112
	v_add_co_u32_e32 v31, vcc, s6, v31
	v_addc_co_u32_e32 v32, vcc, v38, v32, vcc
	flat_load_dwordx2 v[37:38], v[31:32]
	v_add_u32_e32 v35, s13, v36
	v_ashrrev_i32_e32 v36, 31, v35
	v_lshlrev_b64 v[33:34], 3, v[35:36]
	s_waitcnt vmcnt(0) lgkmcnt(0)
	buffer_store_dword v38, off, s[0:3], 0 offset:124
	buffer_store_dword v37, off, s[0:3], 0 offset:120
	v_add_co_u32_e32 v33, vcc, s6, v33
	v_addc_co_u32_e32 v34, vcc, v39, v34, vcc
	flat_load_dwordx2 v[37:38], v[33:34]
	v_add_u32_e32 v39, s13, v35
	v_ashrrev_i32_e32 v40, 31, v39
	v_lshlrev_b64 v[35:36], 3, v[39:40]
	v_add_u32_e32 v44, s13, v39
	v_add_co_u32_e32 v35, vcc, s6, v35
	v_addc_co_u32_e32 v36, vcc, v41, v36, vcc
	v_ashrrev_i32_e32 v45, 31, v44
	v_add_u32_e32 v39, s13, v44
	s_waitcnt vmcnt(0) lgkmcnt(0)
	buffer_store_dword v38, off, s[0:3], 0 offset:132
	buffer_store_dword v37, off, s[0:3], 0 offset:128
	flat_load_dwordx2 v[40:41], v[35:36]
	v_lshlrev_b64 v[37:38], 3, v[44:45]
	v_mov_b32_e32 v45, s7
	v_add_co_u32_e32 v37, vcc, s6, v37
	v_addc_co_u32_e32 v38, vcc, v42, v38, vcc
	s_waitcnt vmcnt(0) lgkmcnt(0)
	buffer_store_dword v41, off, s[0:3], 0 offset:140
	buffer_store_dword v40, off, s[0:3], 0 offset:136
	flat_load_dwordx2 v[41:42], v[37:38]
	v_ashrrev_i32_e32 v40, 31, v39
	v_lshlrev_b64 v[39:40], 3, v[39:40]
	s_waitcnt vmcnt(0) lgkmcnt(0)
	buffer_store_dword v42, off, s[0:3], 0 offset:148
	buffer_store_dword v41, off, s[0:3], 0 offset:144
	v_add_co_u32_e32 v39, vcc, s6, v39
	v_addc_co_u32_e32 v40, vcc, v45, v40, vcc
	flat_load_dwordx2 v[44:45], v[39:40]
	v_mov_b32_e32 v41, 0
	v_mov_b32_e32 v42, 0xbff00000
	s_waitcnt vmcnt(0) lgkmcnt(0)
	buffer_store_dword v45, off, s[0:3], 0 offset:156
	buffer_store_dword v44, off, s[0:3], 0 offset:152
	s_cbranch_scc1 .LBB83_3
; %bb.2:
	v_mov_b32_e32 v41, 0
	v_lshl_add_u32 v52, v0, 3, v41
	buffer_load_dword v41, v52, s[0:3], 0 offen
	buffer_load_dword v42, v52, s[0:3], 0 offen offset:4
	s_waitcnt vmcnt(0)
	v_div_scale_f64 v[44:45], s[4:5], v[41:42], v[41:42], 1.0
	v_rcp_f64_e32 v[46:47], v[44:45]
	v_fma_f64 v[48:49], -v[44:45], v[46:47], 1.0
	v_fma_f64 v[46:47], v[46:47], v[48:49], v[46:47]
	v_div_scale_f64 v[48:49], vcc, 1.0, v[41:42], 1.0
	v_fma_f64 v[50:51], -v[44:45], v[46:47], 1.0
	v_fma_f64 v[46:47], v[46:47], v[50:51], v[46:47]
	v_mul_f64 v[50:51], v[48:49], v[46:47]
	v_fma_f64 v[44:45], -v[44:45], v[50:51], v[48:49]
	v_div_fmas_f64 v[44:45], v[44:45], v[46:47], v[50:51]
	v_div_fixup_f64 v[41:42], v[44:45], v[41:42], 1.0
	buffer_store_dword v41, v52, s[0:3], 0 offen
	buffer_store_dword v42, v52, s[0:3], 0 offen offset:4
	v_xor_b32_e32 v42, 0x80000000, v42
.LBB83_3:
	s_cmpk_eq_i32 s8, 0x79
	v_add_u32_e32 v44, 0xa0, v43
	v_mov_b32_e32 v45, v43
	s_mov_b64 s[4:5], -1
	ds_write_b64 v43, v[41:42]
	s_cbranch_scc1 .LBB83_187
; %bb.4:
	buffer_load_dword v41, off, s[0:3], 0 offset:144
	buffer_load_dword v42, off, s[0:3], 0 offset:148
	s_movk_i32 s12, 0x48
	s_movk_i32 s13, 0x50
	;; [unrolled: 1-line block ×9, first 2 shown]
	v_cmp_eq_u32_e64 s[4:5], 19, v0
	s_waitcnt vmcnt(0)
	ds_write_b64 v44, v[41:42]
	s_waitcnt lgkmcnt(0)
	; wave barrier
	s_and_saveexec_b64 s[6:7], s[4:5]
	s_cbranch_execz .LBB83_10
; %bb.5:
	s_and_b64 vcc, exec, s[10:11]
	s_cbranch_vccz .LBB83_7
; %bb.6:
	buffer_load_dword v41, v45, s[0:3], 0 offen
	buffer_load_dword v42, v45, s[0:3], 0 offen offset:4
	ds_read_b64 v[46:47], v44
	s_waitcnt vmcnt(0) lgkmcnt(0)
	v_mul_f64 v[41:42], v[41:42], v[46:47]
	s_cbranch_execz .LBB83_8
	s_branch .LBB83_9
.LBB83_7:
                                        ; implicit-def: $vgpr41_vgpr42
.LBB83_8:
	ds_read_b64 v[41:42], v44
.LBB83_9:
	v_mov_b32_e32 v46, 0
	ds_read_b64 v[46:47], v46 offset:144
	s_waitcnt lgkmcnt(0)
	v_mul_f64 v[41:42], v[41:42], v[46:47]
	buffer_store_dword v42, off, s[0:3], 0 offset:148
	buffer_store_dword v41, off, s[0:3], 0 offset:144
.LBB83_10:
	s_or_b64 exec, exec, s[6:7]
	buffer_load_dword v41, off, s[0:3], 0 offset:136
	buffer_load_dword v42, off, s[0:3], 0 offset:140
	s_or_b32 s14, 0, 8
	s_mov_b32 s15, 16
	s_mov_b32 s16, 24
	;; [unrolled: 1-line block ×9, first 2 shown]
	v_cmp_lt_u32_e64 s[6:7], 17, v0
	s_waitcnt vmcnt(0)
	ds_write_b64 v44, v[41:42]
	s_waitcnt lgkmcnt(0)
	; wave barrier
	s_and_saveexec_b64 s[8:9], s[6:7]
	s_cbranch_execz .LBB83_16
; %bb.11:
	s_andn2_b64 vcc, exec, s[10:11]
	s_cbranch_vccnz .LBB83_13
; %bb.12:
	buffer_load_dword v41, v45, s[0:3], 0 offen
	buffer_load_dword v42, v45, s[0:3], 0 offen offset:4
	ds_read_b64 v[46:47], v44
	s_waitcnt vmcnt(0) lgkmcnt(0)
	v_mul_f64 v[41:42], v[41:42], v[46:47]
	s_cbranch_execz .LBB83_14
	s_branch .LBB83_15
.LBB83_13:
                                        ; implicit-def: $vgpr41_vgpr42
.LBB83_14:
	ds_read_b64 v[41:42], v44
.LBB83_15:
	buffer_load_dword v50, off, s[0:3], 0 offset:144
	buffer_load_dword v51, off, s[0:3], 0 offset:148
	v_mov_b32_e32 v46, 0
	ds_read2_b64 v[46:49], v46 offset0:17 offset1:38
	s_waitcnt vmcnt(0) lgkmcnt(0)
	v_fma_f64 v[48:49], v[50:51], v[48:49], v[41:42]
	v_cndmask_b32_e64 v42, v42, v49, s[4:5]
	v_cndmask_b32_e64 v41, v41, v48, s[4:5]
	v_mul_f64 v[41:42], v[41:42], v[46:47]
	buffer_store_dword v42, off, s[0:3], 0 offset:140
	buffer_store_dword v41, off, s[0:3], 0 offset:136
.LBB83_16:
	s_or_b64 exec, exec, s[8:9]
	buffer_load_dword v41, off, s[0:3], 0 offset:128
	buffer_load_dword v42, off, s[0:3], 0 offset:132
	v_cmp_lt_u32_e64 s[4:5], 16, v0
	s_waitcnt vmcnt(0)
	ds_write_b64 v44, v[41:42]
	s_waitcnt lgkmcnt(0)
	; wave barrier
	s_and_saveexec_b64 s[8:9], s[4:5]
	s_cbranch_execz .LBB83_26
; %bb.17:
	s_andn2_b64 vcc, exec, s[10:11]
	s_cbranch_vccnz .LBB83_19
; %bb.18:
	buffer_load_dword v41, v45, s[0:3], 0 offen
	buffer_load_dword v42, v45, s[0:3], 0 offen offset:4
	ds_read_b64 v[46:47], v44
	s_waitcnt vmcnt(0) lgkmcnt(0)
	v_mul_f64 v[41:42], v[41:42], v[46:47]
	s_cbranch_execz .LBB83_20
	s_branch .LBB83_21
.LBB83_19:
                                        ; implicit-def: $vgpr41_vgpr42
.LBB83_20:
	ds_read_b64 v[41:42], v44
.LBB83_21:
	s_and_saveexec_b64 s[12:13], s[6:7]
	s_cbranch_execz .LBB83_25
; %bb.22:
	v_subrev_u32_e32 v46, 17, v0
	s_movk_i32 s31, 0x128
	s_mov_b64 s[6:7], 0
.LBB83_23:                              ; =>This Inner Loop Header: Depth=1
	v_mov_b32_e32 v49, s30
	buffer_load_dword v47, v49, s[0:3], 0 offen
	buffer_load_dword v48, v49, s[0:3], 0 offen offset:4
	v_mov_b32_e32 v49, s31
	ds_read_b64 v[49:50], v49
	v_add_u32_e32 v46, -1, v46
	s_add_i32 s31, s31, 8
	s_add_i32 s30, s30, 8
	v_cmp_eq_u32_e32 vcc, 0, v46
	s_or_b64 s[6:7], vcc, s[6:7]
	s_waitcnt vmcnt(0) lgkmcnt(0)
	v_fma_f64 v[41:42], v[47:48], v[49:50], v[41:42]
	s_andn2_b64 exec, exec, s[6:7]
	s_cbranch_execnz .LBB83_23
; %bb.24:
	s_or_b64 exec, exec, s[6:7]
.LBB83_25:
	s_or_b64 exec, exec, s[12:13]
	v_mov_b32_e32 v46, 0
	ds_read_b64 v[46:47], v46 offset:128
	s_waitcnt lgkmcnt(0)
	v_mul_f64 v[41:42], v[41:42], v[46:47]
	buffer_store_dword v42, off, s[0:3], 0 offset:132
	buffer_store_dword v41, off, s[0:3], 0 offset:128
.LBB83_26:
	s_or_b64 exec, exec, s[8:9]
	buffer_load_dword v41, off, s[0:3], 0 offset:120
	buffer_load_dword v42, off, s[0:3], 0 offset:124
	v_cmp_lt_u32_e64 s[6:7], 15, v0
	s_waitcnt vmcnt(0)
	ds_write_b64 v44, v[41:42]
	s_waitcnt lgkmcnt(0)
	; wave barrier
	s_and_saveexec_b64 s[8:9], s[6:7]
	s_cbranch_execz .LBB83_36
; %bb.27:
	s_andn2_b64 vcc, exec, s[10:11]
	s_cbranch_vccnz .LBB83_29
; %bb.28:
	buffer_load_dword v41, v45, s[0:3], 0 offen
	buffer_load_dword v42, v45, s[0:3], 0 offen offset:4
	ds_read_b64 v[46:47], v44
	s_waitcnt vmcnt(0) lgkmcnt(0)
	v_mul_f64 v[41:42], v[41:42], v[46:47]
	s_cbranch_execz .LBB83_30
	s_branch .LBB83_31
.LBB83_29:
                                        ; implicit-def: $vgpr41_vgpr42
.LBB83_30:
	ds_read_b64 v[41:42], v44
.LBB83_31:
	s_and_saveexec_b64 s[12:13], s[4:5]
	s_cbranch_execz .LBB83_35
; %bb.32:
	v_add_u32_e32 v46, -16, v0
	s_movk_i32 s30, 0x120
	s_mov_b64 s[4:5], 0
.LBB83_33:                              ; =>This Inner Loop Header: Depth=1
	v_mov_b32_e32 v49, s29
	buffer_load_dword v47, v49, s[0:3], 0 offen
	buffer_load_dword v48, v49, s[0:3], 0 offen offset:4
	v_mov_b32_e32 v49, s30
	ds_read_b64 v[49:50], v49
	v_add_u32_e32 v46, -1, v46
	s_add_i32 s30, s30, 8
	s_add_i32 s29, s29, 8
	v_cmp_eq_u32_e32 vcc, 0, v46
	s_or_b64 s[4:5], vcc, s[4:5]
	s_waitcnt vmcnt(0) lgkmcnt(0)
	v_fma_f64 v[41:42], v[47:48], v[49:50], v[41:42]
	s_andn2_b64 exec, exec, s[4:5]
	s_cbranch_execnz .LBB83_33
; %bb.34:
	s_or_b64 exec, exec, s[4:5]
.LBB83_35:
	s_or_b64 exec, exec, s[12:13]
	v_mov_b32_e32 v46, 0
	ds_read_b64 v[46:47], v46 offset:120
	s_waitcnt lgkmcnt(0)
	v_mul_f64 v[41:42], v[41:42], v[46:47]
	buffer_store_dword v42, off, s[0:3], 0 offset:124
	buffer_store_dword v41, off, s[0:3], 0 offset:120
.LBB83_36:
	s_or_b64 exec, exec, s[8:9]
	buffer_load_dword v41, off, s[0:3], 0 offset:112
	buffer_load_dword v42, off, s[0:3], 0 offset:116
	v_cmp_lt_u32_e64 s[4:5], 14, v0
	s_waitcnt vmcnt(0)
	ds_write_b64 v44, v[41:42]
	s_waitcnt lgkmcnt(0)
	; wave barrier
	s_and_saveexec_b64 s[8:9], s[4:5]
	s_cbranch_execz .LBB83_46
; %bb.37:
	s_andn2_b64 vcc, exec, s[10:11]
	s_cbranch_vccnz .LBB83_39
; %bb.38:
	buffer_load_dword v41, v45, s[0:3], 0 offen
	buffer_load_dword v42, v45, s[0:3], 0 offen offset:4
	ds_read_b64 v[46:47], v44
	s_waitcnt vmcnt(0) lgkmcnt(0)
	v_mul_f64 v[41:42], v[41:42], v[46:47]
	s_cbranch_execz .LBB83_40
	s_branch .LBB83_41
.LBB83_39:
                                        ; implicit-def: $vgpr41_vgpr42
.LBB83_40:
	ds_read_b64 v[41:42], v44
.LBB83_41:
	s_and_saveexec_b64 s[12:13], s[6:7]
	s_cbranch_execz .LBB83_45
; %bb.42:
	v_add_u32_e32 v46, -15, v0
	s_movk_i32 s29, 0x118
	s_mov_b64 s[6:7], 0
.LBB83_43:                              ; =>This Inner Loop Header: Depth=1
	v_mov_b32_e32 v49, s28
	buffer_load_dword v47, v49, s[0:3], 0 offen
	buffer_load_dword v48, v49, s[0:3], 0 offen offset:4
	v_mov_b32_e32 v49, s29
	ds_read_b64 v[49:50], v49
	v_add_u32_e32 v46, -1, v46
	s_add_i32 s29, s29, 8
	s_add_i32 s28, s28, 8
	v_cmp_eq_u32_e32 vcc, 0, v46
	s_or_b64 s[6:7], vcc, s[6:7]
	s_waitcnt vmcnt(0) lgkmcnt(0)
	v_fma_f64 v[41:42], v[47:48], v[49:50], v[41:42]
	s_andn2_b64 exec, exec, s[6:7]
	s_cbranch_execnz .LBB83_43
; %bb.44:
	s_or_b64 exec, exec, s[6:7]
.LBB83_45:
	s_or_b64 exec, exec, s[12:13]
	v_mov_b32_e32 v46, 0
	ds_read_b64 v[46:47], v46 offset:112
	s_waitcnt lgkmcnt(0)
	v_mul_f64 v[41:42], v[41:42], v[46:47]
	buffer_store_dword v42, off, s[0:3], 0 offset:116
	buffer_store_dword v41, off, s[0:3], 0 offset:112
.LBB83_46:
	;; [unrolled: 58-line block ×7, first 2 shown]
	s_or_b64 exec, exec, s[8:9]
	buffer_load_dword v41, off, s[0:3], 0 offset:64
	buffer_load_dword v42, off, s[0:3], 0 offset:68
	v_cmp_lt_u32_e64 s[4:5], 8, v0
	s_waitcnt vmcnt(0)
	ds_write_b64 v44, v[41:42]
	s_waitcnt lgkmcnt(0)
	; wave barrier
	s_and_saveexec_b64 s[8:9], s[4:5]
	s_cbranch_execz .LBB83_106
; %bb.97:
	s_andn2_b64 vcc, exec, s[10:11]
	s_cbranch_vccnz .LBB83_99
; %bb.98:
	buffer_load_dword v41, v45, s[0:3], 0 offen
	buffer_load_dword v42, v45, s[0:3], 0 offen offset:4
	ds_read_b64 v[46:47], v44
	s_waitcnt vmcnt(0) lgkmcnt(0)
	v_mul_f64 v[41:42], v[41:42], v[46:47]
	s_cbranch_execz .LBB83_100
	s_branch .LBB83_101
.LBB83_99:
                                        ; implicit-def: $vgpr41_vgpr42
.LBB83_100:
	ds_read_b64 v[41:42], v44
.LBB83_101:
	s_and_saveexec_b64 s[12:13], s[6:7]
	s_cbranch_execz .LBB83_105
; %bb.102:
	v_add_u32_e32 v46, -9, v0
	s_movk_i32 s23, 0xe8
	s_mov_b64 s[6:7], 0
.LBB83_103:                             ; =>This Inner Loop Header: Depth=1
	v_mov_b32_e32 v49, s22
	buffer_load_dword v47, v49, s[0:3], 0 offen
	buffer_load_dword v48, v49, s[0:3], 0 offen offset:4
	v_mov_b32_e32 v49, s23
	ds_read_b64 v[49:50], v49
	v_add_u32_e32 v46, -1, v46
	s_add_i32 s23, s23, 8
	s_add_i32 s22, s22, 8
	v_cmp_eq_u32_e32 vcc, 0, v46
	s_or_b64 s[6:7], vcc, s[6:7]
	s_waitcnt vmcnt(0) lgkmcnt(0)
	v_fma_f64 v[41:42], v[47:48], v[49:50], v[41:42]
	s_andn2_b64 exec, exec, s[6:7]
	s_cbranch_execnz .LBB83_103
; %bb.104:
	s_or_b64 exec, exec, s[6:7]
.LBB83_105:
	s_or_b64 exec, exec, s[12:13]
	v_mov_b32_e32 v46, 0
	ds_read_b64 v[46:47], v46 offset:64
	s_waitcnt lgkmcnt(0)
	v_mul_f64 v[41:42], v[41:42], v[46:47]
	buffer_store_dword v42, off, s[0:3], 0 offset:68
	buffer_store_dword v41, off, s[0:3], 0 offset:64
.LBB83_106:
	s_or_b64 exec, exec, s[8:9]
	buffer_load_dword v41, off, s[0:3], 0 offset:56
	buffer_load_dword v42, off, s[0:3], 0 offset:60
	v_cmp_lt_u32_e64 s[6:7], 7, v0
	s_waitcnt vmcnt(0)
	ds_write_b64 v44, v[41:42]
	s_waitcnt lgkmcnt(0)
	; wave barrier
	s_and_saveexec_b64 s[8:9], s[6:7]
	s_cbranch_execz .LBB83_116
; %bb.107:
	s_andn2_b64 vcc, exec, s[10:11]
	s_cbranch_vccnz .LBB83_109
; %bb.108:
	buffer_load_dword v41, v45, s[0:3], 0 offen
	buffer_load_dword v42, v45, s[0:3], 0 offen offset:4
	ds_read_b64 v[46:47], v44
	s_waitcnt vmcnt(0) lgkmcnt(0)
	v_mul_f64 v[41:42], v[41:42], v[46:47]
	s_cbranch_execz .LBB83_110
	s_branch .LBB83_111
.LBB83_109:
                                        ; implicit-def: $vgpr41_vgpr42
.LBB83_110:
	ds_read_b64 v[41:42], v44
.LBB83_111:
	s_and_saveexec_b64 s[12:13], s[4:5]
	s_cbranch_execz .LBB83_115
; %bb.112:
	v_add_u32_e32 v46, -8, v0
	s_movk_i32 s22, 0xe0
	s_mov_b64 s[4:5], 0
.LBB83_113:                             ; =>This Inner Loop Header: Depth=1
	v_mov_b32_e32 v49, s21
	buffer_load_dword v47, v49, s[0:3], 0 offen
	buffer_load_dword v48, v49, s[0:3], 0 offen offset:4
	v_mov_b32_e32 v49, s22
	ds_read_b64 v[49:50], v49
	v_add_u32_e32 v46, -1, v46
	s_add_i32 s22, s22, 8
	s_add_i32 s21, s21, 8
	v_cmp_eq_u32_e32 vcc, 0, v46
	s_or_b64 s[4:5], vcc, s[4:5]
	s_waitcnt vmcnt(0) lgkmcnt(0)
	v_fma_f64 v[41:42], v[47:48], v[49:50], v[41:42]
	s_andn2_b64 exec, exec, s[4:5]
	s_cbranch_execnz .LBB83_113
; %bb.114:
	s_or_b64 exec, exec, s[4:5]
.LBB83_115:
	s_or_b64 exec, exec, s[12:13]
	v_mov_b32_e32 v46, 0
	ds_read_b64 v[46:47], v46 offset:56
	s_waitcnt lgkmcnt(0)
	v_mul_f64 v[41:42], v[41:42], v[46:47]
	buffer_store_dword v42, off, s[0:3], 0 offset:60
	buffer_store_dword v41, off, s[0:3], 0 offset:56
.LBB83_116:
	;; [unrolled: 58-line block ×8, first 2 shown]
	s_or_b64 exec, exec, s[8:9]
	buffer_load_dword v41, off, s[0:3], 0
	buffer_load_dword v42, off, s[0:3], 0 offset:4
	v_cmp_ne_u32_e32 vcc, 0, v0
	s_waitcnt vmcnt(0)
	ds_write_b64 v44, v[41:42]
	s_waitcnt lgkmcnt(0)
	; wave barrier
	s_and_saveexec_b64 s[4:5], vcc
	s_cbranch_execz .LBB83_186
; %bb.177:
	s_andn2_b64 vcc, exec, s[10:11]
	s_cbranch_vccnz .LBB83_179
; %bb.178:
	buffer_load_dword v41, v45, s[0:3], 0 offen
	buffer_load_dword v42, v45, s[0:3], 0 offen offset:4
	ds_read_b64 v[46:47], v44
	s_waitcnt vmcnt(0) lgkmcnt(0)
	v_mul_f64 v[41:42], v[41:42], v[46:47]
	s_cbranch_execz .LBB83_180
	s_branch .LBB83_181
.LBB83_179:
                                        ; implicit-def: $vgpr41_vgpr42
.LBB83_180:
	ds_read_b64 v[41:42], v44
.LBB83_181:
	s_and_saveexec_b64 s[8:9], s[6:7]
	s_cbranch_execz .LBB83_185
; %bb.182:
	v_add_u32_e32 v46, -1, v0
	s_movk_i32 s12, 0xa8
	s_mov_b64 s[6:7], 0
.LBB83_183:                             ; =>This Inner Loop Header: Depth=1
	v_mov_b32_e32 v49, s14
	buffer_load_dword v47, v49, s[0:3], 0 offen
	buffer_load_dword v48, v49, s[0:3], 0 offen offset:4
	v_mov_b32_e32 v49, s12
	ds_read_b64 v[49:50], v49
	v_add_u32_e32 v46, -1, v46
	s_add_i32 s12, s12, 8
	s_add_i32 s14, s14, 8
	v_cmp_eq_u32_e32 vcc, 0, v46
	s_or_b64 s[6:7], vcc, s[6:7]
	s_waitcnt vmcnt(0) lgkmcnt(0)
	v_fma_f64 v[41:42], v[47:48], v[49:50], v[41:42]
	s_andn2_b64 exec, exec, s[6:7]
	s_cbranch_execnz .LBB83_183
; %bb.184:
	s_or_b64 exec, exec, s[6:7]
.LBB83_185:
	s_or_b64 exec, exec, s[8:9]
	v_mov_b32_e32 v46, 0
	ds_read_b64 v[46:47], v46
	s_waitcnt lgkmcnt(0)
	v_mul_f64 v[41:42], v[41:42], v[46:47]
	buffer_store_dword v42, off, s[0:3], 0 offset:4
	buffer_store_dword v41, off, s[0:3], 0
.LBB83_186:
	s_or_b64 exec, exec, s[4:5]
	s_mov_b64 s[4:5], 0
.LBB83_187:
	s_and_b64 vcc, exec, s[4:5]
	s_cbranch_vccz .LBB83_369
; %bb.188:
	buffer_load_dword v41, off, s[0:3], 0 offset:8
	buffer_load_dword v42, off, s[0:3], 0 offset:12
	v_cmp_eq_u32_e64 s[6:7], 0, v0
	s_waitcnt vmcnt(0)
	ds_write_b64 v44, v[41:42]
	s_waitcnt lgkmcnt(0)
	; wave barrier
	s_and_saveexec_b64 s[4:5], s[6:7]
	s_cbranch_execz .LBB83_194
; %bb.189:
	s_and_b64 vcc, exec, s[10:11]
	s_cbranch_vccz .LBB83_191
; %bb.190:
	buffer_load_dword v41, v45, s[0:3], 0 offen
	buffer_load_dword v42, v45, s[0:3], 0 offen offset:4
	ds_read_b64 v[46:47], v44
	s_waitcnt vmcnt(0) lgkmcnt(0)
	v_mul_f64 v[41:42], v[41:42], v[46:47]
	s_cbranch_execz .LBB83_192
	s_branch .LBB83_193
.LBB83_191:
                                        ; implicit-def: $vgpr41_vgpr42
.LBB83_192:
	ds_read_b64 v[41:42], v44
.LBB83_193:
	v_mov_b32_e32 v46, 0
	ds_read_b64 v[46:47], v46 offset:8
	s_waitcnt lgkmcnt(0)
	v_mul_f64 v[41:42], v[41:42], v[46:47]
	buffer_store_dword v42, off, s[0:3], 0 offset:12
	buffer_store_dword v41, off, s[0:3], 0 offset:8
.LBB83_194:
	s_or_b64 exec, exec, s[4:5]
	buffer_load_dword v41, off, s[0:3], 0 offset:16
	buffer_load_dword v42, off, s[0:3], 0 offset:20
	v_cndmask_b32_e64 v46, 0, 1, s[10:11]
	v_cmp_gt_u32_e32 vcc, 2, v0
	v_cmp_ne_u32_e64 s[4:5], 1, v46
	s_waitcnt vmcnt(0)
	ds_write_b64 v44, v[41:42]
	s_waitcnt lgkmcnt(0)
	; wave barrier
	s_and_saveexec_b64 s[8:9], vcc
	s_cbranch_execz .LBB83_200
; %bb.195:
	s_and_b64 vcc, exec, s[4:5]
	s_cbranch_vccnz .LBB83_197
; %bb.196:
	buffer_load_dword v41, v45, s[0:3], 0 offen
	buffer_load_dword v42, v45, s[0:3], 0 offen offset:4
	ds_read_b64 v[46:47], v44
	s_waitcnt vmcnt(0) lgkmcnt(0)
	v_mul_f64 v[41:42], v[41:42], v[46:47]
	s_cbranch_execz .LBB83_198
	s_branch .LBB83_199
.LBB83_197:
                                        ; implicit-def: $vgpr41_vgpr42
.LBB83_198:
	ds_read_b64 v[41:42], v44
.LBB83_199:
	buffer_load_dword v50, off, s[0:3], 0 offset:8
	buffer_load_dword v51, off, s[0:3], 0 offset:12
	v_mov_b32_e32 v46, 0
	ds_read2_b64 v[46:49], v46 offset0:2 offset1:21
	s_waitcnt vmcnt(0) lgkmcnt(0)
	v_fma_f64 v[48:49], v[50:51], v[48:49], v[41:42]
	v_cndmask_b32_e64 v42, v42, v49, s[6:7]
	v_cndmask_b32_e64 v41, v41, v48, s[6:7]
	v_mul_f64 v[41:42], v[41:42], v[46:47]
	buffer_store_dword v42, off, s[0:3], 0 offset:20
	buffer_store_dword v41, off, s[0:3], 0 offset:16
.LBB83_200:
	s_or_b64 exec, exec, s[8:9]
	buffer_load_dword v41, off, s[0:3], 0 offset:24
	buffer_load_dword v42, off, s[0:3], 0 offset:28
	v_cmp_gt_u32_e32 vcc, 3, v0
	s_waitcnt vmcnt(0)
	ds_write_b64 v44, v[41:42]
	s_waitcnt lgkmcnt(0)
	; wave barrier
	s_and_saveexec_b64 s[8:9], vcc
	s_cbranch_execz .LBB83_208
; %bb.201:
	s_and_b64 vcc, exec, s[4:5]
	s_cbranch_vccnz .LBB83_203
; %bb.202:
	buffer_load_dword v41, v45, s[0:3], 0 offen
	buffer_load_dword v42, v45, s[0:3], 0 offen offset:4
	ds_read_b64 v[46:47], v44
	s_waitcnt vmcnt(0) lgkmcnt(0)
	v_mul_f64 v[41:42], v[41:42], v[46:47]
	s_cbranch_execz .LBB83_204
	s_branch .LBB83_205
.LBB83_203:
                                        ; implicit-def: $vgpr41_vgpr42
.LBB83_204:
	ds_read_b64 v[41:42], v44
.LBB83_205:
	v_cmp_ne_u32_e32 vcc, 2, v0
	s_and_saveexec_b64 s[10:11], vcc
	s_cbranch_execz .LBB83_207
; %bb.206:
	buffer_load_dword v46, v45, s[0:3], 0 offen offset:8
	buffer_load_dword v47, v45, s[0:3], 0 offen offset:12
	buffer_load_dword v48, off, s[0:3], 0 offset:16
	buffer_load_dword v49, off, s[0:3], 0 offset:20
	ds_read_b64 v[50:51], v44 offset:8
	v_mov_b32_e32 v52, 0
	ds_read_b64 v[52:53], v52 offset:176
	s_waitcnt vmcnt(2) lgkmcnt(1)
	v_fma_f64 v[41:42], v[46:47], v[50:51], v[41:42]
	s_waitcnt vmcnt(0) lgkmcnt(0)
	v_fma_f64 v[46:47], v[48:49], v[52:53], v[41:42]
	v_cndmask_b32_e64 v42, v42, v47, s[6:7]
	v_cndmask_b32_e64 v41, v41, v46, s[6:7]
.LBB83_207:
	s_or_b64 exec, exec, s[10:11]
	v_mov_b32_e32 v46, 0
	ds_read_b64 v[46:47], v46 offset:24
	s_waitcnt lgkmcnt(0)
	v_mul_f64 v[41:42], v[41:42], v[46:47]
	buffer_store_dword v42, off, s[0:3], 0 offset:28
	buffer_store_dword v41, off, s[0:3], 0 offset:24
.LBB83_208:
	s_or_b64 exec, exec, s[8:9]
	buffer_load_dword v41, off, s[0:3], 0 offset:32
	buffer_load_dword v42, off, s[0:3], 0 offset:36
	v_cmp_gt_u32_e32 vcc, 4, v0
	s_waitcnt vmcnt(0)
	ds_write_b64 v44, v[41:42]
	s_waitcnt lgkmcnt(0)
	; wave barrier
	s_and_saveexec_b64 s[6:7], vcc
	s_cbranch_execz .LBB83_218
; %bb.209:
	s_and_b64 vcc, exec, s[4:5]
	s_cbranch_vccnz .LBB83_211
; %bb.210:
	buffer_load_dword v41, v45, s[0:3], 0 offen
	buffer_load_dword v42, v45, s[0:3], 0 offen offset:4
	ds_read_b64 v[46:47], v44
	s_waitcnt vmcnt(0) lgkmcnt(0)
	v_mul_f64 v[41:42], v[41:42], v[46:47]
	s_cbranch_execz .LBB83_212
	s_branch .LBB83_213
.LBB83_211:
                                        ; implicit-def: $vgpr41_vgpr42
.LBB83_212:
	ds_read_b64 v[41:42], v44
.LBB83_213:
	v_cmp_ne_u32_e32 vcc, 3, v0
	s_and_saveexec_b64 s[8:9], vcc
	s_cbranch_execz .LBB83_217
; %bb.214:
	s_mov_b32 s10, 0
	v_add_u32_e32 v46, 0xa8, v43
	v_add3_u32 v47, v43, s10, 8
	s_mov_b64 s[10:11], 0
	v_mov_b32_e32 v48, v0
.LBB83_215:                             ; =>This Inner Loop Header: Depth=1
	buffer_load_dword v49, v47, s[0:3], 0 offen
	buffer_load_dword v50, v47, s[0:3], 0 offen offset:4
	ds_read_b64 v[51:52], v46
	v_add_u32_e32 v48, 1, v48
	v_cmp_lt_u32_e32 vcc, 2, v48
	v_add_u32_e32 v46, 8, v46
	s_or_b64 s[10:11], vcc, s[10:11]
	v_add_u32_e32 v47, 8, v47
	s_waitcnt vmcnt(0) lgkmcnt(0)
	v_fma_f64 v[41:42], v[49:50], v[51:52], v[41:42]
	s_andn2_b64 exec, exec, s[10:11]
	s_cbranch_execnz .LBB83_215
; %bb.216:
	s_or_b64 exec, exec, s[10:11]
.LBB83_217:
	s_or_b64 exec, exec, s[8:9]
	v_mov_b32_e32 v46, 0
	ds_read_b64 v[46:47], v46 offset:32
	s_waitcnt lgkmcnt(0)
	v_mul_f64 v[41:42], v[41:42], v[46:47]
	buffer_store_dword v42, off, s[0:3], 0 offset:36
	buffer_store_dword v41, off, s[0:3], 0 offset:32
.LBB83_218:
	s_or_b64 exec, exec, s[6:7]
	buffer_load_dword v41, off, s[0:3], 0 offset:40
	buffer_load_dword v42, off, s[0:3], 0 offset:44
	v_cmp_gt_u32_e32 vcc, 5, v0
	s_waitcnt vmcnt(0)
	ds_write_b64 v44, v[41:42]
	s_waitcnt lgkmcnt(0)
	; wave barrier
	s_and_saveexec_b64 s[6:7], vcc
	s_cbranch_execz .LBB83_228
; %bb.219:
	s_and_b64 vcc, exec, s[4:5]
	s_cbranch_vccnz .LBB83_221
; %bb.220:
	buffer_load_dword v41, v45, s[0:3], 0 offen
	buffer_load_dword v42, v45, s[0:3], 0 offen offset:4
	ds_read_b64 v[46:47], v44
	s_waitcnt vmcnt(0) lgkmcnt(0)
	v_mul_f64 v[41:42], v[41:42], v[46:47]
	s_cbranch_execz .LBB83_222
	s_branch .LBB83_223
.LBB83_221:
                                        ; implicit-def: $vgpr41_vgpr42
.LBB83_222:
	ds_read_b64 v[41:42], v44
.LBB83_223:
	v_cmp_ne_u32_e32 vcc, 4, v0
	s_and_saveexec_b64 s[8:9], vcc
	s_cbranch_execz .LBB83_227
; %bb.224:
	s_mov_b32 s10, 0
	v_add_u32_e32 v46, 0xa8, v43
	v_add3_u32 v47, v43, s10, 8
	s_mov_b64 s[10:11], 0
	v_mov_b32_e32 v48, v0
.LBB83_225:                             ; =>This Inner Loop Header: Depth=1
	buffer_load_dword v49, v47, s[0:3], 0 offen
	buffer_load_dword v50, v47, s[0:3], 0 offen offset:4
	ds_read_b64 v[51:52], v46
	v_add_u32_e32 v48, 1, v48
	v_cmp_lt_u32_e32 vcc, 3, v48
	v_add_u32_e32 v46, 8, v46
	s_or_b64 s[10:11], vcc, s[10:11]
	v_add_u32_e32 v47, 8, v47
	s_waitcnt vmcnt(0) lgkmcnt(0)
	v_fma_f64 v[41:42], v[49:50], v[51:52], v[41:42]
	s_andn2_b64 exec, exec, s[10:11]
	s_cbranch_execnz .LBB83_225
; %bb.226:
	s_or_b64 exec, exec, s[10:11]
.LBB83_227:
	s_or_b64 exec, exec, s[8:9]
	v_mov_b32_e32 v46, 0
	ds_read_b64 v[46:47], v46 offset:40
	s_waitcnt lgkmcnt(0)
	v_mul_f64 v[41:42], v[41:42], v[46:47]
	buffer_store_dword v42, off, s[0:3], 0 offset:44
	buffer_store_dword v41, off, s[0:3], 0 offset:40
.LBB83_228:
	;; [unrolled: 59-line block ×14, first 2 shown]
	s_or_b64 exec, exec, s[6:7]
	buffer_load_dword v41, off, s[0:3], 0 offset:144
	buffer_load_dword v42, off, s[0:3], 0 offset:148
	v_cmp_gt_u32_e64 s[6:7], 18, v0
	s_waitcnt vmcnt(0)
	ds_write_b64 v44, v[41:42]
	s_waitcnt lgkmcnt(0)
	; wave barrier
	s_and_saveexec_b64 s[8:9], s[6:7]
	s_cbranch_execz .LBB83_358
; %bb.349:
	s_and_b64 vcc, exec, s[4:5]
	s_cbranch_vccnz .LBB83_351
; %bb.350:
	buffer_load_dword v41, v45, s[0:3], 0 offen
	buffer_load_dword v42, v45, s[0:3], 0 offen offset:4
	ds_read_b64 v[46:47], v44
	s_waitcnt vmcnt(0) lgkmcnt(0)
	v_mul_f64 v[41:42], v[41:42], v[46:47]
	s_cbranch_execz .LBB83_352
	s_branch .LBB83_353
.LBB83_351:
                                        ; implicit-def: $vgpr41_vgpr42
.LBB83_352:
	ds_read_b64 v[41:42], v44
.LBB83_353:
	v_cmp_ne_u32_e32 vcc, 17, v0
	s_and_saveexec_b64 s[10:11], vcc
	s_cbranch_execz .LBB83_357
; %bb.354:
	s_mov_b32 s12, 0
	v_add_u32_e32 v46, 0xa8, v43
	v_add3_u32 v47, v43, s12, 8
	s_mov_b64 s[12:13], 0
	v_mov_b32_e32 v48, v0
.LBB83_355:                             ; =>This Inner Loop Header: Depth=1
	buffer_load_dword v49, v47, s[0:3], 0 offen
	buffer_load_dword v50, v47, s[0:3], 0 offen offset:4
	ds_read_b64 v[51:52], v46
	v_add_u32_e32 v48, 1, v48
	v_cmp_lt_u32_e32 vcc, 16, v48
	v_add_u32_e32 v46, 8, v46
	s_or_b64 s[12:13], vcc, s[12:13]
	v_add_u32_e32 v47, 8, v47
	s_waitcnt vmcnt(0) lgkmcnt(0)
	v_fma_f64 v[41:42], v[49:50], v[51:52], v[41:42]
	s_andn2_b64 exec, exec, s[12:13]
	s_cbranch_execnz .LBB83_355
; %bb.356:
	s_or_b64 exec, exec, s[12:13]
.LBB83_357:
	s_or_b64 exec, exec, s[10:11]
	v_mov_b32_e32 v46, 0
	ds_read_b64 v[46:47], v46 offset:144
	s_waitcnt lgkmcnt(0)
	v_mul_f64 v[41:42], v[41:42], v[46:47]
	buffer_store_dword v42, off, s[0:3], 0 offset:148
	buffer_store_dword v41, off, s[0:3], 0 offset:144
.LBB83_358:
	s_or_b64 exec, exec, s[8:9]
	buffer_load_dword v41, off, s[0:3], 0 offset:152
	buffer_load_dword v42, off, s[0:3], 0 offset:156
	v_cmp_ne_u32_e32 vcc, 19, v0
	s_waitcnt vmcnt(0)
	ds_write_b64 v44, v[41:42]
	s_waitcnt lgkmcnt(0)
	; wave barrier
	s_and_saveexec_b64 s[8:9], vcc
	s_cbranch_execz .LBB83_368
; %bb.359:
	s_and_b64 vcc, exec, s[4:5]
	s_cbranch_vccnz .LBB83_361
; %bb.360:
	buffer_load_dword v41, v45, s[0:3], 0 offen
	buffer_load_dword v42, v45, s[0:3], 0 offen offset:4
	ds_read_b64 v[45:46], v44
	s_waitcnt vmcnt(0) lgkmcnt(0)
	v_mul_f64 v[41:42], v[41:42], v[45:46]
	s_cbranch_execz .LBB83_362
	s_branch .LBB83_363
.LBB83_361:
                                        ; implicit-def: $vgpr41_vgpr42
.LBB83_362:
	ds_read_b64 v[41:42], v44
.LBB83_363:
	s_and_saveexec_b64 s[4:5], s[6:7]
	s_cbranch_execz .LBB83_367
; %bb.364:
	s_mov_b32 s6, 0
	v_add_u32_e32 v44, 0xa8, v43
	v_add3_u32 v43, v43, s6, 8
	s_mov_b64 s[6:7], 0
.LBB83_365:                             ; =>This Inner Loop Header: Depth=1
	buffer_load_dword v45, v43, s[0:3], 0 offen
	buffer_load_dword v46, v43, s[0:3], 0 offen offset:4
	ds_read_b64 v[47:48], v44
	v_add_u32_e32 v0, 1, v0
	v_cmp_lt_u32_e32 vcc, 17, v0
	v_add_u32_e32 v44, 8, v44
	s_or_b64 s[6:7], vcc, s[6:7]
	v_add_u32_e32 v43, 8, v43
	s_waitcnt vmcnt(0) lgkmcnt(0)
	v_fma_f64 v[41:42], v[45:46], v[47:48], v[41:42]
	s_andn2_b64 exec, exec, s[6:7]
	s_cbranch_execnz .LBB83_365
; %bb.366:
	s_or_b64 exec, exec, s[6:7]
.LBB83_367:
	s_or_b64 exec, exec, s[4:5]
	v_mov_b32_e32 v0, 0
	ds_read_b64 v[43:44], v0 offset:152
	s_waitcnt lgkmcnt(0)
	v_mul_f64 v[41:42], v[41:42], v[43:44]
	buffer_store_dword v42, off, s[0:3], 0 offset:156
	buffer_store_dword v41, off, s[0:3], 0 offset:152
.LBB83_368:
	s_or_b64 exec, exec, s[8:9]
.LBB83_369:
	buffer_load_dword v41, off, s[0:3], 0
	buffer_load_dword v42, off, s[0:3], 0 offset:4
	s_waitcnt vmcnt(0)
	flat_store_dwordx2 v[1:2], v[41:42]
	buffer_load_dword v0, off, s[0:3], 0 offset:8
	s_nop 0
	buffer_load_dword v1, off, s[0:3], 0 offset:12
	s_waitcnt vmcnt(0)
	flat_store_dwordx2 v[3:4], v[0:1]
	buffer_load_dword v0, off, s[0:3], 0 offset:16
	s_nop 0
	;; [unrolled: 5-line block ×19, first 2 shown]
	buffer_load_dword v1, off, s[0:3], 0 offset:156
	s_waitcnt vmcnt(0)
	flat_store_dwordx2 v[39:40], v[0:1]
.LBB83_370:
	s_endpgm
	.section	.rodata,"a",@progbits
	.p2align	6, 0x0
	.amdhsa_kernel _ZN9rocsolver6v33100L18trti2_kernel_smallILi20EdPKPdEEv13rocblas_fill_17rocblas_diagonal_T1_iil
		.amdhsa_group_segment_fixed_size 320
		.amdhsa_private_segment_fixed_size 176
		.amdhsa_kernarg_size 32
		.amdhsa_user_sgpr_count 6
		.amdhsa_user_sgpr_private_segment_buffer 1
		.amdhsa_user_sgpr_dispatch_ptr 0
		.amdhsa_user_sgpr_queue_ptr 0
		.amdhsa_user_sgpr_kernarg_segment_ptr 1
		.amdhsa_user_sgpr_dispatch_id 0
		.amdhsa_user_sgpr_flat_scratch_init 0
		.amdhsa_user_sgpr_private_segment_size 0
		.amdhsa_uses_dynamic_stack 0
		.amdhsa_system_sgpr_private_segment_wavefront_offset 1
		.amdhsa_system_sgpr_workgroup_id_x 1
		.amdhsa_system_sgpr_workgroup_id_y 0
		.amdhsa_system_sgpr_workgroup_id_z 0
		.amdhsa_system_sgpr_workgroup_info 0
		.amdhsa_system_vgpr_workitem_id 0
		.amdhsa_next_free_vgpr 54
		.amdhsa_next_free_sgpr 32
		.amdhsa_reserve_vcc 1
		.amdhsa_reserve_flat_scratch 0
		.amdhsa_float_round_mode_32 0
		.amdhsa_float_round_mode_16_64 0
		.amdhsa_float_denorm_mode_32 3
		.amdhsa_float_denorm_mode_16_64 3
		.amdhsa_dx10_clamp 1
		.amdhsa_ieee_mode 1
		.amdhsa_fp16_overflow 0
		.amdhsa_exception_fp_ieee_invalid_op 0
		.amdhsa_exception_fp_denorm_src 0
		.amdhsa_exception_fp_ieee_div_zero 0
		.amdhsa_exception_fp_ieee_overflow 0
		.amdhsa_exception_fp_ieee_underflow 0
		.amdhsa_exception_fp_ieee_inexact 0
		.amdhsa_exception_int_div_zero 0
	.end_amdhsa_kernel
	.section	.text._ZN9rocsolver6v33100L18trti2_kernel_smallILi20EdPKPdEEv13rocblas_fill_17rocblas_diagonal_T1_iil,"axG",@progbits,_ZN9rocsolver6v33100L18trti2_kernel_smallILi20EdPKPdEEv13rocblas_fill_17rocblas_diagonal_T1_iil,comdat
.Lfunc_end83:
	.size	_ZN9rocsolver6v33100L18trti2_kernel_smallILi20EdPKPdEEv13rocblas_fill_17rocblas_diagonal_T1_iil, .Lfunc_end83-_ZN9rocsolver6v33100L18trti2_kernel_smallILi20EdPKPdEEv13rocblas_fill_17rocblas_diagonal_T1_iil
                                        ; -- End function
	.set _ZN9rocsolver6v33100L18trti2_kernel_smallILi20EdPKPdEEv13rocblas_fill_17rocblas_diagonal_T1_iil.num_vgpr, 54
	.set _ZN9rocsolver6v33100L18trti2_kernel_smallILi20EdPKPdEEv13rocblas_fill_17rocblas_diagonal_T1_iil.num_agpr, 0
	.set _ZN9rocsolver6v33100L18trti2_kernel_smallILi20EdPKPdEEv13rocblas_fill_17rocblas_diagonal_T1_iil.numbered_sgpr, 32
	.set _ZN9rocsolver6v33100L18trti2_kernel_smallILi20EdPKPdEEv13rocblas_fill_17rocblas_diagonal_T1_iil.num_named_barrier, 0
	.set _ZN9rocsolver6v33100L18trti2_kernel_smallILi20EdPKPdEEv13rocblas_fill_17rocblas_diagonal_T1_iil.private_seg_size, 176
	.set _ZN9rocsolver6v33100L18trti2_kernel_smallILi20EdPKPdEEv13rocblas_fill_17rocblas_diagonal_T1_iil.uses_vcc, 1
	.set _ZN9rocsolver6v33100L18trti2_kernel_smallILi20EdPKPdEEv13rocblas_fill_17rocblas_diagonal_T1_iil.uses_flat_scratch, 0
	.set _ZN9rocsolver6v33100L18trti2_kernel_smallILi20EdPKPdEEv13rocblas_fill_17rocblas_diagonal_T1_iil.has_dyn_sized_stack, 0
	.set _ZN9rocsolver6v33100L18trti2_kernel_smallILi20EdPKPdEEv13rocblas_fill_17rocblas_diagonal_T1_iil.has_recursion, 0
	.set _ZN9rocsolver6v33100L18trti2_kernel_smallILi20EdPKPdEEv13rocblas_fill_17rocblas_diagonal_T1_iil.has_indirect_call, 0
	.section	.AMDGPU.csdata,"",@progbits
; Kernel info:
; codeLenInByte = 11516
; TotalNumSgprs: 36
; NumVgprs: 54
; ScratchSize: 176
; MemoryBound: 0
; FloatMode: 240
; IeeeMode: 1
; LDSByteSize: 320 bytes/workgroup (compile time only)
; SGPRBlocks: 4
; VGPRBlocks: 13
; NumSGPRsForWavesPerEU: 36
; NumVGPRsForWavesPerEU: 54
; Occupancy: 4
; WaveLimiterHint : 1
; COMPUTE_PGM_RSRC2:SCRATCH_EN: 1
; COMPUTE_PGM_RSRC2:USER_SGPR: 6
; COMPUTE_PGM_RSRC2:TRAP_HANDLER: 0
; COMPUTE_PGM_RSRC2:TGID_X_EN: 1
; COMPUTE_PGM_RSRC2:TGID_Y_EN: 0
; COMPUTE_PGM_RSRC2:TGID_Z_EN: 0
; COMPUTE_PGM_RSRC2:TIDIG_COMP_CNT: 0
	.section	.text._ZN9rocsolver6v33100L18trti2_kernel_smallILi21EdPKPdEEv13rocblas_fill_17rocblas_diagonal_T1_iil,"axG",@progbits,_ZN9rocsolver6v33100L18trti2_kernel_smallILi21EdPKPdEEv13rocblas_fill_17rocblas_diagonal_T1_iil,comdat
	.globl	_ZN9rocsolver6v33100L18trti2_kernel_smallILi21EdPKPdEEv13rocblas_fill_17rocblas_diagonal_T1_iil ; -- Begin function _ZN9rocsolver6v33100L18trti2_kernel_smallILi21EdPKPdEEv13rocblas_fill_17rocblas_diagonal_T1_iil
	.p2align	8
	.type	_ZN9rocsolver6v33100L18trti2_kernel_smallILi21EdPKPdEEv13rocblas_fill_17rocblas_diagonal_T1_iil,@function
_ZN9rocsolver6v33100L18trti2_kernel_smallILi21EdPKPdEEv13rocblas_fill_17rocblas_diagonal_T1_iil: ; @_ZN9rocsolver6v33100L18trti2_kernel_smallILi21EdPKPdEEv13rocblas_fill_17rocblas_diagonal_T1_iil
; %bb.0:
	s_add_u32 s0, s0, s7
	s_addc_u32 s1, s1, 0
	v_cmp_gt_u32_e32 vcc, 21, v0
	s_and_saveexec_b64 s[8:9], vcc
	s_cbranch_execz .LBB84_390
; %bb.1:
	s_load_dwordx2 s[12:13], s[4:5], 0x10
	s_load_dwordx4 s[8:11], s[4:5], 0x0
	s_ashr_i32 s7, s6, 31
	s_lshl_b64 s[6:7], s[6:7], 3
	v_lshlrev_b32_e32 v45, 3, v0
	s_waitcnt lgkmcnt(0)
	s_ashr_i32 s5, s12, 31
	s_add_u32 s6, s10, s6
	s_addc_u32 s7, s11, s7
	s_load_dwordx2 s[6:7], s[6:7], 0x0
	s_mov_b32 s4, s12
	s_lshl_b64 s[4:5], s[4:5], 3
	s_waitcnt lgkmcnt(0)
	s_add_u32 s6, s6, s4
	s_addc_u32 s7, s7, s5
	v_mov_b32_e32 v2, s7
	v_add_co_u32_e32 v1, vcc, s6, v45
	v_addc_co_u32_e32 v2, vcc, 0, v2, vcc
	flat_load_dwordx2 v[5:6], v[1:2]
	s_mov_b32 s4, s13
	s_ashr_i32 s5, s13, 31
	s_lshl_b64 s[4:5], s[4:5], 3
	v_mov_b32_e32 v4, s5
	v_add_co_u32_e32 v3, vcc, s4, v1
	v_addc_co_u32_e32 v4, vcc, v2, v4, vcc
	s_add_i32 s4, s13, s13
	v_add_u32_e32 v9, s4, v0
	v_ashrrev_i32_e32 v10, 31, v9
	v_mov_b32_e32 v11, s7
	v_add_u32_e32 v12, s13, v9
	v_ashrrev_i32_e32 v13, 31, v12
	v_mov_b32_e32 v14, s7
	v_mov_b32_e32 v15, s7
	;; [unrolled: 1-line block ×17, first 2 shown]
	s_cmpk_lg_i32 s9, 0x84
	s_cselect_b64 s[10:11], -1, 0
	s_cmpk_eq_i32 s9, 0x84
	s_waitcnt vmcnt(0) lgkmcnt(0)
	buffer_store_dword v6, off, s[0:3], 0 offset:4
	buffer_store_dword v5, off, s[0:3], 0
	flat_load_dwordx2 v[7:8], v[3:4]
	v_lshlrev_b64 v[5:6], 3, v[9:10]
	s_waitcnt vmcnt(0) lgkmcnt(0)
	buffer_store_dword v8, off, s[0:3], 0 offset:12
	buffer_store_dword v7, off, s[0:3], 0 offset:8
	v_add_co_u32_e32 v5, vcc, s6, v5
	v_addc_co_u32_e32 v6, vcc, v11, v6, vcc
	flat_load_dwordx2 v[10:11], v[5:6]
	v_lshlrev_b64 v[7:8], 3, v[12:13]
	s_waitcnt vmcnt(0) lgkmcnt(0)
	buffer_store_dword v11, off, s[0:3], 0 offset:20
	buffer_store_dword v10, off, s[0:3], 0 offset:16
	v_add_co_u32_e32 v7, vcc, s6, v7
	v_addc_co_u32_e32 v8, vcc, v14, v8, vcc
	flat_load_dwordx2 v[13:14], v[7:8]
	v_add_u32_e32 v11, s13, v12
	v_ashrrev_i32_e32 v12, 31, v11
	v_lshlrev_b64 v[9:10], 3, v[11:12]
	s_waitcnt vmcnt(0) lgkmcnt(0)
	buffer_store_dword v14, off, s[0:3], 0 offset:28
	buffer_store_dword v13, off, s[0:3], 0 offset:24
	v_add_co_u32_e32 v9, vcc, s6, v9
	v_addc_co_u32_e32 v10, vcc, v15, v10, vcc
	flat_load_dwordx2 v[13:14], v[9:10]
	v_add_u32_e32 v15, s13, v11
	v_ashrrev_i32_e32 v16, 31, v15
	v_lshlrev_b64 v[11:12], 3, v[15:16]
	v_add_u32_e32 v18, s13, v15
	v_add_co_u32_e32 v11, vcc, s6, v11
	v_addc_co_u32_e32 v12, vcc, v17, v12, vcc
	v_ashrrev_i32_e32 v19, 31, v18
	s_waitcnt vmcnt(0) lgkmcnt(0)
	buffer_store_dword v14, off, s[0:3], 0 offset:36
	buffer_store_dword v13, off, s[0:3], 0 offset:32
	flat_load_dwordx2 v[16:17], v[11:12]
	v_lshlrev_b64 v[13:14], 3, v[18:19]
	s_waitcnt vmcnt(0) lgkmcnt(0)
	buffer_store_dword v17, off, s[0:3], 0 offset:44
	buffer_store_dword v16, off, s[0:3], 0 offset:40
	v_add_co_u32_e32 v13, vcc, s6, v13
	v_addc_co_u32_e32 v14, vcc, v20, v14, vcc
	flat_load_dwordx2 v[19:20], v[13:14]
	v_add_u32_e32 v17, s13, v18
	v_ashrrev_i32_e32 v18, 31, v17
	v_lshlrev_b64 v[15:16], 3, v[17:18]
	s_waitcnt vmcnt(0) lgkmcnt(0)
	buffer_store_dword v20, off, s[0:3], 0 offset:52
	buffer_store_dword v19, off, s[0:3], 0 offset:48
	v_add_co_u32_e32 v15, vcc, s6, v15
	v_addc_co_u32_e32 v16, vcc, v21, v16, vcc
	flat_load_dwordx2 v[19:20], v[15:16]
	v_add_u32_e32 v21, s13, v17
	v_ashrrev_i32_e32 v22, 31, v21
	v_lshlrev_b64 v[17:18], 3, v[21:22]
	v_add_u32_e32 v24, s13, v21
	v_add_co_u32_e32 v17, vcc, s6, v17
	v_addc_co_u32_e32 v18, vcc, v23, v18, vcc
	v_ashrrev_i32_e32 v25, 31, v24
	s_waitcnt vmcnt(0) lgkmcnt(0)
	buffer_store_dword v20, off, s[0:3], 0 offset:60
	buffer_store_dword v19, off, s[0:3], 0 offset:56
	;; [unrolled: 27-line block ×5, first 2 shown]
	flat_load_dwordx2 v[40:41], v[35:36]
	v_lshlrev_b64 v[37:38], 3, v[42:43]
	s_waitcnt vmcnt(0) lgkmcnt(0)
	buffer_store_dword v41, off, s[0:3], 0 offset:140
	buffer_store_dword v40, off, s[0:3], 0 offset:136
	v_add_co_u32_e32 v37, vcc, s6, v37
	v_addc_co_u32_e32 v38, vcc, v44, v38, vcc
	flat_load_dwordx2 v[43:44], v[37:38]
	v_add_u32_e32 v41, s13, v42
	v_ashrrev_i32_e32 v42, 31, v41
	v_lshlrev_b64 v[39:40], 3, v[41:42]
	v_add_u32_e32 v41, s13, v41
	v_add_co_u32_e32 v39, vcc, s6, v39
	v_addc_co_u32_e32 v40, vcc, v46, v40, vcc
	v_ashrrev_i32_e32 v42, 31, v41
	v_lshlrev_b64 v[41:42], 3, v[41:42]
	s_waitcnt vmcnt(0) lgkmcnt(0)
	buffer_store_dword v44, off, s[0:3], 0 offset:148
	buffer_store_dword v43, off, s[0:3], 0 offset:144
	flat_load_dwordx2 v[43:44], v[39:40]
	v_add_co_u32_e32 v41, vcc, s6, v41
	v_addc_co_u32_e32 v42, vcc, v46, v42, vcc
	s_waitcnt vmcnt(0) lgkmcnt(0)
	buffer_store_dword v44, off, s[0:3], 0 offset:156
	buffer_store_dword v43, off, s[0:3], 0 offset:152
	flat_load_dwordx2 v[46:47], v[41:42]
	v_mov_b32_e32 v43, 0
	v_mov_b32_e32 v44, 0xbff00000
	s_waitcnt vmcnt(0) lgkmcnt(0)
	buffer_store_dword v47, off, s[0:3], 0 offset:164
	buffer_store_dword v46, off, s[0:3], 0 offset:160
	s_cbranch_scc1 .LBB84_3
; %bb.2:
	v_mov_b32_e32 v43, 0
	v_lshl_add_u32 v54, v0, 3, v43
	buffer_load_dword v43, v54, s[0:3], 0 offen
	buffer_load_dword v44, v54, s[0:3], 0 offen offset:4
	s_waitcnt vmcnt(0)
	v_div_scale_f64 v[46:47], s[4:5], v[43:44], v[43:44], 1.0
	v_rcp_f64_e32 v[48:49], v[46:47]
	v_fma_f64 v[50:51], -v[46:47], v[48:49], 1.0
	v_fma_f64 v[48:49], v[48:49], v[50:51], v[48:49]
	v_div_scale_f64 v[50:51], vcc, 1.0, v[43:44], 1.0
	v_fma_f64 v[52:53], -v[46:47], v[48:49], 1.0
	v_fma_f64 v[48:49], v[48:49], v[52:53], v[48:49]
	v_mul_f64 v[52:53], v[50:51], v[48:49]
	v_fma_f64 v[46:47], -v[46:47], v[52:53], v[50:51]
	v_div_fmas_f64 v[46:47], v[46:47], v[48:49], v[52:53]
	v_div_fixup_f64 v[43:44], v[46:47], v[43:44], 1.0
	buffer_store_dword v43, v54, s[0:3], 0 offen
	buffer_store_dword v44, v54, s[0:3], 0 offen offset:4
	v_xor_b32_e32 v44, 0x80000000, v44
.LBB84_3:
	s_cmpk_eq_i32 s8, 0x79
	v_add_u32_e32 v46, 0xb0, v45
	v_mov_b32_e32 v47, v45
	s_mov_b64 s[4:5], -1
	ds_write_b64 v45, v[43:44]
	s_cbranch_scc1 .LBB84_197
; %bb.4:
	buffer_load_dword v43, off, s[0:3], 0 offset:152
	buffer_load_dword v44, off, s[0:3], 0 offset:156
	s_movk_i32 s12, 0x48
	s_movk_i32 s13, 0x50
	;; [unrolled: 1-line block ×10, first 2 shown]
	v_cmp_eq_u32_e64 s[4:5], 20, v0
	s_waitcnt vmcnt(0)
	ds_write_b64 v46, v[43:44]
	s_waitcnt lgkmcnt(0)
	; wave barrier
	s_and_saveexec_b64 s[6:7], s[4:5]
	s_cbranch_execz .LBB84_10
; %bb.5:
	s_and_b64 vcc, exec, s[10:11]
	s_cbranch_vccz .LBB84_7
; %bb.6:
	buffer_load_dword v43, v47, s[0:3], 0 offen
	buffer_load_dword v44, v47, s[0:3], 0 offen offset:4
	ds_read_b64 v[48:49], v46
	s_waitcnt vmcnt(0) lgkmcnt(0)
	v_mul_f64 v[43:44], v[43:44], v[48:49]
	s_cbranch_execz .LBB84_8
	s_branch .LBB84_9
.LBB84_7:
                                        ; implicit-def: $vgpr43_vgpr44
.LBB84_8:
	ds_read_b64 v[43:44], v46
.LBB84_9:
	v_mov_b32_e32 v48, 0
	ds_read_b64 v[48:49], v48 offset:152
	s_waitcnt lgkmcnt(0)
	v_mul_f64 v[43:44], v[43:44], v[48:49]
	buffer_store_dword v44, off, s[0:3], 0 offset:156
	buffer_store_dword v43, off, s[0:3], 0 offset:152
.LBB84_10:
	s_or_b64 exec, exec, s[6:7]
	buffer_load_dword v43, off, s[0:3], 0 offset:144
	buffer_load_dword v44, off, s[0:3], 0 offset:148
	s_or_b32 s14, 0, 8
	s_mov_b32 s15, 16
	s_mov_b32 s16, 24
	;; [unrolled: 1-line block ×9, first 2 shown]
	v_cmp_lt_u32_e64 s[6:7], 18, v0
	s_waitcnt vmcnt(0)
	ds_write_b64 v46, v[43:44]
	s_waitcnt lgkmcnt(0)
	; wave barrier
	s_and_saveexec_b64 s[8:9], s[6:7]
	s_cbranch_execz .LBB84_16
; %bb.11:
	s_andn2_b64 vcc, exec, s[10:11]
	s_cbranch_vccnz .LBB84_13
; %bb.12:
	buffer_load_dword v43, v47, s[0:3], 0 offen
	buffer_load_dword v44, v47, s[0:3], 0 offen offset:4
	ds_read_b64 v[48:49], v46
	s_waitcnt vmcnt(0) lgkmcnt(0)
	v_mul_f64 v[43:44], v[43:44], v[48:49]
	s_cbranch_execz .LBB84_14
	s_branch .LBB84_15
.LBB84_13:
                                        ; implicit-def: $vgpr43_vgpr44
.LBB84_14:
	ds_read_b64 v[43:44], v46
.LBB84_15:
	buffer_load_dword v52, off, s[0:3], 0 offset:152
	buffer_load_dword v53, off, s[0:3], 0 offset:156
	v_mov_b32_e32 v48, 0
	ds_read2_b64 v[48:51], v48 offset0:18 offset1:41
	s_waitcnt vmcnt(0) lgkmcnt(0)
	v_fma_f64 v[50:51], v[52:53], v[50:51], v[43:44]
	v_cndmask_b32_e64 v44, v44, v51, s[4:5]
	v_cndmask_b32_e64 v43, v43, v50, s[4:5]
	v_mul_f64 v[43:44], v[43:44], v[48:49]
	buffer_store_dword v44, off, s[0:3], 0 offset:148
	buffer_store_dword v43, off, s[0:3], 0 offset:144
.LBB84_16:
	s_or_b64 exec, exec, s[8:9]
	buffer_load_dword v43, off, s[0:3], 0 offset:136
	buffer_load_dword v44, off, s[0:3], 0 offset:140
	v_cmp_lt_u32_e64 s[4:5], 17, v0
	s_waitcnt vmcnt(0)
	ds_write_b64 v46, v[43:44]
	s_waitcnt lgkmcnt(0)
	; wave barrier
	s_and_saveexec_b64 s[8:9], s[4:5]
	s_cbranch_execz .LBB84_26
; %bb.17:
	s_andn2_b64 vcc, exec, s[10:11]
	s_cbranch_vccnz .LBB84_19
; %bb.18:
	buffer_load_dword v43, v47, s[0:3], 0 offen
	buffer_load_dword v44, v47, s[0:3], 0 offen offset:4
	ds_read_b64 v[48:49], v46
	s_waitcnt vmcnt(0) lgkmcnt(0)
	v_mul_f64 v[43:44], v[43:44], v[48:49]
	s_cbranch_execz .LBB84_20
	s_branch .LBB84_21
.LBB84_19:
                                        ; implicit-def: $vgpr43_vgpr44
.LBB84_20:
	ds_read_b64 v[43:44], v46
.LBB84_21:
	s_and_saveexec_b64 s[12:13], s[6:7]
	s_cbranch_execz .LBB84_25
; %bb.22:
	v_subrev_u32_e32 v48, 18, v0
	s_movk_i32 s33, 0x140
	s_mov_b64 s[6:7], 0
.LBB84_23:                              ; =>This Inner Loop Header: Depth=1
	v_mov_b32_e32 v51, s31
	buffer_load_dword v49, v51, s[0:3], 0 offen
	buffer_load_dword v50, v51, s[0:3], 0 offen offset:4
	v_mov_b32_e32 v51, s33
	ds_read_b64 v[51:52], v51
	v_add_u32_e32 v48, -1, v48
	s_add_i32 s33, s33, 8
	s_add_i32 s31, s31, 8
	v_cmp_eq_u32_e32 vcc, 0, v48
	s_or_b64 s[6:7], vcc, s[6:7]
	s_waitcnt vmcnt(0) lgkmcnt(0)
	v_fma_f64 v[43:44], v[49:50], v[51:52], v[43:44]
	s_andn2_b64 exec, exec, s[6:7]
	s_cbranch_execnz .LBB84_23
; %bb.24:
	s_or_b64 exec, exec, s[6:7]
.LBB84_25:
	s_or_b64 exec, exec, s[12:13]
	v_mov_b32_e32 v48, 0
	ds_read_b64 v[48:49], v48 offset:136
	s_waitcnt lgkmcnt(0)
	v_mul_f64 v[43:44], v[43:44], v[48:49]
	buffer_store_dword v44, off, s[0:3], 0 offset:140
	buffer_store_dword v43, off, s[0:3], 0 offset:136
.LBB84_26:
	s_or_b64 exec, exec, s[8:9]
	buffer_load_dword v43, off, s[0:3], 0 offset:128
	buffer_load_dword v44, off, s[0:3], 0 offset:132
	v_cmp_lt_u32_e64 s[6:7], 16, v0
	s_waitcnt vmcnt(0)
	ds_write_b64 v46, v[43:44]
	s_waitcnt lgkmcnt(0)
	; wave barrier
	s_and_saveexec_b64 s[8:9], s[6:7]
	s_cbranch_execz .LBB84_36
; %bb.27:
	s_andn2_b64 vcc, exec, s[10:11]
	s_cbranch_vccnz .LBB84_29
; %bb.28:
	buffer_load_dword v43, v47, s[0:3], 0 offen
	buffer_load_dword v44, v47, s[0:3], 0 offen offset:4
	ds_read_b64 v[48:49], v46
	s_waitcnt vmcnt(0) lgkmcnt(0)
	v_mul_f64 v[43:44], v[43:44], v[48:49]
	s_cbranch_execz .LBB84_30
	s_branch .LBB84_31
.LBB84_29:
                                        ; implicit-def: $vgpr43_vgpr44
.LBB84_30:
	ds_read_b64 v[43:44], v46
.LBB84_31:
	s_and_saveexec_b64 s[12:13], s[4:5]
	s_cbranch_execz .LBB84_35
; %bb.32:
	v_subrev_u32_e32 v48, 17, v0
	s_movk_i32 s31, 0x138
	s_mov_b64 s[4:5], 0
.LBB84_33:                              ; =>This Inner Loop Header: Depth=1
	v_mov_b32_e32 v51, s30
	buffer_load_dword v49, v51, s[0:3], 0 offen
	buffer_load_dword v50, v51, s[0:3], 0 offen offset:4
	v_mov_b32_e32 v51, s31
	ds_read_b64 v[51:52], v51
	v_add_u32_e32 v48, -1, v48
	s_add_i32 s31, s31, 8
	s_add_i32 s30, s30, 8
	v_cmp_eq_u32_e32 vcc, 0, v48
	s_or_b64 s[4:5], vcc, s[4:5]
	s_waitcnt vmcnt(0) lgkmcnt(0)
	v_fma_f64 v[43:44], v[49:50], v[51:52], v[43:44]
	s_andn2_b64 exec, exec, s[4:5]
	s_cbranch_execnz .LBB84_33
; %bb.34:
	s_or_b64 exec, exec, s[4:5]
.LBB84_35:
	s_or_b64 exec, exec, s[12:13]
	v_mov_b32_e32 v48, 0
	ds_read_b64 v[48:49], v48 offset:128
	s_waitcnt lgkmcnt(0)
	v_mul_f64 v[43:44], v[43:44], v[48:49]
	buffer_store_dword v44, off, s[0:3], 0 offset:132
	buffer_store_dword v43, off, s[0:3], 0 offset:128
.LBB84_36:
	s_or_b64 exec, exec, s[8:9]
	buffer_load_dword v43, off, s[0:3], 0 offset:120
	buffer_load_dword v44, off, s[0:3], 0 offset:124
	v_cmp_lt_u32_e64 s[4:5], 15, v0
	s_waitcnt vmcnt(0)
	ds_write_b64 v46, v[43:44]
	s_waitcnt lgkmcnt(0)
	; wave barrier
	s_and_saveexec_b64 s[8:9], s[4:5]
	s_cbranch_execz .LBB84_46
; %bb.37:
	s_andn2_b64 vcc, exec, s[10:11]
	s_cbranch_vccnz .LBB84_39
; %bb.38:
	buffer_load_dword v43, v47, s[0:3], 0 offen
	buffer_load_dword v44, v47, s[0:3], 0 offen offset:4
	ds_read_b64 v[48:49], v46
	s_waitcnt vmcnt(0) lgkmcnt(0)
	v_mul_f64 v[43:44], v[43:44], v[48:49]
	s_cbranch_execz .LBB84_40
	s_branch .LBB84_41
.LBB84_39:
                                        ; implicit-def: $vgpr43_vgpr44
.LBB84_40:
	ds_read_b64 v[43:44], v46
.LBB84_41:
	s_and_saveexec_b64 s[12:13], s[6:7]
	s_cbranch_execz .LBB84_45
; %bb.42:
	v_add_u32_e32 v48, -16, v0
	s_movk_i32 s30, 0x130
	s_mov_b64 s[6:7], 0
.LBB84_43:                              ; =>This Inner Loop Header: Depth=1
	v_mov_b32_e32 v51, s29
	buffer_load_dword v49, v51, s[0:3], 0 offen
	buffer_load_dword v50, v51, s[0:3], 0 offen offset:4
	v_mov_b32_e32 v51, s30
	ds_read_b64 v[51:52], v51
	v_add_u32_e32 v48, -1, v48
	s_add_i32 s30, s30, 8
	s_add_i32 s29, s29, 8
	v_cmp_eq_u32_e32 vcc, 0, v48
	s_or_b64 s[6:7], vcc, s[6:7]
	s_waitcnt vmcnt(0) lgkmcnt(0)
	v_fma_f64 v[43:44], v[49:50], v[51:52], v[43:44]
	s_andn2_b64 exec, exec, s[6:7]
	s_cbranch_execnz .LBB84_43
; %bb.44:
	s_or_b64 exec, exec, s[6:7]
.LBB84_45:
	s_or_b64 exec, exec, s[12:13]
	v_mov_b32_e32 v48, 0
	ds_read_b64 v[48:49], v48 offset:120
	s_waitcnt lgkmcnt(0)
	v_mul_f64 v[43:44], v[43:44], v[48:49]
	buffer_store_dword v44, off, s[0:3], 0 offset:124
	buffer_store_dword v43, off, s[0:3], 0 offset:120
.LBB84_46:
	s_or_b64 exec, exec, s[8:9]
	buffer_load_dword v43, off, s[0:3], 0 offset:112
	buffer_load_dword v44, off, s[0:3], 0 offset:116
	v_cmp_lt_u32_e64 s[6:7], 14, v0
	s_waitcnt vmcnt(0)
	ds_write_b64 v46, v[43:44]
	s_waitcnt lgkmcnt(0)
	; wave barrier
	s_and_saveexec_b64 s[8:9], s[6:7]
	s_cbranch_execz .LBB84_56
; %bb.47:
	s_andn2_b64 vcc, exec, s[10:11]
	s_cbranch_vccnz .LBB84_49
; %bb.48:
	buffer_load_dword v43, v47, s[0:3], 0 offen
	buffer_load_dword v44, v47, s[0:3], 0 offen offset:4
	ds_read_b64 v[48:49], v46
	s_waitcnt vmcnt(0) lgkmcnt(0)
	v_mul_f64 v[43:44], v[43:44], v[48:49]
	s_cbranch_execz .LBB84_50
	s_branch .LBB84_51
.LBB84_49:
                                        ; implicit-def: $vgpr43_vgpr44
.LBB84_50:
	ds_read_b64 v[43:44], v46
.LBB84_51:
	s_and_saveexec_b64 s[12:13], s[4:5]
	s_cbranch_execz .LBB84_55
; %bb.52:
	v_add_u32_e32 v48, -15, v0
	s_movk_i32 s29, 0x128
	s_mov_b64 s[4:5], 0
.LBB84_53:                              ; =>This Inner Loop Header: Depth=1
	v_mov_b32_e32 v51, s28
	buffer_load_dword v49, v51, s[0:3], 0 offen
	buffer_load_dword v50, v51, s[0:3], 0 offen offset:4
	v_mov_b32_e32 v51, s29
	ds_read_b64 v[51:52], v51
	v_add_u32_e32 v48, -1, v48
	s_add_i32 s29, s29, 8
	s_add_i32 s28, s28, 8
	v_cmp_eq_u32_e32 vcc, 0, v48
	s_or_b64 s[4:5], vcc, s[4:5]
	s_waitcnt vmcnt(0) lgkmcnt(0)
	v_fma_f64 v[43:44], v[49:50], v[51:52], v[43:44]
	s_andn2_b64 exec, exec, s[4:5]
	s_cbranch_execnz .LBB84_53
; %bb.54:
	s_or_b64 exec, exec, s[4:5]
.LBB84_55:
	s_or_b64 exec, exec, s[12:13]
	v_mov_b32_e32 v48, 0
	ds_read_b64 v[48:49], v48 offset:112
	s_waitcnt lgkmcnt(0)
	v_mul_f64 v[43:44], v[43:44], v[48:49]
	buffer_store_dword v44, off, s[0:3], 0 offset:116
	buffer_store_dword v43, off, s[0:3], 0 offset:112
.LBB84_56:
	s_or_b64 exec, exec, s[8:9]
	buffer_load_dword v43, off, s[0:3], 0 offset:104
	buffer_load_dword v44, off, s[0:3], 0 offset:108
	v_cmp_lt_u32_e64 s[4:5], 13, v0
	s_waitcnt vmcnt(0)
	ds_write_b64 v46, v[43:44]
	s_waitcnt lgkmcnt(0)
	; wave barrier
	s_and_saveexec_b64 s[8:9], s[4:5]
	s_cbranch_execz .LBB84_66
; %bb.57:
	s_andn2_b64 vcc, exec, s[10:11]
	s_cbranch_vccnz .LBB84_59
; %bb.58:
	buffer_load_dword v43, v47, s[0:3], 0 offen
	buffer_load_dword v44, v47, s[0:3], 0 offen offset:4
	ds_read_b64 v[48:49], v46
	s_waitcnt vmcnt(0) lgkmcnt(0)
	v_mul_f64 v[43:44], v[43:44], v[48:49]
	s_cbranch_execz .LBB84_60
	s_branch .LBB84_61
.LBB84_59:
                                        ; implicit-def: $vgpr43_vgpr44
.LBB84_60:
	ds_read_b64 v[43:44], v46
.LBB84_61:
	s_and_saveexec_b64 s[12:13], s[6:7]
	s_cbranch_execz .LBB84_65
; %bb.62:
	v_add_u32_e32 v48, -14, v0
	s_movk_i32 s28, 0x120
	s_mov_b64 s[6:7], 0
.LBB84_63:                              ; =>This Inner Loop Header: Depth=1
	v_mov_b32_e32 v51, s27
	buffer_load_dword v49, v51, s[0:3], 0 offen
	buffer_load_dword v50, v51, s[0:3], 0 offen offset:4
	v_mov_b32_e32 v51, s28
	ds_read_b64 v[51:52], v51
	v_add_u32_e32 v48, -1, v48
	s_add_i32 s28, s28, 8
	s_add_i32 s27, s27, 8
	v_cmp_eq_u32_e32 vcc, 0, v48
	s_or_b64 s[6:7], vcc, s[6:7]
	s_waitcnt vmcnt(0) lgkmcnt(0)
	v_fma_f64 v[43:44], v[49:50], v[51:52], v[43:44]
	s_andn2_b64 exec, exec, s[6:7]
	s_cbranch_execnz .LBB84_63
; %bb.64:
	s_or_b64 exec, exec, s[6:7]
.LBB84_65:
	s_or_b64 exec, exec, s[12:13]
	v_mov_b32_e32 v48, 0
	ds_read_b64 v[48:49], v48 offset:104
	s_waitcnt lgkmcnt(0)
	v_mul_f64 v[43:44], v[43:44], v[48:49]
	buffer_store_dword v44, off, s[0:3], 0 offset:108
	buffer_store_dword v43, off, s[0:3], 0 offset:104
.LBB84_66:
	s_or_b64 exec, exec, s[8:9]
	buffer_load_dword v43, off, s[0:3], 0 offset:96
	buffer_load_dword v44, off, s[0:3], 0 offset:100
	v_cmp_lt_u32_e64 s[6:7], 12, v0
	s_waitcnt vmcnt(0)
	ds_write_b64 v46, v[43:44]
	s_waitcnt lgkmcnt(0)
	; wave barrier
	s_and_saveexec_b64 s[8:9], s[6:7]
	s_cbranch_execz .LBB84_76
; %bb.67:
	s_andn2_b64 vcc, exec, s[10:11]
	s_cbranch_vccnz .LBB84_69
; %bb.68:
	buffer_load_dword v43, v47, s[0:3], 0 offen
	buffer_load_dword v44, v47, s[0:3], 0 offen offset:4
	ds_read_b64 v[48:49], v46
	s_waitcnt vmcnt(0) lgkmcnt(0)
	v_mul_f64 v[43:44], v[43:44], v[48:49]
	s_cbranch_execz .LBB84_70
	s_branch .LBB84_71
.LBB84_69:
                                        ; implicit-def: $vgpr43_vgpr44
.LBB84_70:
	ds_read_b64 v[43:44], v46
.LBB84_71:
	s_and_saveexec_b64 s[12:13], s[4:5]
	s_cbranch_execz .LBB84_75
; %bb.72:
	v_add_u32_e32 v48, -13, v0
	s_movk_i32 s27, 0x118
	s_mov_b64 s[4:5], 0
.LBB84_73:                              ; =>This Inner Loop Header: Depth=1
	v_mov_b32_e32 v51, s26
	buffer_load_dword v49, v51, s[0:3], 0 offen
	buffer_load_dword v50, v51, s[0:3], 0 offen offset:4
	v_mov_b32_e32 v51, s27
	ds_read_b64 v[51:52], v51
	v_add_u32_e32 v48, -1, v48
	s_add_i32 s27, s27, 8
	s_add_i32 s26, s26, 8
	v_cmp_eq_u32_e32 vcc, 0, v48
	s_or_b64 s[4:5], vcc, s[4:5]
	s_waitcnt vmcnt(0) lgkmcnt(0)
	v_fma_f64 v[43:44], v[49:50], v[51:52], v[43:44]
	s_andn2_b64 exec, exec, s[4:5]
	s_cbranch_execnz .LBB84_73
; %bb.74:
	s_or_b64 exec, exec, s[4:5]
.LBB84_75:
	s_or_b64 exec, exec, s[12:13]
	v_mov_b32_e32 v48, 0
	ds_read_b64 v[48:49], v48 offset:96
	s_waitcnt lgkmcnt(0)
	v_mul_f64 v[43:44], v[43:44], v[48:49]
	buffer_store_dword v44, off, s[0:3], 0 offset:100
	buffer_store_dword v43, off, s[0:3], 0 offset:96
.LBB84_76:
	s_or_b64 exec, exec, s[8:9]
	buffer_load_dword v43, off, s[0:3], 0 offset:88
	buffer_load_dword v44, off, s[0:3], 0 offset:92
	v_cmp_lt_u32_e64 s[4:5], 11, v0
	s_waitcnt vmcnt(0)
	ds_write_b64 v46, v[43:44]
	s_waitcnt lgkmcnt(0)
	; wave barrier
	s_and_saveexec_b64 s[8:9], s[4:5]
	s_cbranch_execz .LBB84_86
; %bb.77:
	s_andn2_b64 vcc, exec, s[10:11]
	s_cbranch_vccnz .LBB84_79
; %bb.78:
	buffer_load_dword v43, v47, s[0:3], 0 offen
	buffer_load_dword v44, v47, s[0:3], 0 offen offset:4
	ds_read_b64 v[48:49], v46
	s_waitcnt vmcnt(0) lgkmcnt(0)
	v_mul_f64 v[43:44], v[43:44], v[48:49]
	s_cbranch_execz .LBB84_80
	s_branch .LBB84_81
.LBB84_79:
                                        ; implicit-def: $vgpr43_vgpr44
.LBB84_80:
	ds_read_b64 v[43:44], v46
.LBB84_81:
	s_and_saveexec_b64 s[12:13], s[6:7]
	s_cbranch_execz .LBB84_85
; %bb.82:
	v_add_u32_e32 v48, -12, v0
	s_movk_i32 s26, 0x110
	s_mov_b64 s[6:7], 0
.LBB84_83:                              ; =>This Inner Loop Header: Depth=1
	v_mov_b32_e32 v51, s25
	buffer_load_dword v49, v51, s[0:3], 0 offen
	buffer_load_dword v50, v51, s[0:3], 0 offen offset:4
	v_mov_b32_e32 v51, s26
	ds_read_b64 v[51:52], v51
	v_add_u32_e32 v48, -1, v48
	s_add_i32 s26, s26, 8
	s_add_i32 s25, s25, 8
	v_cmp_eq_u32_e32 vcc, 0, v48
	s_or_b64 s[6:7], vcc, s[6:7]
	s_waitcnt vmcnt(0) lgkmcnt(0)
	v_fma_f64 v[43:44], v[49:50], v[51:52], v[43:44]
	s_andn2_b64 exec, exec, s[6:7]
	s_cbranch_execnz .LBB84_83
; %bb.84:
	s_or_b64 exec, exec, s[6:7]
.LBB84_85:
	s_or_b64 exec, exec, s[12:13]
	v_mov_b32_e32 v48, 0
	ds_read_b64 v[48:49], v48 offset:88
	s_waitcnt lgkmcnt(0)
	v_mul_f64 v[43:44], v[43:44], v[48:49]
	buffer_store_dword v44, off, s[0:3], 0 offset:92
	buffer_store_dword v43, off, s[0:3], 0 offset:88
.LBB84_86:
	s_or_b64 exec, exec, s[8:9]
	buffer_load_dword v43, off, s[0:3], 0 offset:80
	buffer_load_dword v44, off, s[0:3], 0 offset:84
	v_cmp_lt_u32_e64 s[6:7], 10, v0
	s_waitcnt vmcnt(0)
	ds_write_b64 v46, v[43:44]
	s_waitcnt lgkmcnt(0)
	; wave barrier
	s_and_saveexec_b64 s[8:9], s[6:7]
	s_cbranch_execz .LBB84_96
; %bb.87:
	s_andn2_b64 vcc, exec, s[10:11]
	s_cbranch_vccnz .LBB84_89
; %bb.88:
	buffer_load_dword v43, v47, s[0:3], 0 offen
	buffer_load_dword v44, v47, s[0:3], 0 offen offset:4
	ds_read_b64 v[48:49], v46
	s_waitcnt vmcnt(0) lgkmcnt(0)
	v_mul_f64 v[43:44], v[43:44], v[48:49]
	s_cbranch_execz .LBB84_90
	s_branch .LBB84_91
.LBB84_89:
                                        ; implicit-def: $vgpr43_vgpr44
.LBB84_90:
	ds_read_b64 v[43:44], v46
.LBB84_91:
	s_and_saveexec_b64 s[12:13], s[4:5]
	s_cbranch_execz .LBB84_95
; %bb.92:
	v_add_u32_e32 v48, -11, v0
	s_movk_i32 s25, 0x108
	s_mov_b64 s[4:5], 0
.LBB84_93:                              ; =>This Inner Loop Header: Depth=1
	v_mov_b32_e32 v51, s24
	buffer_load_dword v49, v51, s[0:3], 0 offen
	buffer_load_dword v50, v51, s[0:3], 0 offen offset:4
	v_mov_b32_e32 v51, s25
	ds_read_b64 v[51:52], v51
	v_add_u32_e32 v48, -1, v48
	s_add_i32 s25, s25, 8
	s_add_i32 s24, s24, 8
	v_cmp_eq_u32_e32 vcc, 0, v48
	s_or_b64 s[4:5], vcc, s[4:5]
	s_waitcnt vmcnt(0) lgkmcnt(0)
	v_fma_f64 v[43:44], v[49:50], v[51:52], v[43:44]
	s_andn2_b64 exec, exec, s[4:5]
	s_cbranch_execnz .LBB84_93
; %bb.94:
	s_or_b64 exec, exec, s[4:5]
.LBB84_95:
	s_or_b64 exec, exec, s[12:13]
	v_mov_b32_e32 v48, 0
	ds_read_b64 v[48:49], v48 offset:80
	s_waitcnt lgkmcnt(0)
	v_mul_f64 v[43:44], v[43:44], v[48:49]
	buffer_store_dword v44, off, s[0:3], 0 offset:84
	buffer_store_dword v43, off, s[0:3], 0 offset:80
.LBB84_96:
	s_or_b64 exec, exec, s[8:9]
	buffer_load_dword v43, off, s[0:3], 0 offset:72
	buffer_load_dword v44, off, s[0:3], 0 offset:76
	v_cmp_lt_u32_e64 s[4:5], 9, v0
	s_waitcnt vmcnt(0)
	ds_write_b64 v46, v[43:44]
	s_waitcnt lgkmcnt(0)
	; wave barrier
	s_and_saveexec_b64 s[8:9], s[4:5]
	s_cbranch_execz .LBB84_106
; %bb.97:
	s_andn2_b64 vcc, exec, s[10:11]
	s_cbranch_vccnz .LBB84_99
; %bb.98:
	buffer_load_dword v43, v47, s[0:3], 0 offen
	buffer_load_dword v44, v47, s[0:3], 0 offen offset:4
	ds_read_b64 v[48:49], v46
	s_waitcnt vmcnt(0) lgkmcnt(0)
	v_mul_f64 v[43:44], v[43:44], v[48:49]
	s_cbranch_execz .LBB84_100
	s_branch .LBB84_101
.LBB84_99:
                                        ; implicit-def: $vgpr43_vgpr44
.LBB84_100:
	ds_read_b64 v[43:44], v46
.LBB84_101:
	s_and_saveexec_b64 s[12:13], s[6:7]
	s_cbranch_execz .LBB84_105
; %bb.102:
	v_add_u32_e32 v48, -10, v0
	s_movk_i32 s24, 0x100
	s_mov_b64 s[6:7], 0
.LBB84_103:                             ; =>This Inner Loop Header: Depth=1
	v_mov_b32_e32 v51, s23
	buffer_load_dword v49, v51, s[0:3], 0 offen
	buffer_load_dword v50, v51, s[0:3], 0 offen offset:4
	v_mov_b32_e32 v51, s24
	ds_read_b64 v[51:52], v51
	v_add_u32_e32 v48, -1, v48
	s_add_i32 s24, s24, 8
	s_add_i32 s23, s23, 8
	v_cmp_eq_u32_e32 vcc, 0, v48
	s_or_b64 s[6:7], vcc, s[6:7]
	s_waitcnt vmcnt(0) lgkmcnt(0)
	v_fma_f64 v[43:44], v[49:50], v[51:52], v[43:44]
	s_andn2_b64 exec, exec, s[6:7]
	s_cbranch_execnz .LBB84_103
; %bb.104:
	s_or_b64 exec, exec, s[6:7]
.LBB84_105:
	s_or_b64 exec, exec, s[12:13]
	v_mov_b32_e32 v48, 0
	ds_read_b64 v[48:49], v48 offset:72
	s_waitcnt lgkmcnt(0)
	v_mul_f64 v[43:44], v[43:44], v[48:49]
	buffer_store_dword v44, off, s[0:3], 0 offset:76
	buffer_store_dword v43, off, s[0:3], 0 offset:72
.LBB84_106:
	s_or_b64 exec, exec, s[8:9]
	buffer_load_dword v43, off, s[0:3], 0 offset:64
	buffer_load_dword v44, off, s[0:3], 0 offset:68
	v_cmp_lt_u32_e64 s[6:7], 8, v0
	s_waitcnt vmcnt(0)
	ds_write_b64 v46, v[43:44]
	s_waitcnt lgkmcnt(0)
	; wave barrier
	s_and_saveexec_b64 s[8:9], s[6:7]
	s_cbranch_execz .LBB84_116
; %bb.107:
	s_andn2_b64 vcc, exec, s[10:11]
	s_cbranch_vccnz .LBB84_109
; %bb.108:
	buffer_load_dword v43, v47, s[0:3], 0 offen
	buffer_load_dword v44, v47, s[0:3], 0 offen offset:4
	ds_read_b64 v[48:49], v46
	s_waitcnt vmcnt(0) lgkmcnt(0)
	v_mul_f64 v[43:44], v[43:44], v[48:49]
	s_cbranch_execz .LBB84_110
	s_branch .LBB84_111
.LBB84_109:
                                        ; implicit-def: $vgpr43_vgpr44
.LBB84_110:
	ds_read_b64 v[43:44], v46
.LBB84_111:
	s_and_saveexec_b64 s[12:13], s[4:5]
	s_cbranch_execz .LBB84_115
; %bb.112:
	v_add_u32_e32 v48, -9, v0
	s_movk_i32 s23, 0xf8
	s_mov_b64 s[4:5], 0
.LBB84_113:                             ; =>This Inner Loop Header: Depth=1
	v_mov_b32_e32 v51, s22
	buffer_load_dword v49, v51, s[0:3], 0 offen
	buffer_load_dword v50, v51, s[0:3], 0 offen offset:4
	v_mov_b32_e32 v51, s23
	ds_read_b64 v[51:52], v51
	v_add_u32_e32 v48, -1, v48
	s_add_i32 s23, s23, 8
	s_add_i32 s22, s22, 8
	v_cmp_eq_u32_e32 vcc, 0, v48
	s_or_b64 s[4:5], vcc, s[4:5]
	s_waitcnt vmcnt(0) lgkmcnt(0)
	v_fma_f64 v[43:44], v[49:50], v[51:52], v[43:44]
	s_andn2_b64 exec, exec, s[4:5]
	s_cbranch_execnz .LBB84_113
; %bb.114:
	s_or_b64 exec, exec, s[4:5]
.LBB84_115:
	s_or_b64 exec, exec, s[12:13]
	v_mov_b32_e32 v48, 0
	ds_read_b64 v[48:49], v48 offset:64
	s_waitcnt lgkmcnt(0)
	v_mul_f64 v[43:44], v[43:44], v[48:49]
	buffer_store_dword v44, off, s[0:3], 0 offset:68
	buffer_store_dword v43, off, s[0:3], 0 offset:64
.LBB84_116:
	;; [unrolled: 58-line block ×9, first 2 shown]
	s_or_b64 exec, exec, s[8:9]
	buffer_load_dword v43, off, s[0:3], 0
	buffer_load_dword v44, off, s[0:3], 0 offset:4
	v_cmp_ne_u32_e32 vcc, 0, v0
	s_waitcnt vmcnt(0)
	ds_write_b64 v46, v[43:44]
	s_waitcnt lgkmcnt(0)
	; wave barrier
	s_and_saveexec_b64 s[6:7], vcc
	s_cbranch_execz .LBB84_196
; %bb.187:
	s_andn2_b64 vcc, exec, s[10:11]
	s_cbranch_vccnz .LBB84_189
; %bb.188:
	buffer_load_dword v43, v47, s[0:3], 0 offen
	buffer_load_dword v44, v47, s[0:3], 0 offen offset:4
	ds_read_b64 v[48:49], v46
	s_waitcnt vmcnt(0) lgkmcnt(0)
	v_mul_f64 v[43:44], v[43:44], v[48:49]
	s_cbranch_execz .LBB84_190
	s_branch .LBB84_191
.LBB84_189:
                                        ; implicit-def: $vgpr43_vgpr44
.LBB84_190:
	ds_read_b64 v[43:44], v46
.LBB84_191:
	s_and_saveexec_b64 s[8:9], s[4:5]
	s_cbranch_execz .LBB84_195
; %bb.192:
	v_add_u32_e32 v48, -1, v0
	s_movk_i32 s12, 0xb8
	s_mov_b64 s[4:5], 0
.LBB84_193:                             ; =>This Inner Loop Header: Depth=1
	v_mov_b32_e32 v51, s14
	buffer_load_dword v49, v51, s[0:3], 0 offen
	buffer_load_dword v50, v51, s[0:3], 0 offen offset:4
	v_mov_b32_e32 v51, s12
	ds_read_b64 v[51:52], v51
	v_add_u32_e32 v48, -1, v48
	s_add_i32 s12, s12, 8
	s_add_i32 s14, s14, 8
	v_cmp_eq_u32_e32 vcc, 0, v48
	s_or_b64 s[4:5], vcc, s[4:5]
	s_waitcnt vmcnt(0) lgkmcnt(0)
	v_fma_f64 v[43:44], v[49:50], v[51:52], v[43:44]
	s_andn2_b64 exec, exec, s[4:5]
	s_cbranch_execnz .LBB84_193
; %bb.194:
	s_or_b64 exec, exec, s[4:5]
.LBB84_195:
	s_or_b64 exec, exec, s[8:9]
	v_mov_b32_e32 v48, 0
	ds_read_b64 v[48:49], v48
	s_waitcnt lgkmcnt(0)
	v_mul_f64 v[43:44], v[43:44], v[48:49]
	buffer_store_dword v44, off, s[0:3], 0 offset:4
	buffer_store_dword v43, off, s[0:3], 0
.LBB84_196:
	s_or_b64 exec, exec, s[6:7]
	s_mov_b64 s[4:5], 0
.LBB84_197:
	s_and_b64 vcc, exec, s[4:5]
	s_cbranch_vccz .LBB84_389
; %bb.198:
	buffer_load_dword v43, off, s[0:3], 0 offset:8
	buffer_load_dword v44, off, s[0:3], 0 offset:12
	v_cmp_eq_u32_e64 s[6:7], 0, v0
	s_waitcnt vmcnt(0)
	ds_write_b64 v46, v[43:44]
	s_waitcnt lgkmcnt(0)
	; wave barrier
	s_and_saveexec_b64 s[4:5], s[6:7]
	s_cbranch_execz .LBB84_204
; %bb.199:
	s_and_b64 vcc, exec, s[10:11]
	s_cbranch_vccz .LBB84_201
; %bb.200:
	buffer_load_dword v43, v47, s[0:3], 0 offen
	buffer_load_dword v44, v47, s[0:3], 0 offen offset:4
	ds_read_b64 v[48:49], v46
	s_waitcnt vmcnt(0) lgkmcnt(0)
	v_mul_f64 v[43:44], v[43:44], v[48:49]
	s_cbranch_execz .LBB84_202
	s_branch .LBB84_203
.LBB84_201:
                                        ; implicit-def: $vgpr43_vgpr44
.LBB84_202:
	ds_read_b64 v[43:44], v46
.LBB84_203:
	v_mov_b32_e32 v48, 0
	ds_read_b64 v[48:49], v48 offset:8
	s_waitcnt lgkmcnt(0)
	v_mul_f64 v[43:44], v[43:44], v[48:49]
	buffer_store_dword v44, off, s[0:3], 0 offset:12
	buffer_store_dword v43, off, s[0:3], 0 offset:8
.LBB84_204:
	s_or_b64 exec, exec, s[4:5]
	buffer_load_dword v43, off, s[0:3], 0 offset:16
	buffer_load_dword v44, off, s[0:3], 0 offset:20
	v_cndmask_b32_e64 v48, 0, 1, s[10:11]
	v_cmp_gt_u32_e32 vcc, 2, v0
	v_cmp_ne_u32_e64 s[4:5], 1, v48
	s_waitcnt vmcnt(0)
	ds_write_b64 v46, v[43:44]
	s_waitcnt lgkmcnt(0)
	; wave barrier
	s_and_saveexec_b64 s[8:9], vcc
	s_cbranch_execz .LBB84_210
; %bb.205:
	s_and_b64 vcc, exec, s[4:5]
	s_cbranch_vccnz .LBB84_207
; %bb.206:
	buffer_load_dword v43, v47, s[0:3], 0 offen
	buffer_load_dword v44, v47, s[0:3], 0 offen offset:4
	ds_read_b64 v[48:49], v46
	s_waitcnt vmcnt(0) lgkmcnt(0)
	v_mul_f64 v[43:44], v[43:44], v[48:49]
	s_cbranch_execz .LBB84_208
	s_branch .LBB84_209
.LBB84_207:
                                        ; implicit-def: $vgpr43_vgpr44
.LBB84_208:
	ds_read_b64 v[43:44], v46
.LBB84_209:
	buffer_load_dword v52, off, s[0:3], 0 offset:8
	buffer_load_dword v53, off, s[0:3], 0 offset:12
	v_mov_b32_e32 v48, 0
	ds_read2_b64 v[48:51], v48 offset0:2 offset1:23
	s_waitcnt vmcnt(0) lgkmcnt(0)
	v_fma_f64 v[50:51], v[52:53], v[50:51], v[43:44]
	v_cndmask_b32_e64 v44, v44, v51, s[6:7]
	v_cndmask_b32_e64 v43, v43, v50, s[6:7]
	v_mul_f64 v[43:44], v[43:44], v[48:49]
	buffer_store_dword v44, off, s[0:3], 0 offset:20
	buffer_store_dword v43, off, s[0:3], 0 offset:16
.LBB84_210:
	s_or_b64 exec, exec, s[8:9]
	buffer_load_dword v43, off, s[0:3], 0 offset:24
	buffer_load_dword v44, off, s[0:3], 0 offset:28
	v_cmp_gt_u32_e32 vcc, 3, v0
	s_waitcnt vmcnt(0)
	ds_write_b64 v46, v[43:44]
	s_waitcnt lgkmcnt(0)
	; wave barrier
	s_and_saveexec_b64 s[8:9], vcc
	s_cbranch_execz .LBB84_218
; %bb.211:
	s_and_b64 vcc, exec, s[4:5]
	s_cbranch_vccnz .LBB84_213
; %bb.212:
	buffer_load_dword v43, v47, s[0:3], 0 offen
	buffer_load_dword v44, v47, s[0:3], 0 offen offset:4
	ds_read_b64 v[48:49], v46
	s_waitcnt vmcnt(0) lgkmcnt(0)
	v_mul_f64 v[43:44], v[43:44], v[48:49]
	s_cbranch_execz .LBB84_214
	s_branch .LBB84_215
.LBB84_213:
                                        ; implicit-def: $vgpr43_vgpr44
.LBB84_214:
	ds_read_b64 v[43:44], v46
.LBB84_215:
	v_cmp_ne_u32_e32 vcc, 2, v0
	s_and_saveexec_b64 s[10:11], vcc
	s_cbranch_execz .LBB84_217
; %bb.216:
	buffer_load_dword v48, v47, s[0:3], 0 offen offset:8
	buffer_load_dword v49, v47, s[0:3], 0 offen offset:12
	buffer_load_dword v50, off, s[0:3], 0 offset:16
	buffer_load_dword v51, off, s[0:3], 0 offset:20
	ds_read_b64 v[52:53], v46 offset:8
	v_mov_b32_e32 v54, 0
	ds_read_b64 v[54:55], v54 offset:192
	s_waitcnt vmcnt(2) lgkmcnt(1)
	v_fma_f64 v[43:44], v[48:49], v[52:53], v[43:44]
	s_waitcnt vmcnt(0) lgkmcnt(0)
	v_fma_f64 v[48:49], v[50:51], v[54:55], v[43:44]
	v_cndmask_b32_e64 v44, v44, v49, s[6:7]
	v_cndmask_b32_e64 v43, v43, v48, s[6:7]
.LBB84_217:
	s_or_b64 exec, exec, s[10:11]
	v_mov_b32_e32 v48, 0
	ds_read_b64 v[48:49], v48 offset:24
	s_waitcnt lgkmcnt(0)
	v_mul_f64 v[43:44], v[43:44], v[48:49]
	buffer_store_dword v44, off, s[0:3], 0 offset:28
	buffer_store_dword v43, off, s[0:3], 0 offset:24
.LBB84_218:
	s_or_b64 exec, exec, s[8:9]
	buffer_load_dword v43, off, s[0:3], 0 offset:32
	buffer_load_dword v44, off, s[0:3], 0 offset:36
	v_cmp_gt_u32_e32 vcc, 4, v0
	s_waitcnt vmcnt(0)
	ds_write_b64 v46, v[43:44]
	s_waitcnt lgkmcnt(0)
	; wave barrier
	s_and_saveexec_b64 s[6:7], vcc
	s_cbranch_execz .LBB84_228
; %bb.219:
	s_and_b64 vcc, exec, s[4:5]
	s_cbranch_vccnz .LBB84_221
; %bb.220:
	buffer_load_dword v43, v47, s[0:3], 0 offen
	buffer_load_dword v44, v47, s[0:3], 0 offen offset:4
	ds_read_b64 v[48:49], v46
	s_waitcnt vmcnt(0) lgkmcnt(0)
	v_mul_f64 v[43:44], v[43:44], v[48:49]
	s_cbranch_execz .LBB84_222
	s_branch .LBB84_223
.LBB84_221:
                                        ; implicit-def: $vgpr43_vgpr44
.LBB84_222:
	ds_read_b64 v[43:44], v46
.LBB84_223:
	v_cmp_ne_u32_e32 vcc, 3, v0
	s_and_saveexec_b64 s[8:9], vcc
	s_cbranch_execz .LBB84_227
; %bb.224:
	s_mov_b32 s10, 0
	v_add_u32_e32 v48, 0xb8, v45
	v_add3_u32 v49, v45, s10, 8
	s_mov_b64 s[10:11], 0
	v_mov_b32_e32 v50, v0
.LBB84_225:                             ; =>This Inner Loop Header: Depth=1
	buffer_load_dword v51, v49, s[0:3], 0 offen
	buffer_load_dword v52, v49, s[0:3], 0 offen offset:4
	ds_read_b64 v[53:54], v48
	v_add_u32_e32 v50, 1, v50
	v_cmp_lt_u32_e32 vcc, 2, v50
	v_add_u32_e32 v48, 8, v48
	s_or_b64 s[10:11], vcc, s[10:11]
	v_add_u32_e32 v49, 8, v49
	s_waitcnt vmcnt(0) lgkmcnt(0)
	v_fma_f64 v[43:44], v[51:52], v[53:54], v[43:44]
	s_andn2_b64 exec, exec, s[10:11]
	s_cbranch_execnz .LBB84_225
; %bb.226:
	s_or_b64 exec, exec, s[10:11]
.LBB84_227:
	s_or_b64 exec, exec, s[8:9]
	v_mov_b32_e32 v48, 0
	ds_read_b64 v[48:49], v48 offset:32
	s_waitcnt lgkmcnt(0)
	v_mul_f64 v[43:44], v[43:44], v[48:49]
	buffer_store_dword v44, off, s[0:3], 0 offset:36
	buffer_store_dword v43, off, s[0:3], 0 offset:32
.LBB84_228:
	s_or_b64 exec, exec, s[6:7]
	buffer_load_dword v43, off, s[0:3], 0 offset:40
	buffer_load_dword v44, off, s[0:3], 0 offset:44
	v_cmp_gt_u32_e32 vcc, 5, v0
	s_waitcnt vmcnt(0)
	ds_write_b64 v46, v[43:44]
	s_waitcnt lgkmcnt(0)
	; wave barrier
	s_and_saveexec_b64 s[6:7], vcc
	s_cbranch_execz .LBB84_238
; %bb.229:
	s_and_b64 vcc, exec, s[4:5]
	s_cbranch_vccnz .LBB84_231
; %bb.230:
	buffer_load_dword v43, v47, s[0:3], 0 offen
	buffer_load_dword v44, v47, s[0:3], 0 offen offset:4
	ds_read_b64 v[48:49], v46
	s_waitcnt vmcnt(0) lgkmcnt(0)
	v_mul_f64 v[43:44], v[43:44], v[48:49]
	s_cbranch_execz .LBB84_232
	s_branch .LBB84_233
.LBB84_231:
                                        ; implicit-def: $vgpr43_vgpr44
.LBB84_232:
	ds_read_b64 v[43:44], v46
.LBB84_233:
	v_cmp_ne_u32_e32 vcc, 4, v0
	s_and_saveexec_b64 s[8:9], vcc
	s_cbranch_execz .LBB84_237
; %bb.234:
	s_mov_b32 s10, 0
	v_add_u32_e32 v48, 0xb8, v45
	v_add3_u32 v49, v45, s10, 8
	s_mov_b64 s[10:11], 0
	v_mov_b32_e32 v50, v0
.LBB84_235:                             ; =>This Inner Loop Header: Depth=1
	buffer_load_dword v51, v49, s[0:3], 0 offen
	buffer_load_dword v52, v49, s[0:3], 0 offen offset:4
	ds_read_b64 v[53:54], v48
	v_add_u32_e32 v50, 1, v50
	v_cmp_lt_u32_e32 vcc, 3, v50
	v_add_u32_e32 v48, 8, v48
	s_or_b64 s[10:11], vcc, s[10:11]
	v_add_u32_e32 v49, 8, v49
	s_waitcnt vmcnt(0) lgkmcnt(0)
	v_fma_f64 v[43:44], v[51:52], v[53:54], v[43:44]
	s_andn2_b64 exec, exec, s[10:11]
	s_cbranch_execnz .LBB84_235
; %bb.236:
	s_or_b64 exec, exec, s[10:11]
.LBB84_237:
	s_or_b64 exec, exec, s[8:9]
	v_mov_b32_e32 v48, 0
	ds_read_b64 v[48:49], v48 offset:40
	s_waitcnt lgkmcnt(0)
	v_mul_f64 v[43:44], v[43:44], v[48:49]
	buffer_store_dword v44, off, s[0:3], 0 offset:44
	buffer_store_dword v43, off, s[0:3], 0 offset:40
.LBB84_238:
	;; [unrolled: 59-line block ×15, first 2 shown]
	s_or_b64 exec, exec, s[6:7]
	buffer_load_dword v43, off, s[0:3], 0 offset:152
	buffer_load_dword v44, off, s[0:3], 0 offset:156
	v_cmp_gt_u32_e64 s[6:7], 19, v0
	s_waitcnt vmcnt(0)
	ds_write_b64 v46, v[43:44]
	s_waitcnt lgkmcnt(0)
	; wave barrier
	s_and_saveexec_b64 s[8:9], s[6:7]
	s_cbranch_execz .LBB84_378
; %bb.369:
	s_and_b64 vcc, exec, s[4:5]
	s_cbranch_vccnz .LBB84_371
; %bb.370:
	buffer_load_dword v43, v47, s[0:3], 0 offen
	buffer_load_dword v44, v47, s[0:3], 0 offen offset:4
	ds_read_b64 v[48:49], v46
	s_waitcnt vmcnt(0) lgkmcnt(0)
	v_mul_f64 v[43:44], v[43:44], v[48:49]
	s_cbranch_execz .LBB84_372
	s_branch .LBB84_373
.LBB84_371:
                                        ; implicit-def: $vgpr43_vgpr44
.LBB84_372:
	ds_read_b64 v[43:44], v46
.LBB84_373:
	v_cmp_ne_u32_e32 vcc, 18, v0
	s_and_saveexec_b64 s[10:11], vcc
	s_cbranch_execz .LBB84_377
; %bb.374:
	s_mov_b32 s12, 0
	v_add_u32_e32 v48, 0xb8, v45
	v_add3_u32 v49, v45, s12, 8
	s_mov_b64 s[12:13], 0
	v_mov_b32_e32 v50, v0
.LBB84_375:                             ; =>This Inner Loop Header: Depth=1
	buffer_load_dword v51, v49, s[0:3], 0 offen
	buffer_load_dword v52, v49, s[0:3], 0 offen offset:4
	ds_read_b64 v[53:54], v48
	v_add_u32_e32 v50, 1, v50
	v_cmp_lt_u32_e32 vcc, 17, v50
	v_add_u32_e32 v48, 8, v48
	s_or_b64 s[12:13], vcc, s[12:13]
	v_add_u32_e32 v49, 8, v49
	s_waitcnt vmcnt(0) lgkmcnt(0)
	v_fma_f64 v[43:44], v[51:52], v[53:54], v[43:44]
	s_andn2_b64 exec, exec, s[12:13]
	s_cbranch_execnz .LBB84_375
; %bb.376:
	s_or_b64 exec, exec, s[12:13]
.LBB84_377:
	s_or_b64 exec, exec, s[10:11]
	v_mov_b32_e32 v48, 0
	ds_read_b64 v[48:49], v48 offset:152
	s_waitcnt lgkmcnt(0)
	v_mul_f64 v[43:44], v[43:44], v[48:49]
	buffer_store_dword v44, off, s[0:3], 0 offset:156
	buffer_store_dword v43, off, s[0:3], 0 offset:152
.LBB84_378:
	s_or_b64 exec, exec, s[8:9]
	buffer_load_dword v43, off, s[0:3], 0 offset:160
	buffer_load_dword v44, off, s[0:3], 0 offset:164
	v_cmp_ne_u32_e32 vcc, 20, v0
	s_waitcnt vmcnt(0)
	ds_write_b64 v46, v[43:44]
	s_waitcnt lgkmcnt(0)
	; wave barrier
	s_and_saveexec_b64 s[8:9], vcc
	s_cbranch_execz .LBB84_388
; %bb.379:
	s_and_b64 vcc, exec, s[4:5]
	s_cbranch_vccnz .LBB84_381
; %bb.380:
	buffer_load_dword v43, v47, s[0:3], 0 offen
	buffer_load_dword v44, v47, s[0:3], 0 offen offset:4
	ds_read_b64 v[47:48], v46
	s_waitcnt vmcnt(0) lgkmcnt(0)
	v_mul_f64 v[43:44], v[43:44], v[47:48]
	s_cbranch_execz .LBB84_382
	s_branch .LBB84_383
.LBB84_381:
                                        ; implicit-def: $vgpr43_vgpr44
.LBB84_382:
	ds_read_b64 v[43:44], v46
.LBB84_383:
	s_and_saveexec_b64 s[4:5], s[6:7]
	s_cbranch_execz .LBB84_387
; %bb.384:
	s_mov_b32 s6, 0
	v_add_u32_e32 v46, 0xb8, v45
	v_add3_u32 v45, v45, s6, 8
	s_mov_b64 s[6:7], 0
.LBB84_385:                             ; =>This Inner Loop Header: Depth=1
	buffer_load_dword v47, v45, s[0:3], 0 offen
	buffer_load_dword v48, v45, s[0:3], 0 offen offset:4
	ds_read_b64 v[49:50], v46
	v_add_u32_e32 v0, 1, v0
	v_cmp_lt_u32_e32 vcc, 18, v0
	v_add_u32_e32 v46, 8, v46
	s_or_b64 s[6:7], vcc, s[6:7]
	v_add_u32_e32 v45, 8, v45
	s_waitcnt vmcnt(0) lgkmcnt(0)
	v_fma_f64 v[43:44], v[47:48], v[49:50], v[43:44]
	s_andn2_b64 exec, exec, s[6:7]
	s_cbranch_execnz .LBB84_385
; %bb.386:
	s_or_b64 exec, exec, s[6:7]
.LBB84_387:
	s_or_b64 exec, exec, s[4:5]
	v_mov_b32_e32 v0, 0
	ds_read_b64 v[45:46], v0 offset:160
	s_waitcnt lgkmcnt(0)
	v_mul_f64 v[43:44], v[43:44], v[45:46]
	buffer_store_dword v44, off, s[0:3], 0 offset:164
	buffer_store_dword v43, off, s[0:3], 0 offset:160
.LBB84_388:
	s_or_b64 exec, exec, s[8:9]
.LBB84_389:
	buffer_load_dword v43, off, s[0:3], 0
	buffer_load_dword v44, off, s[0:3], 0 offset:4
	s_waitcnt vmcnt(0)
	flat_store_dwordx2 v[1:2], v[43:44]
	buffer_load_dword v0, off, s[0:3], 0 offset:8
	s_nop 0
	buffer_load_dword v1, off, s[0:3], 0 offset:12
	s_waitcnt vmcnt(0)
	flat_store_dwordx2 v[3:4], v[0:1]
	buffer_load_dword v0, off, s[0:3], 0 offset:16
	s_nop 0
	;; [unrolled: 5-line block ×20, first 2 shown]
	buffer_load_dword v1, off, s[0:3], 0 offset:164
	s_waitcnt vmcnt(0)
	flat_store_dwordx2 v[41:42], v[0:1]
.LBB84_390:
	s_endpgm
	.section	.rodata,"a",@progbits
	.p2align	6, 0x0
	.amdhsa_kernel _ZN9rocsolver6v33100L18trti2_kernel_smallILi21EdPKPdEEv13rocblas_fill_17rocblas_diagonal_T1_iil
		.amdhsa_group_segment_fixed_size 344
		.amdhsa_private_segment_fixed_size 176
		.amdhsa_kernarg_size 32
		.amdhsa_user_sgpr_count 6
		.amdhsa_user_sgpr_private_segment_buffer 1
		.amdhsa_user_sgpr_dispatch_ptr 0
		.amdhsa_user_sgpr_queue_ptr 0
		.amdhsa_user_sgpr_kernarg_segment_ptr 1
		.amdhsa_user_sgpr_dispatch_id 0
		.amdhsa_user_sgpr_flat_scratch_init 0
		.amdhsa_user_sgpr_private_segment_size 0
		.amdhsa_uses_dynamic_stack 0
		.amdhsa_system_sgpr_private_segment_wavefront_offset 1
		.amdhsa_system_sgpr_workgroup_id_x 1
		.amdhsa_system_sgpr_workgroup_id_y 0
		.amdhsa_system_sgpr_workgroup_id_z 0
		.amdhsa_system_sgpr_workgroup_info 0
		.amdhsa_system_vgpr_workitem_id 0
		.amdhsa_next_free_vgpr 56
		.amdhsa_next_free_sgpr 34
		.amdhsa_reserve_vcc 1
		.amdhsa_reserve_flat_scratch 0
		.amdhsa_float_round_mode_32 0
		.amdhsa_float_round_mode_16_64 0
		.amdhsa_float_denorm_mode_32 3
		.amdhsa_float_denorm_mode_16_64 3
		.amdhsa_dx10_clamp 1
		.amdhsa_ieee_mode 1
		.amdhsa_fp16_overflow 0
		.amdhsa_exception_fp_ieee_invalid_op 0
		.amdhsa_exception_fp_denorm_src 0
		.amdhsa_exception_fp_ieee_div_zero 0
		.amdhsa_exception_fp_ieee_overflow 0
		.amdhsa_exception_fp_ieee_underflow 0
		.amdhsa_exception_fp_ieee_inexact 0
		.amdhsa_exception_int_div_zero 0
	.end_amdhsa_kernel
	.section	.text._ZN9rocsolver6v33100L18trti2_kernel_smallILi21EdPKPdEEv13rocblas_fill_17rocblas_diagonal_T1_iil,"axG",@progbits,_ZN9rocsolver6v33100L18trti2_kernel_smallILi21EdPKPdEEv13rocblas_fill_17rocblas_diagonal_T1_iil,comdat
.Lfunc_end84:
	.size	_ZN9rocsolver6v33100L18trti2_kernel_smallILi21EdPKPdEEv13rocblas_fill_17rocblas_diagonal_T1_iil, .Lfunc_end84-_ZN9rocsolver6v33100L18trti2_kernel_smallILi21EdPKPdEEv13rocblas_fill_17rocblas_diagonal_T1_iil
                                        ; -- End function
	.set _ZN9rocsolver6v33100L18trti2_kernel_smallILi21EdPKPdEEv13rocblas_fill_17rocblas_diagonal_T1_iil.num_vgpr, 56
	.set _ZN9rocsolver6v33100L18trti2_kernel_smallILi21EdPKPdEEv13rocblas_fill_17rocblas_diagonal_T1_iil.num_agpr, 0
	.set _ZN9rocsolver6v33100L18trti2_kernel_smallILi21EdPKPdEEv13rocblas_fill_17rocblas_diagonal_T1_iil.numbered_sgpr, 34
	.set _ZN9rocsolver6v33100L18trti2_kernel_smallILi21EdPKPdEEv13rocblas_fill_17rocblas_diagonal_T1_iil.num_named_barrier, 0
	.set _ZN9rocsolver6v33100L18trti2_kernel_smallILi21EdPKPdEEv13rocblas_fill_17rocblas_diagonal_T1_iil.private_seg_size, 176
	.set _ZN9rocsolver6v33100L18trti2_kernel_smallILi21EdPKPdEEv13rocblas_fill_17rocblas_diagonal_T1_iil.uses_vcc, 1
	.set _ZN9rocsolver6v33100L18trti2_kernel_smallILi21EdPKPdEEv13rocblas_fill_17rocblas_diagonal_T1_iil.uses_flat_scratch, 0
	.set _ZN9rocsolver6v33100L18trti2_kernel_smallILi21EdPKPdEEv13rocblas_fill_17rocblas_diagonal_T1_iil.has_dyn_sized_stack, 0
	.set _ZN9rocsolver6v33100L18trti2_kernel_smallILi21EdPKPdEEv13rocblas_fill_17rocblas_diagonal_T1_iil.has_recursion, 0
	.set _ZN9rocsolver6v33100L18trti2_kernel_smallILi21EdPKPdEEv13rocblas_fill_17rocblas_diagonal_T1_iil.has_indirect_call, 0
	.section	.AMDGPU.csdata,"",@progbits
; Kernel info:
; codeLenInByte = 12116
; TotalNumSgprs: 38
; NumVgprs: 56
; ScratchSize: 176
; MemoryBound: 0
; FloatMode: 240
; IeeeMode: 1
; LDSByteSize: 344 bytes/workgroup (compile time only)
; SGPRBlocks: 4
; VGPRBlocks: 13
; NumSGPRsForWavesPerEU: 38
; NumVGPRsForWavesPerEU: 56
; Occupancy: 4
; WaveLimiterHint : 1
; COMPUTE_PGM_RSRC2:SCRATCH_EN: 1
; COMPUTE_PGM_RSRC2:USER_SGPR: 6
; COMPUTE_PGM_RSRC2:TRAP_HANDLER: 0
; COMPUTE_PGM_RSRC2:TGID_X_EN: 1
; COMPUTE_PGM_RSRC2:TGID_Y_EN: 0
; COMPUTE_PGM_RSRC2:TGID_Z_EN: 0
; COMPUTE_PGM_RSRC2:TIDIG_COMP_CNT: 0
	.section	.text._ZN9rocsolver6v33100L18trti2_kernel_smallILi22EdPKPdEEv13rocblas_fill_17rocblas_diagonal_T1_iil,"axG",@progbits,_ZN9rocsolver6v33100L18trti2_kernel_smallILi22EdPKPdEEv13rocblas_fill_17rocblas_diagonal_T1_iil,comdat
	.globl	_ZN9rocsolver6v33100L18trti2_kernel_smallILi22EdPKPdEEv13rocblas_fill_17rocblas_diagonal_T1_iil ; -- Begin function _ZN9rocsolver6v33100L18trti2_kernel_smallILi22EdPKPdEEv13rocblas_fill_17rocblas_diagonal_T1_iil
	.p2align	8
	.type	_ZN9rocsolver6v33100L18trti2_kernel_smallILi22EdPKPdEEv13rocblas_fill_17rocblas_diagonal_T1_iil,@function
_ZN9rocsolver6v33100L18trti2_kernel_smallILi22EdPKPdEEv13rocblas_fill_17rocblas_diagonal_T1_iil: ; @_ZN9rocsolver6v33100L18trti2_kernel_smallILi22EdPKPdEEv13rocblas_fill_17rocblas_diagonal_T1_iil
; %bb.0:
	s_add_u32 s0, s0, s7
	s_addc_u32 s1, s1, 0
	v_cmp_gt_u32_e32 vcc, 22, v0
	s_and_saveexec_b64 s[8:9], vcc
	s_cbranch_execz .LBB85_410
; %bb.1:
	s_load_dwordx2 s[12:13], s[4:5], 0x10
	s_load_dwordx4 s[8:11], s[4:5], 0x0
	s_ashr_i32 s7, s6, 31
	s_lshl_b64 s[6:7], s[6:7], 3
	v_lshlrev_b32_e32 v47, 3, v0
	s_waitcnt lgkmcnt(0)
	s_ashr_i32 s5, s12, 31
	s_add_u32 s6, s10, s6
	s_addc_u32 s7, s11, s7
	s_load_dwordx2 s[6:7], s[6:7], 0x0
	s_mov_b32 s4, s12
	s_lshl_b64 s[4:5], s[4:5], 3
	s_waitcnt lgkmcnt(0)
	s_add_u32 s6, s6, s4
	s_addc_u32 s7, s7, s5
	v_mov_b32_e32 v2, s7
	v_add_co_u32_e32 v1, vcc, s6, v47
	v_addc_co_u32_e32 v2, vcc, 0, v2, vcc
	flat_load_dwordx2 v[5:6], v[1:2]
	s_mov_b32 s4, s13
	s_ashr_i32 s5, s13, 31
	s_lshl_b64 s[4:5], s[4:5], 3
	v_mov_b32_e32 v4, s5
	v_add_co_u32_e32 v3, vcc, s4, v1
	v_addc_co_u32_e32 v4, vcc, v2, v4, vcc
	s_add_i32 s4, s13, s13
	v_add_u32_e32 v9, s4, v0
	v_ashrrev_i32_e32 v10, 31, v9
	v_mov_b32_e32 v11, s7
	v_add_u32_e32 v12, s13, v9
	v_ashrrev_i32_e32 v13, 31, v12
	v_mov_b32_e32 v14, s7
	v_mov_b32_e32 v15, s7
	;; [unrolled: 1-line block ×18, first 2 shown]
	s_cmpk_lg_i32 s9, 0x84
	s_cselect_b64 s[10:11], -1, 0
	s_cmpk_eq_i32 s9, 0x84
	s_waitcnt vmcnt(0) lgkmcnt(0)
	buffer_store_dword v6, off, s[0:3], 0 offset:4
	buffer_store_dword v5, off, s[0:3], 0
	flat_load_dwordx2 v[7:8], v[3:4]
	v_lshlrev_b64 v[5:6], 3, v[9:10]
	s_waitcnt vmcnt(0) lgkmcnt(0)
	buffer_store_dword v8, off, s[0:3], 0 offset:12
	buffer_store_dword v7, off, s[0:3], 0 offset:8
	v_add_co_u32_e32 v5, vcc, s6, v5
	v_addc_co_u32_e32 v6, vcc, v11, v6, vcc
	flat_load_dwordx2 v[10:11], v[5:6]
	v_lshlrev_b64 v[7:8], 3, v[12:13]
	s_waitcnt vmcnt(0) lgkmcnt(0)
	buffer_store_dword v11, off, s[0:3], 0 offset:20
	buffer_store_dword v10, off, s[0:3], 0 offset:16
	v_add_co_u32_e32 v7, vcc, s6, v7
	v_addc_co_u32_e32 v8, vcc, v14, v8, vcc
	flat_load_dwordx2 v[13:14], v[7:8]
	v_add_u32_e32 v11, s13, v12
	v_ashrrev_i32_e32 v12, 31, v11
	v_lshlrev_b64 v[9:10], 3, v[11:12]
	s_waitcnt vmcnt(0) lgkmcnt(0)
	buffer_store_dword v14, off, s[0:3], 0 offset:28
	buffer_store_dword v13, off, s[0:3], 0 offset:24
	v_add_co_u32_e32 v9, vcc, s6, v9
	v_addc_co_u32_e32 v10, vcc, v15, v10, vcc
	flat_load_dwordx2 v[13:14], v[9:10]
	v_add_u32_e32 v15, s13, v11
	v_ashrrev_i32_e32 v16, 31, v15
	v_lshlrev_b64 v[11:12], 3, v[15:16]
	v_add_u32_e32 v18, s13, v15
	v_add_co_u32_e32 v11, vcc, s6, v11
	v_addc_co_u32_e32 v12, vcc, v17, v12, vcc
	v_ashrrev_i32_e32 v19, 31, v18
	s_waitcnt vmcnt(0) lgkmcnt(0)
	buffer_store_dword v14, off, s[0:3], 0 offset:36
	buffer_store_dword v13, off, s[0:3], 0 offset:32
	flat_load_dwordx2 v[16:17], v[11:12]
	v_lshlrev_b64 v[13:14], 3, v[18:19]
	s_waitcnt vmcnt(0) lgkmcnt(0)
	buffer_store_dword v17, off, s[0:3], 0 offset:44
	buffer_store_dword v16, off, s[0:3], 0 offset:40
	v_add_co_u32_e32 v13, vcc, s6, v13
	v_addc_co_u32_e32 v14, vcc, v20, v14, vcc
	flat_load_dwordx2 v[19:20], v[13:14]
	v_add_u32_e32 v17, s13, v18
	v_ashrrev_i32_e32 v18, 31, v17
	v_lshlrev_b64 v[15:16], 3, v[17:18]
	s_waitcnt vmcnt(0) lgkmcnt(0)
	buffer_store_dword v20, off, s[0:3], 0 offset:52
	buffer_store_dword v19, off, s[0:3], 0 offset:48
	v_add_co_u32_e32 v15, vcc, s6, v15
	v_addc_co_u32_e32 v16, vcc, v21, v16, vcc
	flat_load_dwordx2 v[19:20], v[15:16]
	v_add_u32_e32 v21, s13, v17
	v_ashrrev_i32_e32 v22, 31, v21
	v_lshlrev_b64 v[17:18], 3, v[21:22]
	v_add_u32_e32 v24, s13, v21
	v_add_co_u32_e32 v17, vcc, s6, v17
	v_addc_co_u32_e32 v18, vcc, v23, v18, vcc
	v_ashrrev_i32_e32 v25, 31, v24
	s_waitcnt vmcnt(0) lgkmcnt(0)
	buffer_store_dword v20, off, s[0:3], 0 offset:60
	buffer_store_dword v19, off, s[0:3], 0 offset:56
	;; [unrolled: 27-line block ×5, first 2 shown]
	flat_load_dwordx2 v[40:41], v[35:36]
	v_lshlrev_b64 v[37:38], 3, v[42:43]
	s_waitcnt vmcnt(0) lgkmcnt(0)
	buffer_store_dword v41, off, s[0:3], 0 offset:140
	buffer_store_dword v40, off, s[0:3], 0 offset:136
	v_add_co_u32_e32 v37, vcc, s6, v37
	v_addc_co_u32_e32 v38, vcc, v44, v38, vcc
	flat_load_dwordx2 v[43:44], v[37:38]
	v_add_u32_e32 v41, s13, v42
	v_ashrrev_i32_e32 v42, 31, v41
	v_lshlrev_b64 v[39:40], 3, v[41:42]
	s_waitcnt vmcnt(0) lgkmcnt(0)
	buffer_store_dword v44, off, s[0:3], 0 offset:148
	buffer_store_dword v43, off, s[0:3], 0 offset:144
	v_add_co_u32_e32 v39, vcc, s6, v39
	v_addc_co_u32_e32 v40, vcc, v45, v40, vcc
	flat_load_dwordx2 v[43:44], v[39:40]
	v_add_u32_e32 v45, s13, v41
	v_ashrrev_i32_e32 v46, 31, v45
	v_lshlrev_b64 v[41:42], 3, v[45:46]
	v_mov_b32_e32 v46, s7
	v_add_co_u32_e32 v41, vcc, s6, v41
	v_addc_co_u32_e32 v42, vcc, v48, v42, vcc
	s_waitcnt vmcnt(0) lgkmcnt(0)
	buffer_store_dword v44, off, s[0:3], 0 offset:156
	buffer_store_dword v43, off, s[0:3], 0 offset:152
	flat_load_dwordx2 v[48:49], v[41:42]
	v_add_u32_e32 v43, s13, v45
	v_ashrrev_i32_e32 v44, 31, v43
	v_lshlrev_b64 v[43:44], 3, v[43:44]
	s_waitcnt vmcnt(0) lgkmcnt(0)
	buffer_store_dword v49, off, s[0:3], 0 offset:164
	buffer_store_dword v48, off, s[0:3], 0 offset:160
	v_add_co_u32_e32 v43, vcc, s6, v43
	v_addc_co_u32_e32 v44, vcc, v46, v44, vcc
	flat_load_dwordx2 v[48:49], v[43:44]
	v_mov_b32_e32 v45, 0
	v_mov_b32_e32 v46, 0xbff00000
	s_waitcnt vmcnt(0) lgkmcnt(0)
	buffer_store_dword v49, off, s[0:3], 0 offset:172
	buffer_store_dword v48, off, s[0:3], 0 offset:168
	s_cbranch_scc1 .LBB85_3
; %bb.2:
	v_mov_b32_e32 v45, 0
	v_lshl_add_u32 v56, v0, 3, v45
	buffer_load_dword v45, v56, s[0:3], 0 offen
	buffer_load_dword v46, v56, s[0:3], 0 offen offset:4
	s_waitcnt vmcnt(0)
	v_div_scale_f64 v[48:49], s[4:5], v[45:46], v[45:46], 1.0
	v_rcp_f64_e32 v[50:51], v[48:49]
	v_fma_f64 v[52:53], -v[48:49], v[50:51], 1.0
	v_fma_f64 v[50:51], v[50:51], v[52:53], v[50:51]
	v_div_scale_f64 v[52:53], vcc, 1.0, v[45:46], 1.0
	v_fma_f64 v[54:55], -v[48:49], v[50:51], 1.0
	v_fma_f64 v[50:51], v[50:51], v[54:55], v[50:51]
	v_mul_f64 v[54:55], v[52:53], v[50:51]
	v_fma_f64 v[48:49], -v[48:49], v[54:55], v[52:53]
	v_div_fmas_f64 v[48:49], v[48:49], v[50:51], v[54:55]
	v_div_fixup_f64 v[45:46], v[48:49], v[45:46], 1.0
	buffer_store_dword v45, v56, s[0:3], 0 offen
	buffer_store_dword v46, v56, s[0:3], 0 offen offset:4
	v_xor_b32_e32 v46, 0x80000000, v46
.LBB85_3:
	s_cmpk_eq_i32 s8, 0x79
	v_add_u32_e32 v48, 0xb0, v47
	v_mov_b32_e32 v49, v47
	s_mov_b64 s[4:5], -1
	ds_write_b64 v47, v[45:46]
	s_cbranch_scc1 .LBB85_207
; %bb.4:
	buffer_load_dword v45, off, s[0:3], 0 offset:160
	buffer_load_dword v46, off, s[0:3], 0 offset:164
	s_movk_i32 s12, 0x48
	s_movk_i32 s13, 0x50
	;; [unrolled: 1-line block ×11, first 2 shown]
	v_cmp_eq_u32_e64 s[4:5], 21, v0
	s_waitcnt vmcnt(0)
	ds_write_b64 v48, v[45:46]
	s_waitcnt lgkmcnt(0)
	; wave barrier
	s_and_saveexec_b64 s[6:7], s[4:5]
	s_cbranch_execz .LBB85_10
; %bb.5:
	s_and_b64 vcc, exec, s[10:11]
	s_cbranch_vccz .LBB85_7
; %bb.6:
	buffer_load_dword v45, v49, s[0:3], 0 offen
	buffer_load_dword v46, v49, s[0:3], 0 offen offset:4
	ds_read_b64 v[50:51], v48
	s_waitcnt vmcnt(0) lgkmcnt(0)
	v_mul_f64 v[45:46], v[45:46], v[50:51]
	s_cbranch_execz .LBB85_8
	s_branch .LBB85_9
.LBB85_7:
                                        ; implicit-def: $vgpr45_vgpr46
.LBB85_8:
	ds_read_b64 v[45:46], v48
.LBB85_9:
	v_mov_b32_e32 v50, 0
	ds_read_b64 v[50:51], v50 offset:160
	s_waitcnt lgkmcnt(0)
	v_mul_f64 v[45:46], v[45:46], v[50:51]
	buffer_store_dword v46, off, s[0:3], 0 offset:164
	buffer_store_dword v45, off, s[0:3], 0 offset:160
.LBB85_10:
	s_or_b64 exec, exec, s[6:7]
	buffer_load_dword v45, off, s[0:3], 0 offset:152
	buffer_load_dword v46, off, s[0:3], 0 offset:156
	s_or_b32 s14, 0, 8
	s_mov_b32 s15, 16
	s_mov_b32 s16, 24
	;; [unrolled: 1-line block ×9, first 2 shown]
	v_cmp_lt_u32_e64 s[6:7], 19, v0
	s_waitcnt vmcnt(0)
	ds_write_b64 v48, v[45:46]
	s_waitcnt lgkmcnt(0)
	; wave barrier
	s_and_saveexec_b64 s[8:9], s[6:7]
	s_cbranch_execz .LBB85_16
; %bb.11:
	s_andn2_b64 vcc, exec, s[10:11]
	s_cbranch_vccnz .LBB85_13
; %bb.12:
	buffer_load_dword v45, v49, s[0:3], 0 offen
	buffer_load_dword v46, v49, s[0:3], 0 offen offset:4
	ds_read_b64 v[50:51], v48
	s_waitcnt vmcnt(0) lgkmcnt(0)
	v_mul_f64 v[45:46], v[45:46], v[50:51]
	s_cbranch_execz .LBB85_14
	s_branch .LBB85_15
.LBB85_13:
                                        ; implicit-def: $vgpr45_vgpr46
.LBB85_14:
	ds_read_b64 v[45:46], v48
.LBB85_15:
	buffer_load_dword v54, off, s[0:3], 0 offset:160
	buffer_load_dword v55, off, s[0:3], 0 offset:164
	v_mov_b32_e32 v50, 0
	ds_read2_b64 v[50:53], v50 offset0:19 offset1:42
	s_waitcnt vmcnt(0) lgkmcnt(0)
	v_fma_f64 v[52:53], v[54:55], v[52:53], v[45:46]
	v_cndmask_b32_e64 v46, v46, v53, s[4:5]
	v_cndmask_b32_e64 v45, v45, v52, s[4:5]
	v_mul_f64 v[45:46], v[45:46], v[50:51]
	buffer_store_dword v46, off, s[0:3], 0 offset:156
	buffer_store_dword v45, off, s[0:3], 0 offset:152
.LBB85_16:
	s_or_b64 exec, exec, s[8:9]
	buffer_load_dword v45, off, s[0:3], 0 offset:144
	buffer_load_dword v46, off, s[0:3], 0 offset:148
	v_cmp_lt_u32_e64 s[4:5], 18, v0
	s_waitcnt vmcnt(0)
	ds_write_b64 v48, v[45:46]
	s_waitcnt lgkmcnt(0)
	; wave barrier
	s_and_saveexec_b64 s[8:9], s[4:5]
	s_cbranch_execz .LBB85_26
; %bb.17:
	s_andn2_b64 vcc, exec, s[10:11]
	s_cbranch_vccnz .LBB85_19
; %bb.18:
	buffer_load_dword v45, v49, s[0:3], 0 offen
	buffer_load_dword v46, v49, s[0:3], 0 offen offset:4
	ds_read_b64 v[50:51], v48
	s_waitcnt vmcnt(0) lgkmcnt(0)
	v_mul_f64 v[45:46], v[45:46], v[50:51]
	s_cbranch_execz .LBB85_20
	s_branch .LBB85_21
.LBB85_19:
                                        ; implicit-def: $vgpr45_vgpr46
.LBB85_20:
	ds_read_b64 v[45:46], v48
.LBB85_21:
	s_and_saveexec_b64 s[12:13], s[6:7]
	s_cbranch_execz .LBB85_25
; %bb.22:
	v_subrev_u32_e32 v50, 19, v0
	s_movk_i32 s34, 0x148
	s_mov_b64 s[6:7], 0
.LBB85_23:                              ; =>This Inner Loop Header: Depth=1
	v_mov_b32_e32 v53, s33
	buffer_load_dword v51, v53, s[0:3], 0 offen
	buffer_load_dword v52, v53, s[0:3], 0 offen offset:4
	v_mov_b32_e32 v53, s34
	ds_read_b64 v[53:54], v53
	v_add_u32_e32 v50, -1, v50
	s_add_i32 s34, s34, 8
	s_add_i32 s33, s33, 8
	v_cmp_eq_u32_e32 vcc, 0, v50
	s_or_b64 s[6:7], vcc, s[6:7]
	s_waitcnt vmcnt(0) lgkmcnt(0)
	v_fma_f64 v[45:46], v[51:52], v[53:54], v[45:46]
	s_andn2_b64 exec, exec, s[6:7]
	s_cbranch_execnz .LBB85_23
; %bb.24:
	s_or_b64 exec, exec, s[6:7]
.LBB85_25:
	s_or_b64 exec, exec, s[12:13]
	v_mov_b32_e32 v50, 0
	ds_read_b64 v[50:51], v50 offset:144
	s_waitcnt lgkmcnt(0)
	v_mul_f64 v[45:46], v[45:46], v[50:51]
	buffer_store_dword v46, off, s[0:3], 0 offset:148
	buffer_store_dword v45, off, s[0:3], 0 offset:144
.LBB85_26:
	s_or_b64 exec, exec, s[8:9]
	buffer_load_dword v45, off, s[0:3], 0 offset:136
	buffer_load_dword v46, off, s[0:3], 0 offset:140
	v_cmp_lt_u32_e64 s[6:7], 17, v0
	s_waitcnt vmcnt(0)
	ds_write_b64 v48, v[45:46]
	s_waitcnt lgkmcnt(0)
	; wave barrier
	s_and_saveexec_b64 s[8:9], s[6:7]
	s_cbranch_execz .LBB85_36
; %bb.27:
	s_andn2_b64 vcc, exec, s[10:11]
	s_cbranch_vccnz .LBB85_29
; %bb.28:
	buffer_load_dword v45, v49, s[0:3], 0 offen
	buffer_load_dword v46, v49, s[0:3], 0 offen offset:4
	ds_read_b64 v[50:51], v48
	s_waitcnt vmcnt(0) lgkmcnt(0)
	v_mul_f64 v[45:46], v[45:46], v[50:51]
	s_cbranch_execz .LBB85_30
	s_branch .LBB85_31
.LBB85_29:
                                        ; implicit-def: $vgpr45_vgpr46
.LBB85_30:
	ds_read_b64 v[45:46], v48
.LBB85_31:
	s_and_saveexec_b64 s[12:13], s[4:5]
	s_cbranch_execz .LBB85_35
; %bb.32:
	v_subrev_u32_e32 v50, 18, v0
	s_movk_i32 s33, 0x140
	s_mov_b64 s[4:5], 0
.LBB85_33:                              ; =>This Inner Loop Header: Depth=1
	v_mov_b32_e32 v53, s31
	buffer_load_dword v51, v53, s[0:3], 0 offen
	buffer_load_dword v52, v53, s[0:3], 0 offen offset:4
	v_mov_b32_e32 v53, s33
	ds_read_b64 v[53:54], v53
	v_add_u32_e32 v50, -1, v50
	s_add_i32 s33, s33, 8
	s_add_i32 s31, s31, 8
	v_cmp_eq_u32_e32 vcc, 0, v50
	s_or_b64 s[4:5], vcc, s[4:5]
	s_waitcnt vmcnt(0) lgkmcnt(0)
	v_fma_f64 v[45:46], v[51:52], v[53:54], v[45:46]
	s_andn2_b64 exec, exec, s[4:5]
	s_cbranch_execnz .LBB85_33
; %bb.34:
	s_or_b64 exec, exec, s[4:5]
.LBB85_35:
	s_or_b64 exec, exec, s[12:13]
	v_mov_b32_e32 v50, 0
	ds_read_b64 v[50:51], v50 offset:136
	s_waitcnt lgkmcnt(0)
	v_mul_f64 v[45:46], v[45:46], v[50:51]
	buffer_store_dword v46, off, s[0:3], 0 offset:140
	buffer_store_dword v45, off, s[0:3], 0 offset:136
.LBB85_36:
	;; [unrolled: 58-line block ×3, first 2 shown]
	s_or_b64 exec, exec, s[8:9]
	buffer_load_dword v45, off, s[0:3], 0 offset:120
	buffer_load_dword v46, off, s[0:3], 0 offset:124
	v_cmp_lt_u32_e64 s[6:7], 15, v0
	s_waitcnt vmcnt(0)
	ds_write_b64 v48, v[45:46]
	s_waitcnt lgkmcnt(0)
	; wave barrier
	s_and_saveexec_b64 s[8:9], s[6:7]
	s_cbranch_execz .LBB85_56
; %bb.47:
	s_andn2_b64 vcc, exec, s[10:11]
	s_cbranch_vccnz .LBB85_49
; %bb.48:
	buffer_load_dword v45, v49, s[0:3], 0 offen
	buffer_load_dword v46, v49, s[0:3], 0 offen offset:4
	ds_read_b64 v[50:51], v48
	s_waitcnt vmcnt(0) lgkmcnt(0)
	v_mul_f64 v[45:46], v[45:46], v[50:51]
	s_cbranch_execz .LBB85_50
	s_branch .LBB85_51
.LBB85_49:
                                        ; implicit-def: $vgpr45_vgpr46
.LBB85_50:
	ds_read_b64 v[45:46], v48
.LBB85_51:
	s_and_saveexec_b64 s[12:13], s[4:5]
	s_cbranch_execz .LBB85_55
; %bb.52:
	v_add_u32_e32 v50, -16, v0
	s_movk_i32 s30, 0x130
	s_mov_b64 s[4:5], 0
.LBB85_53:                              ; =>This Inner Loop Header: Depth=1
	v_mov_b32_e32 v53, s29
	buffer_load_dword v51, v53, s[0:3], 0 offen
	buffer_load_dword v52, v53, s[0:3], 0 offen offset:4
	v_mov_b32_e32 v53, s30
	ds_read_b64 v[53:54], v53
	v_add_u32_e32 v50, -1, v50
	s_add_i32 s30, s30, 8
	s_add_i32 s29, s29, 8
	v_cmp_eq_u32_e32 vcc, 0, v50
	s_or_b64 s[4:5], vcc, s[4:5]
	s_waitcnt vmcnt(0) lgkmcnt(0)
	v_fma_f64 v[45:46], v[51:52], v[53:54], v[45:46]
	s_andn2_b64 exec, exec, s[4:5]
	s_cbranch_execnz .LBB85_53
; %bb.54:
	s_or_b64 exec, exec, s[4:5]
.LBB85_55:
	s_or_b64 exec, exec, s[12:13]
	v_mov_b32_e32 v50, 0
	ds_read_b64 v[50:51], v50 offset:120
	s_waitcnt lgkmcnt(0)
	v_mul_f64 v[45:46], v[45:46], v[50:51]
	buffer_store_dword v46, off, s[0:3], 0 offset:124
	buffer_store_dword v45, off, s[0:3], 0 offset:120
.LBB85_56:
	s_or_b64 exec, exec, s[8:9]
	buffer_load_dword v45, off, s[0:3], 0 offset:112
	buffer_load_dword v46, off, s[0:3], 0 offset:116
	v_cmp_lt_u32_e64 s[4:5], 14, v0
	s_waitcnt vmcnt(0)
	ds_write_b64 v48, v[45:46]
	s_waitcnt lgkmcnt(0)
	; wave barrier
	s_and_saveexec_b64 s[8:9], s[4:5]
	s_cbranch_execz .LBB85_66
; %bb.57:
	s_andn2_b64 vcc, exec, s[10:11]
	s_cbranch_vccnz .LBB85_59
; %bb.58:
	buffer_load_dword v45, v49, s[0:3], 0 offen
	buffer_load_dword v46, v49, s[0:3], 0 offen offset:4
	ds_read_b64 v[50:51], v48
	s_waitcnt vmcnt(0) lgkmcnt(0)
	v_mul_f64 v[45:46], v[45:46], v[50:51]
	s_cbranch_execz .LBB85_60
	s_branch .LBB85_61
.LBB85_59:
                                        ; implicit-def: $vgpr45_vgpr46
.LBB85_60:
	ds_read_b64 v[45:46], v48
.LBB85_61:
	s_and_saveexec_b64 s[12:13], s[6:7]
	s_cbranch_execz .LBB85_65
; %bb.62:
	v_add_u32_e32 v50, -15, v0
	s_movk_i32 s29, 0x128
	s_mov_b64 s[6:7], 0
.LBB85_63:                              ; =>This Inner Loop Header: Depth=1
	v_mov_b32_e32 v53, s28
	buffer_load_dword v51, v53, s[0:3], 0 offen
	buffer_load_dword v52, v53, s[0:3], 0 offen offset:4
	v_mov_b32_e32 v53, s29
	ds_read_b64 v[53:54], v53
	v_add_u32_e32 v50, -1, v50
	s_add_i32 s29, s29, 8
	s_add_i32 s28, s28, 8
	v_cmp_eq_u32_e32 vcc, 0, v50
	s_or_b64 s[6:7], vcc, s[6:7]
	s_waitcnt vmcnt(0) lgkmcnt(0)
	v_fma_f64 v[45:46], v[51:52], v[53:54], v[45:46]
	s_andn2_b64 exec, exec, s[6:7]
	s_cbranch_execnz .LBB85_63
; %bb.64:
	s_or_b64 exec, exec, s[6:7]
.LBB85_65:
	s_or_b64 exec, exec, s[12:13]
	v_mov_b32_e32 v50, 0
	ds_read_b64 v[50:51], v50 offset:112
	s_waitcnt lgkmcnt(0)
	v_mul_f64 v[45:46], v[45:46], v[50:51]
	buffer_store_dword v46, off, s[0:3], 0 offset:116
	buffer_store_dword v45, off, s[0:3], 0 offset:112
.LBB85_66:
	;; [unrolled: 58-line block ×5, first 2 shown]
	s_or_b64 exec, exec, s[8:9]
	buffer_load_dword v45, off, s[0:3], 0 offset:80
	buffer_load_dword v46, off, s[0:3], 0 offset:84
	v_cmp_lt_u32_e64 s[4:5], 10, v0
	s_waitcnt vmcnt(0)
	ds_write_b64 v48, v[45:46]
	s_waitcnt lgkmcnt(0)
	; wave barrier
	s_and_saveexec_b64 s[8:9], s[4:5]
	s_cbranch_execz .LBB85_106
; %bb.97:
	s_andn2_b64 vcc, exec, s[10:11]
	s_cbranch_vccnz .LBB85_99
; %bb.98:
	buffer_load_dword v45, v49, s[0:3], 0 offen
	buffer_load_dword v46, v49, s[0:3], 0 offen offset:4
	ds_read_b64 v[50:51], v48
	s_waitcnt vmcnt(0) lgkmcnt(0)
	v_mul_f64 v[45:46], v[45:46], v[50:51]
	s_cbranch_execz .LBB85_100
	s_branch .LBB85_101
.LBB85_99:
                                        ; implicit-def: $vgpr45_vgpr46
.LBB85_100:
	ds_read_b64 v[45:46], v48
.LBB85_101:
	s_and_saveexec_b64 s[12:13], s[6:7]
	s_cbranch_execz .LBB85_105
; %bb.102:
	v_add_u32_e32 v50, -11, v0
	s_movk_i32 s25, 0x108
	s_mov_b64 s[6:7], 0
.LBB85_103:                             ; =>This Inner Loop Header: Depth=1
	v_mov_b32_e32 v53, s24
	buffer_load_dword v51, v53, s[0:3], 0 offen
	buffer_load_dword v52, v53, s[0:3], 0 offen offset:4
	v_mov_b32_e32 v53, s25
	ds_read_b64 v[53:54], v53
	v_add_u32_e32 v50, -1, v50
	s_add_i32 s25, s25, 8
	s_add_i32 s24, s24, 8
	v_cmp_eq_u32_e32 vcc, 0, v50
	s_or_b64 s[6:7], vcc, s[6:7]
	s_waitcnt vmcnt(0) lgkmcnt(0)
	v_fma_f64 v[45:46], v[51:52], v[53:54], v[45:46]
	s_andn2_b64 exec, exec, s[6:7]
	s_cbranch_execnz .LBB85_103
; %bb.104:
	s_or_b64 exec, exec, s[6:7]
.LBB85_105:
	s_or_b64 exec, exec, s[12:13]
	v_mov_b32_e32 v50, 0
	ds_read_b64 v[50:51], v50 offset:80
	s_waitcnt lgkmcnt(0)
	v_mul_f64 v[45:46], v[45:46], v[50:51]
	buffer_store_dword v46, off, s[0:3], 0 offset:84
	buffer_store_dword v45, off, s[0:3], 0 offset:80
.LBB85_106:
	s_or_b64 exec, exec, s[8:9]
	buffer_load_dword v45, off, s[0:3], 0 offset:72
	buffer_load_dword v46, off, s[0:3], 0 offset:76
	v_cmp_lt_u32_e64 s[6:7], 9, v0
	s_waitcnt vmcnt(0)
	ds_write_b64 v48, v[45:46]
	s_waitcnt lgkmcnt(0)
	; wave barrier
	s_and_saveexec_b64 s[8:9], s[6:7]
	s_cbranch_execz .LBB85_116
; %bb.107:
	s_andn2_b64 vcc, exec, s[10:11]
	s_cbranch_vccnz .LBB85_109
; %bb.108:
	buffer_load_dword v45, v49, s[0:3], 0 offen
	buffer_load_dword v46, v49, s[0:3], 0 offen offset:4
	ds_read_b64 v[50:51], v48
	s_waitcnt vmcnt(0) lgkmcnt(0)
	v_mul_f64 v[45:46], v[45:46], v[50:51]
	s_cbranch_execz .LBB85_110
	s_branch .LBB85_111
.LBB85_109:
                                        ; implicit-def: $vgpr45_vgpr46
.LBB85_110:
	ds_read_b64 v[45:46], v48
.LBB85_111:
	s_and_saveexec_b64 s[12:13], s[4:5]
	s_cbranch_execz .LBB85_115
; %bb.112:
	v_add_u32_e32 v50, -10, v0
	s_movk_i32 s24, 0x100
	s_mov_b64 s[4:5], 0
.LBB85_113:                             ; =>This Inner Loop Header: Depth=1
	v_mov_b32_e32 v53, s23
	buffer_load_dword v51, v53, s[0:3], 0 offen
	buffer_load_dword v52, v53, s[0:3], 0 offen offset:4
	v_mov_b32_e32 v53, s24
	ds_read_b64 v[53:54], v53
	v_add_u32_e32 v50, -1, v50
	s_add_i32 s24, s24, 8
	s_add_i32 s23, s23, 8
	v_cmp_eq_u32_e32 vcc, 0, v50
	s_or_b64 s[4:5], vcc, s[4:5]
	s_waitcnt vmcnt(0) lgkmcnt(0)
	v_fma_f64 v[45:46], v[51:52], v[53:54], v[45:46]
	s_andn2_b64 exec, exec, s[4:5]
	s_cbranch_execnz .LBB85_113
; %bb.114:
	s_or_b64 exec, exec, s[4:5]
.LBB85_115:
	s_or_b64 exec, exec, s[12:13]
	v_mov_b32_e32 v50, 0
	ds_read_b64 v[50:51], v50 offset:72
	s_waitcnt lgkmcnt(0)
	v_mul_f64 v[45:46], v[45:46], v[50:51]
	buffer_store_dword v46, off, s[0:3], 0 offset:76
	buffer_store_dword v45, off, s[0:3], 0 offset:72
.LBB85_116:
	;; [unrolled: 58-line block ×10, first 2 shown]
	s_or_b64 exec, exec, s[8:9]
	buffer_load_dword v45, off, s[0:3], 0
	buffer_load_dword v46, off, s[0:3], 0 offset:4
	v_cmp_ne_u32_e32 vcc, 0, v0
	s_waitcnt vmcnt(0)
	ds_write_b64 v48, v[45:46]
	s_waitcnt lgkmcnt(0)
	; wave barrier
	s_and_saveexec_b64 s[4:5], vcc
	s_cbranch_execz .LBB85_206
; %bb.197:
	s_andn2_b64 vcc, exec, s[10:11]
	s_cbranch_vccnz .LBB85_199
; %bb.198:
	buffer_load_dword v45, v49, s[0:3], 0 offen
	buffer_load_dword v46, v49, s[0:3], 0 offen offset:4
	ds_read_b64 v[50:51], v48
	s_waitcnt vmcnt(0) lgkmcnt(0)
	v_mul_f64 v[45:46], v[45:46], v[50:51]
	s_cbranch_execz .LBB85_200
	s_branch .LBB85_201
.LBB85_199:
                                        ; implicit-def: $vgpr45_vgpr46
.LBB85_200:
	ds_read_b64 v[45:46], v48
.LBB85_201:
	s_and_saveexec_b64 s[8:9], s[6:7]
	s_cbranch_execz .LBB85_205
; %bb.202:
	v_add_u32_e32 v50, -1, v0
	s_movk_i32 s12, 0xb8
	s_mov_b64 s[6:7], 0
.LBB85_203:                             ; =>This Inner Loop Header: Depth=1
	v_mov_b32_e32 v53, s14
	buffer_load_dword v51, v53, s[0:3], 0 offen
	buffer_load_dword v52, v53, s[0:3], 0 offen offset:4
	v_mov_b32_e32 v53, s12
	ds_read_b64 v[53:54], v53
	v_add_u32_e32 v50, -1, v50
	s_add_i32 s12, s12, 8
	s_add_i32 s14, s14, 8
	v_cmp_eq_u32_e32 vcc, 0, v50
	s_or_b64 s[6:7], vcc, s[6:7]
	s_waitcnt vmcnt(0) lgkmcnt(0)
	v_fma_f64 v[45:46], v[51:52], v[53:54], v[45:46]
	s_andn2_b64 exec, exec, s[6:7]
	s_cbranch_execnz .LBB85_203
; %bb.204:
	s_or_b64 exec, exec, s[6:7]
.LBB85_205:
	s_or_b64 exec, exec, s[8:9]
	v_mov_b32_e32 v50, 0
	ds_read_b64 v[50:51], v50
	s_waitcnt lgkmcnt(0)
	v_mul_f64 v[45:46], v[45:46], v[50:51]
	buffer_store_dword v46, off, s[0:3], 0 offset:4
	buffer_store_dword v45, off, s[0:3], 0
.LBB85_206:
	s_or_b64 exec, exec, s[4:5]
	s_mov_b64 s[4:5], 0
.LBB85_207:
	s_and_b64 vcc, exec, s[4:5]
	s_cbranch_vccz .LBB85_409
; %bb.208:
	buffer_load_dword v45, off, s[0:3], 0 offset:8
	buffer_load_dword v46, off, s[0:3], 0 offset:12
	v_cmp_eq_u32_e64 s[6:7], 0, v0
	s_waitcnt vmcnt(0)
	ds_write_b64 v48, v[45:46]
	s_waitcnt lgkmcnt(0)
	; wave barrier
	s_and_saveexec_b64 s[4:5], s[6:7]
	s_cbranch_execz .LBB85_214
; %bb.209:
	s_and_b64 vcc, exec, s[10:11]
	s_cbranch_vccz .LBB85_211
; %bb.210:
	buffer_load_dword v45, v49, s[0:3], 0 offen
	buffer_load_dword v46, v49, s[0:3], 0 offen offset:4
	ds_read_b64 v[50:51], v48
	s_waitcnt vmcnt(0) lgkmcnt(0)
	v_mul_f64 v[45:46], v[45:46], v[50:51]
	s_cbranch_execz .LBB85_212
	s_branch .LBB85_213
.LBB85_211:
                                        ; implicit-def: $vgpr45_vgpr46
.LBB85_212:
	ds_read_b64 v[45:46], v48
.LBB85_213:
	v_mov_b32_e32 v50, 0
	ds_read_b64 v[50:51], v50 offset:8
	s_waitcnt lgkmcnt(0)
	v_mul_f64 v[45:46], v[45:46], v[50:51]
	buffer_store_dword v46, off, s[0:3], 0 offset:12
	buffer_store_dword v45, off, s[0:3], 0 offset:8
.LBB85_214:
	s_or_b64 exec, exec, s[4:5]
	buffer_load_dword v45, off, s[0:3], 0 offset:16
	buffer_load_dword v46, off, s[0:3], 0 offset:20
	v_cndmask_b32_e64 v50, 0, 1, s[10:11]
	v_cmp_gt_u32_e32 vcc, 2, v0
	v_cmp_ne_u32_e64 s[4:5], 1, v50
	s_waitcnt vmcnt(0)
	ds_write_b64 v48, v[45:46]
	s_waitcnt lgkmcnt(0)
	; wave barrier
	s_and_saveexec_b64 s[8:9], vcc
	s_cbranch_execz .LBB85_220
; %bb.215:
	s_and_b64 vcc, exec, s[4:5]
	s_cbranch_vccnz .LBB85_217
; %bb.216:
	buffer_load_dword v45, v49, s[0:3], 0 offen
	buffer_load_dword v46, v49, s[0:3], 0 offen offset:4
	ds_read_b64 v[50:51], v48
	s_waitcnt vmcnt(0) lgkmcnt(0)
	v_mul_f64 v[45:46], v[45:46], v[50:51]
	s_cbranch_execz .LBB85_218
	s_branch .LBB85_219
.LBB85_217:
                                        ; implicit-def: $vgpr45_vgpr46
.LBB85_218:
	ds_read_b64 v[45:46], v48
.LBB85_219:
	buffer_load_dword v54, off, s[0:3], 0 offset:8
	buffer_load_dword v55, off, s[0:3], 0 offset:12
	v_mov_b32_e32 v50, 0
	ds_read2_b64 v[50:53], v50 offset0:2 offset1:23
	s_waitcnt vmcnt(0) lgkmcnt(0)
	v_fma_f64 v[52:53], v[54:55], v[52:53], v[45:46]
	v_cndmask_b32_e64 v46, v46, v53, s[6:7]
	v_cndmask_b32_e64 v45, v45, v52, s[6:7]
	v_mul_f64 v[45:46], v[45:46], v[50:51]
	buffer_store_dword v46, off, s[0:3], 0 offset:20
	buffer_store_dword v45, off, s[0:3], 0 offset:16
.LBB85_220:
	s_or_b64 exec, exec, s[8:9]
	buffer_load_dword v45, off, s[0:3], 0 offset:24
	buffer_load_dword v46, off, s[0:3], 0 offset:28
	v_cmp_gt_u32_e32 vcc, 3, v0
	s_waitcnt vmcnt(0)
	ds_write_b64 v48, v[45:46]
	s_waitcnt lgkmcnt(0)
	; wave barrier
	s_and_saveexec_b64 s[8:9], vcc
	s_cbranch_execz .LBB85_228
; %bb.221:
	s_and_b64 vcc, exec, s[4:5]
	s_cbranch_vccnz .LBB85_223
; %bb.222:
	buffer_load_dword v45, v49, s[0:3], 0 offen
	buffer_load_dword v46, v49, s[0:3], 0 offen offset:4
	ds_read_b64 v[50:51], v48
	s_waitcnt vmcnt(0) lgkmcnt(0)
	v_mul_f64 v[45:46], v[45:46], v[50:51]
	s_cbranch_execz .LBB85_224
	s_branch .LBB85_225
.LBB85_223:
                                        ; implicit-def: $vgpr45_vgpr46
.LBB85_224:
	ds_read_b64 v[45:46], v48
.LBB85_225:
	v_cmp_ne_u32_e32 vcc, 2, v0
	s_and_saveexec_b64 s[10:11], vcc
	s_cbranch_execz .LBB85_227
; %bb.226:
	buffer_load_dword v50, v49, s[0:3], 0 offen offset:8
	buffer_load_dword v51, v49, s[0:3], 0 offen offset:12
	buffer_load_dword v52, off, s[0:3], 0 offset:16
	buffer_load_dword v53, off, s[0:3], 0 offset:20
	ds_read_b64 v[54:55], v48 offset:8
	v_mov_b32_e32 v56, 0
	ds_read_b64 v[56:57], v56 offset:192
	s_waitcnt vmcnt(2) lgkmcnt(1)
	v_fma_f64 v[45:46], v[50:51], v[54:55], v[45:46]
	s_waitcnt vmcnt(0) lgkmcnt(0)
	v_fma_f64 v[50:51], v[52:53], v[56:57], v[45:46]
	v_cndmask_b32_e64 v46, v46, v51, s[6:7]
	v_cndmask_b32_e64 v45, v45, v50, s[6:7]
.LBB85_227:
	s_or_b64 exec, exec, s[10:11]
	v_mov_b32_e32 v50, 0
	ds_read_b64 v[50:51], v50 offset:24
	s_waitcnt lgkmcnt(0)
	v_mul_f64 v[45:46], v[45:46], v[50:51]
	buffer_store_dword v46, off, s[0:3], 0 offset:28
	buffer_store_dword v45, off, s[0:3], 0 offset:24
.LBB85_228:
	s_or_b64 exec, exec, s[8:9]
	buffer_load_dword v45, off, s[0:3], 0 offset:32
	buffer_load_dword v46, off, s[0:3], 0 offset:36
	v_cmp_gt_u32_e32 vcc, 4, v0
	s_waitcnt vmcnt(0)
	ds_write_b64 v48, v[45:46]
	s_waitcnt lgkmcnt(0)
	; wave barrier
	s_and_saveexec_b64 s[6:7], vcc
	s_cbranch_execz .LBB85_238
; %bb.229:
	s_and_b64 vcc, exec, s[4:5]
	s_cbranch_vccnz .LBB85_231
; %bb.230:
	buffer_load_dword v45, v49, s[0:3], 0 offen
	buffer_load_dword v46, v49, s[0:3], 0 offen offset:4
	ds_read_b64 v[50:51], v48
	s_waitcnt vmcnt(0) lgkmcnt(0)
	v_mul_f64 v[45:46], v[45:46], v[50:51]
	s_cbranch_execz .LBB85_232
	s_branch .LBB85_233
.LBB85_231:
                                        ; implicit-def: $vgpr45_vgpr46
.LBB85_232:
	ds_read_b64 v[45:46], v48
.LBB85_233:
	v_cmp_ne_u32_e32 vcc, 3, v0
	s_and_saveexec_b64 s[8:9], vcc
	s_cbranch_execz .LBB85_237
; %bb.234:
	s_mov_b32 s10, 0
	v_add_u32_e32 v50, 0xb8, v47
	v_add3_u32 v51, v47, s10, 8
	s_mov_b64 s[10:11], 0
	v_mov_b32_e32 v52, v0
.LBB85_235:                             ; =>This Inner Loop Header: Depth=1
	buffer_load_dword v53, v51, s[0:3], 0 offen
	buffer_load_dword v54, v51, s[0:3], 0 offen offset:4
	ds_read_b64 v[55:56], v50
	v_add_u32_e32 v52, 1, v52
	v_cmp_lt_u32_e32 vcc, 2, v52
	v_add_u32_e32 v50, 8, v50
	s_or_b64 s[10:11], vcc, s[10:11]
	v_add_u32_e32 v51, 8, v51
	s_waitcnt vmcnt(0) lgkmcnt(0)
	v_fma_f64 v[45:46], v[53:54], v[55:56], v[45:46]
	s_andn2_b64 exec, exec, s[10:11]
	s_cbranch_execnz .LBB85_235
; %bb.236:
	s_or_b64 exec, exec, s[10:11]
.LBB85_237:
	s_or_b64 exec, exec, s[8:9]
	v_mov_b32_e32 v50, 0
	ds_read_b64 v[50:51], v50 offset:32
	s_waitcnt lgkmcnt(0)
	v_mul_f64 v[45:46], v[45:46], v[50:51]
	buffer_store_dword v46, off, s[0:3], 0 offset:36
	buffer_store_dword v45, off, s[0:3], 0 offset:32
.LBB85_238:
	s_or_b64 exec, exec, s[6:7]
	buffer_load_dword v45, off, s[0:3], 0 offset:40
	buffer_load_dword v46, off, s[0:3], 0 offset:44
	v_cmp_gt_u32_e32 vcc, 5, v0
	s_waitcnt vmcnt(0)
	ds_write_b64 v48, v[45:46]
	s_waitcnt lgkmcnt(0)
	; wave barrier
	s_and_saveexec_b64 s[6:7], vcc
	s_cbranch_execz .LBB85_248
; %bb.239:
	s_and_b64 vcc, exec, s[4:5]
	s_cbranch_vccnz .LBB85_241
; %bb.240:
	buffer_load_dword v45, v49, s[0:3], 0 offen
	buffer_load_dword v46, v49, s[0:3], 0 offen offset:4
	ds_read_b64 v[50:51], v48
	s_waitcnt vmcnt(0) lgkmcnt(0)
	v_mul_f64 v[45:46], v[45:46], v[50:51]
	s_cbranch_execz .LBB85_242
	s_branch .LBB85_243
.LBB85_241:
                                        ; implicit-def: $vgpr45_vgpr46
.LBB85_242:
	ds_read_b64 v[45:46], v48
.LBB85_243:
	v_cmp_ne_u32_e32 vcc, 4, v0
	s_and_saveexec_b64 s[8:9], vcc
	s_cbranch_execz .LBB85_247
; %bb.244:
	s_mov_b32 s10, 0
	v_add_u32_e32 v50, 0xb8, v47
	v_add3_u32 v51, v47, s10, 8
	s_mov_b64 s[10:11], 0
	v_mov_b32_e32 v52, v0
.LBB85_245:                             ; =>This Inner Loop Header: Depth=1
	buffer_load_dword v53, v51, s[0:3], 0 offen
	buffer_load_dword v54, v51, s[0:3], 0 offen offset:4
	ds_read_b64 v[55:56], v50
	v_add_u32_e32 v52, 1, v52
	v_cmp_lt_u32_e32 vcc, 3, v52
	v_add_u32_e32 v50, 8, v50
	s_or_b64 s[10:11], vcc, s[10:11]
	v_add_u32_e32 v51, 8, v51
	s_waitcnt vmcnt(0) lgkmcnt(0)
	v_fma_f64 v[45:46], v[53:54], v[55:56], v[45:46]
	s_andn2_b64 exec, exec, s[10:11]
	s_cbranch_execnz .LBB85_245
; %bb.246:
	s_or_b64 exec, exec, s[10:11]
.LBB85_247:
	s_or_b64 exec, exec, s[8:9]
	v_mov_b32_e32 v50, 0
	ds_read_b64 v[50:51], v50 offset:40
	s_waitcnt lgkmcnt(0)
	v_mul_f64 v[45:46], v[45:46], v[50:51]
	buffer_store_dword v46, off, s[0:3], 0 offset:44
	buffer_store_dword v45, off, s[0:3], 0 offset:40
.LBB85_248:
	;; [unrolled: 59-line block ×16, first 2 shown]
	s_or_b64 exec, exec, s[6:7]
	buffer_load_dword v45, off, s[0:3], 0 offset:160
	buffer_load_dword v46, off, s[0:3], 0 offset:164
	v_cmp_gt_u32_e64 s[6:7], 20, v0
	s_waitcnt vmcnt(0)
	ds_write_b64 v48, v[45:46]
	s_waitcnt lgkmcnt(0)
	; wave barrier
	s_and_saveexec_b64 s[8:9], s[6:7]
	s_cbranch_execz .LBB85_398
; %bb.389:
	s_and_b64 vcc, exec, s[4:5]
	s_cbranch_vccnz .LBB85_391
; %bb.390:
	buffer_load_dword v45, v49, s[0:3], 0 offen
	buffer_load_dword v46, v49, s[0:3], 0 offen offset:4
	ds_read_b64 v[50:51], v48
	s_waitcnt vmcnt(0) lgkmcnt(0)
	v_mul_f64 v[45:46], v[45:46], v[50:51]
	s_cbranch_execz .LBB85_392
	s_branch .LBB85_393
.LBB85_391:
                                        ; implicit-def: $vgpr45_vgpr46
.LBB85_392:
	ds_read_b64 v[45:46], v48
.LBB85_393:
	v_cmp_ne_u32_e32 vcc, 19, v0
	s_and_saveexec_b64 s[10:11], vcc
	s_cbranch_execz .LBB85_397
; %bb.394:
	s_mov_b32 s12, 0
	v_add_u32_e32 v50, 0xb8, v47
	v_add3_u32 v51, v47, s12, 8
	s_mov_b64 s[12:13], 0
	v_mov_b32_e32 v52, v0
.LBB85_395:                             ; =>This Inner Loop Header: Depth=1
	buffer_load_dword v53, v51, s[0:3], 0 offen
	buffer_load_dword v54, v51, s[0:3], 0 offen offset:4
	ds_read_b64 v[55:56], v50
	v_add_u32_e32 v52, 1, v52
	v_cmp_lt_u32_e32 vcc, 18, v52
	v_add_u32_e32 v50, 8, v50
	s_or_b64 s[12:13], vcc, s[12:13]
	v_add_u32_e32 v51, 8, v51
	s_waitcnt vmcnt(0) lgkmcnt(0)
	v_fma_f64 v[45:46], v[53:54], v[55:56], v[45:46]
	s_andn2_b64 exec, exec, s[12:13]
	s_cbranch_execnz .LBB85_395
; %bb.396:
	s_or_b64 exec, exec, s[12:13]
.LBB85_397:
	s_or_b64 exec, exec, s[10:11]
	v_mov_b32_e32 v50, 0
	ds_read_b64 v[50:51], v50 offset:160
	s_waitcnt lgkmcnt(0)
	v_mul_f64 v[45:46], v[45:46], v[50:51]
	buffer_store_dword v46, off, s[0:3], 0 offset:164
	buffer_store_dword v45, off, s[0:3], 0 offset:160
.LBB85_398:
	s_or_b64 exec, exec, s[8:9]
	buffer_load_dword v45, off, s[0:3], 0 offset:168
	buffer_load_dword v46, off, s[0:3], 0 offset:172
	v_cmp_ne_u32_e32 vcc, 21, v0
	s_waitcnt vmcnt(0)
	ds_write_b64 v48, v[45:46]
	s_waitcnt lgkmcnt(0)
	; wave barrier
	s_and_saveexec_b64 s[8:9], vcc
	s_cbranch_execz .LBB85_408
; %bb.399:
	s_and_b64 vcc, exec, s[4:5]
	s_cbranch_vccnz .LBB85_401
; %bb.400:
	buffer_load_dword v45, v49, s[0:3], 0 offen
	buffer_load_dword v46, v49, s[0:3], 0 offen offset:4
	ds_read_b64 v[49:50], v48
	s_waitcnt vmcnt(0) lgkmcnt(0)
	v_mul_f64 v[45:46], v[45:46], v[49:50]
	s_cbranch_execz .LBB85_402
	s_branch .LBB85_403
.LBB85_401:
                                        ; implicit-def: $vgpr45_vgpr46
.LBB85_402:
	ds_read_b64 v[45:46], v48
.LBB85_403:
	s_and_saveexec_b64 s[4:5], s[6:7]
	s_cbranch_execz .LBB85_407
; %bb.404:
	s_mov_b32 s6, 0
	v_add_u32_e32 v48, 0xb8, v47
	v_add3_u32 v47, v47, s6, 8
	s_mov_b64 s[6:7], 0
.LBB85_405:                             ; =>This Inner Loop Header: Depth=1
	buffer_load_dword v49, v47, s[0:3], 0 offen
	buffer_load_dword v50, v47, s[0:3], 0 offen offset:4
	ds_read_b64 v[51:52], v48
	v_add_u32_e32 v0, 1, v0
	v_cmp_lt_u32_e32 vcc, 19, v0
	v_add_u32_e32 v48, 8, v48
	s_or_b64 s[6:7], vcc, s[6:7]
	v_add_u32_e32 v47, 8, v47
	s_waitcnt vmcnt(0) lgkmcnt(0)
	v_fma_f64 v[45:46], v[49:50], v[51:52], v[45:46]
	s_andn2_b64 exec, exec, s[6:7]
	s_cbranch_execnz .LBB85_405
; %bb.406:
	s_or_b64 exec, exec, s[6:7]
.LBB85_407:
	s_or_b64 exec, exec, s[4:5]
	v_mov_b32_e32 v0, 0
	ds_read_b64 v[47:48], v0 offset:168
	s_waitcnt lgkmcnt(0)
	v_mul_f64 v[45:46], v[45:46], v[47:48]
	buffer_store_dword v46, off, s[0:3], 0 offset:172
	buffer_store_dword v45, off, s[0:3], 0 offset:168
.LBB85_408:
	s_or_b64 exec, exec, s[8:9]
.LBB85_409:
	buffer_load_dword v45, off, s[0:3], 0
	buffer_load_dword v46, off, s[0:3], 0 offset:4
	s_waitcnt vmcnt(0)
	flat_store_dwordx2 v[1:2], v[45:46]
	buffer_load_dword v0, off, s[0:3], 0 offset:8
	s_nop 0
	buffer_load_dword v1, off, s[0:3], 0 offset:12
	s_waitcnt vmcnt(0)
	flat_store_dwordx2 v[3:4], v[0:1]
	buffer_load_dword v0, off, s[0:3], 0 offset:16
	s_nop 0
	;; [unrolled: 5-line block ×21, first 2 shown]
	buffer_load_dword v1, off, s[0:3], 0 offset:172
	s_waitcnt vmcnt(0)
	flat_store_dwordx2 v[43:44], v[0:1]
.LBB85_410:
	s_endpgm
	.section	.rodata,"a",@progbits
	.p2align	6, 0x0
	.amdhsa_kernel _ZN9rocsolver6v33100L18trti2_kernel_smallILi22EdPKPdEEv13rocblas_fill_17rocblas_diagonal_T1_iil
		.amdhsa_group_segment_fixed_size 352
		.amdhsa_private_segment_fixed_size 192
		.amdhsa_kernarg_size 32
		.amdhsa_user_sgpr_count 6
		.amdhsa_user_sgpr_private_segment_buffer 1
		.amdhsa_user_sgpr_dispatch_ptr 0
		.amdhsa_user_sgpr_queue_ptr 0
		.amdhsa_user_sgpr_kernarg_segment_ptr 1
		.amdhsa_user_sgpr_dispatch_id 0
		.amdhsa_user_sgpr_flat_scratch_init 0
		.amdhsa_user_sgpr_private_segment_size 0
		.amdhsa_uses_dynamic_stack 0
		.amdhsa_system_sgpr_private_segment_wavefront_offset 1
		.amdhsa_system_sgpr_workgroup_id_x 1
		.amdhsa_system_sgpr_workgroup_id_y 0
		.amdhsa_system_sgpr_workgroup_id_z 0
		.amdhsa_system_sgpr_workgroup_info 0
		.amdhsa_system_vgpr_workitem_id 0
		.amdhsa_next_free_vgpr 58
		.amdhsa_next_free_sgpr 35
		.amdhsa_reserve_vcc 1
		.amdhsa_reserve_flat_scratch 0
		.amdhsa_float_round_mode_32 0
		.amdhsa_float_round_mode_16_64 0
		.amdhsa_float_denorm_mode_32 3
		.amdhsa_float_denorm_mode_16_64 3
		.amdhsa_dx10_clamp 1
		.amdhsa_ieee_mode 1
		.amdhsa_fp16_overflow 0
		.amdhsa_exception_fp_ieee_invalid_op 0
		.amdhsa_exception_fp_denorm_src 0
		.amdhsa_exception_fp_ieee_div_zero 0
		.amdhsa_exception_fp_ieee_overflow 0
		.amdhsa_exception_fp_ieee_underflow 0
		.amdhsa_exception_fp_ieee_inexact 0
		.amdhsa_exception_int_div_zero 0
	.end_amdhsa_kernel
	.section	.text._ZN9rocsolver6v33100L18trti2_kernel_smallILi22EdPKPdEEv13rocblas_fill_17rocblas_diagonal_T1_iil,"axG",@progbits,_ZN9rocsolver6v33100L18trti2_kernel_smallILi22EdPKPdEEv13rocblas_fill_17rocblas_diagonal_T1_iil,comdat
.Lfunc_end85:
	.size	_ZN9rocsolver6v33100L18trti2_kernel_smallILi22EdPKPdEEv13rocblas_fill_17rocblas_diagonal_T1_iil, .Lfunc_end85-_ZN9rocsolver6v33100L18trti2_kernel_smallILi22EdPKPdEEv13rocblas_fill_17rocblas_diagonal_T1_iil
                                        ; -- End function
	.set _ZN9rocsolver6v33100L18trti2_kernel_smallILi22EdPKPdEEv13rocblas_fill_17rocblas_diagonal_T1_iil.num_vgpr, 58
	.set _ZN9rocsolver6v33100L18trti2_kernel_smallILi22EdPKPdEEv13rocblas_fill_17rocblas_diagonal_T1_iil.num_agpr, 0
	.set _ZN9rocsolver6v33100L18trti2_kernel_smallILi22EdPKPdEEv13rocblas_fill_17rocblas_diagonal_T1_iil.numbered_sgpr, 35
	.set _ZN9rocsolver6v33100L18trti2_kernel_smallILi22EdPKPdEEv13rocblas_fill_17rocblas_diagonal_T1_iil.num_named_barrier, 0
	.set _ZN9rocsolver6v33100L18trti2_kernel_smallILi22EdPKPdEEv13rocblas_fill_17rocblas_diagonal_T1_iil.private_seg_size, 192
	.set _ZN9rocsolver6v33100L18trti2_kernel_smallILi22EdPKPdEEv13rocblas_fill_17rocblas_diagonal_T1_iil.uses_vcc, 1
	.set _ZN9rocsolver6v33100L18trti2_kernel_smallILi22EdPKPdEEv13rocblas_fill_17rocblas_diagonal_T1_iil.uses_flat_scratch, 0
	.set _ZN9rocsolver6v33100L18trti2_kernel_smallILi22EdPKPdEEv13rocblas_fill_17rocblas_diagonal_T1_iil.has_dyn_sized_stack, 0
	.set _ZN9rocsolver6v33100L18trti2_kernel_smallILi22EdPKPdEEv13rocblas_fill_17rocblas_diagonal_T1_iil.has_recursion, 0
	.set _ZN9rocsolver6v33100L18trti2_kernel_smallILi22EdPKPdEEv13rocblas_fill_17rocblas_diagonal_T1_iil.has_indirect_call, 0
	.section	.AMDGPU.csdata,"",@progbits
; Kernel info:
; codeLenInByte = 12724
; TotalNumSgprs: 39
; NumVgprs: 58
; ScratchSize: 192
; MemoryBound: 0
; FloatMode: 240
; IeeeMode: 1
; LDSByteSize: 352 bytes/workgroup (compile time only)
; SGPRBlocks: 4
; VGPRBlocks: 14
; NumSGPRsForWavesPerEU: 39
; NumVGPRsForWavesPerEU: 58
; Occupancy: 4
; WaveLimiterHint : 1
; COMPUTE_PGM_RSRC2:SCRATCH_EN: 1
; COMPUTE_PGM_RSRC2:USER_SGPR: 6
; COMPUTE_PGM_RSRC2:TRAP_HANDLER: 0
; COMPUTE_PGM_RSRC2:TGID_X_EN: 1
; COMPUTE_PGM_RSRC2:TGID_Y_EN: 0
; COMPUTE_PGM_RSRC2:TGID_Z_EN: 0
; COMPUTE_PGM_RSRC2:TIDIG_COMP_CNT: 0
	.section	.text._ZN9rocsolver6v33100L18trti2_kernel_smallILi23EdPKPdEEv13rocblas_fill_17rocblas_diagonal_T1_iil,"axG",@progbits,_ZN9rocsolver6v33100L18trti2_kernel_smallILi23EdPKPdEEv13rocblas_fill_17rocblas_diagonal_T1_iil,comdat
	.globl	_ZN9rocsolver6v33100L18trti2_kernel_smallILi23EdPKPdEEv13rocblas_fill_17rocblas_diagonal_T1_iil ; -- Begin function _ZN9rocsolver6v33100L18trti2_kernel_smallILi23EdPKPdEEv13rocblas_fill_17rocblas_diagonal_T1_iil
	.p2align	8
	.type	_ZN9rocsolver6v33100L18trti2_kernel_smallILi23EdPKPdEEv13rocblas_fill_17rocblas_diagonal_T1_iil,@function
_ZN9rocsolver6v33100L18trti2_kernel_smallILi23EdPKPdEEv13rocblas_fill_17rocblas_diagonal_T1_iil: ; @_ZN9rocsolver6v33100L18trti2_kernel_smallILi23EdPKPdEEv13rocblas_fill_17rocblas_diagonal_T1_iil
; %bb.0:
	s_add_u32 s0, s0, s7
	s_addc_u32 s1, s1, 0
	v_cmp_gt_u32_e32 vcc, 23, v0
	s_and_saveexec_b64 s[8:9], vcc
	s_cbranch_execz .LBB86_430
; %bb.1:
	s_load_dwordx2 s[12:13], s[4:5], 0x10
	s_load_dwordx4 s[8:11], s[4:5], 0x0
	s_ashr_i32 s7, s6, 31
	s_lshl_b64 s[6:7], s[6:7], 3
	v_lshlrev_b32_e32 v49, 3, v0
	s_waitcnt lgkmcnt(0)
	s_ashr_i32 s5, s12, 31
	s_add_u32 s6, s10, s6
	s_addc_u32 s7, s11, s7
	s_load_dwordx2 s[6:7], s[6:7], 0x0
	s_mov_b32 s4, s12
	s_lshl_b64 s[4:5], s[4:5], 3
	s_waitcnt lgkmcnt(0)
	s_add_u32 s4, s6, s4
	s_addc_u32 s5, s7, s5
	v_mov_b32_e32 v2, s5
	v_add_co_u32_e32 v1, vcc, s4, v49
	v_addc_co_u32_e32 v2, vcc, 0, v2, vcc
	flat_load_dwordx2 v[5:6], v[1:2]
	s_mov_b32 s6, s13
	s_ashr_i32 s7, s13, 31
	s_lshl_b64 s[6:7], s[6:7], 3
	v_mov_b32_e32 v4, s7
	v_add_co_u32_e32 v3, vcc, s6, v1
	v_addc_co_u32_e32 v4, vcc, v2, v4, vcc
	s_add_i32 s6, s13, s13
	v_add_u32_e32 v9, s6, v0
	v_ashrrev_i32_e32 v10, 31, v9
	v_mov_b32_e32 v11, s5
	v_add_u32_e32 v12, s13, v9
	v_ashrrev_i32_e32 v13, 31, v12
	v_mov_b32_e32 v14, s5
	v_mov_b32_e32 v15, s5
	;; [unrolled: 1-line block ×19, first 2 shown]
	s_cmpk_lg_i32 s9, 0x84
	s_cselect_b64 s[10:11], -1, 0
	s_cmpk_eq_i32 s9, 0x84
	s_waitcnt vmcnt(0) lgkmcnt(0)
	buffer_store_dword v6, off, s[0:3], 0 offset:4
	buffer_store_dword v5, off, s[0:3], 0
	flat_load_dwordx2 v[7:8], v[3:4]
	v_lshlrev_b64 v[5:6], 3, v[9:10]
	s_waitcnt vmcnt(0) lgkmcnt(0)
	buffer_store_dword v8, off, s[0:3], 0 offset:12
	buffer_store_dword v7, off, s[0:3], 0 offset:8
	v_add_co_u32_e32 v5, vcc, s4, v5
	v_addc_co_u32_e32 v6, vcc, v11, v6, vcc
	flat_load_dwordx2 v[10:11], v[5:6]
	v_lshlrev_b64 v[7:8], 3, v[12:13]
	s_waitcnt vmcnt(0) lgkmcnt(0)
	buffer_store_dword v11, off, s[0:3], 0 offset:20
	buffer_store_dword v10, off, s[0:3], 0 offset:16
	v_add_co_u32_e32 v7, vcc, s4, v7
	v_addc_co_u32_e32 v8, vcc, v14, v8, vcc
	flat_load_dwordx2 v[13:14], v[7:8]
	v_add_u32_e32 v11, s13, v12
	v_ashrrev_i32_e32 v12, 31, v11
	v_lshlrev_b64 v[9:10], 3, v[11:12]
	s_waitcnt vmcnt(0) lgkmcnt(0)
	buffer_store_dword v14, off, s[0:3], 0 offset:28
	buffer_store_dword v13, off, s[0:3], 0 offset:24
	v_add_co_u32_e32 v9, vcc, s4, v9
	v_addc_co_u32_e32 v10, vcc, v15, v10, vcc
	flat_load_dwordx2 v[13:14], v[9:10]
	v_add_u32_e32 v15, s13, v11
	v_ashrrev_i32_e32 v16, 31, v15
	v_lshlrev_b64 v[11:12], 3, v[15:16]
	v_add_u32_e32 v18, s13, v15
	v_add_co_u32_e32 v11, vcc, s4, v11
	v_addc_co_u32_e32 v12, vcc, v17, v12, vcc
	v_ashrrev_i32_e32 v19, 31, v18
	s_waitcnt vmcnt(0) lgkmcnt(0)
	buffer_store_dword v14, off, s[0:3], 0 offset:36
	buffer_store_dword v13, off, s[0:3], 0 offset:32
	flat_load_dwordx2 v[16:17], v[11:12]
	v_lshlrev_b64 v[13:14], 3, v[18:19]
	s_waitcnt vmcnt(0) lgkmcnt(0)
	buffer_store_dword v17, off, s[0:3], 0 offset:44
	buffer_store_dword v16, off, s[0:3], 0 offset:40
	v_add_co_u32_e32 v13, vcc, s4, v13
	v_addc_co_u32_e32 v14, vcc, v20, v14, vcc
	flat_load_dwordx2 v[19:20], v[13:14]
	v_add_u32_e32 v17, s13, v18
	v_ashrrev_i32_e32 v18, 31, v17
	v_lshlrev_b64 v[15:16], 3, v[17:18]
	s_waitcnt vmcnt(0) lgkmcnt(0)
	buffer_store_dword v20, off, s[0:3], 0 offset:52
	buffer_store_dword v19, off, s[0:3], 0 offset:48
	v_add_co_u32_e32 v15, vcc, s4, v15
	v_addc_co_u32_e32 v16, vcc, v21, v16, vcc
	flat_load_dwordx2 v[19:20], v[15:16]
	v_add_u32_e32 v21, s13, v17
	v_ashrrev_i32_e32 v22, 31, v21
	v_lshlrev_b64 v[17:18], 3, v[21:22]
	v_add_u32_e32 v24, s13, v21
	v_add_co_u32_e32 v17, vcc, s4, v17
	v_addc_co_u32_e32 v18, vcc, v23, v18, vcc
	v_ashrrev_i32_e32 v25, 31, v24
	s_waitcnt vmcnt(0) lgkmcnt(0)
	buffer_store_dword v20, off, s[0:3], 0 offset:60
	buffer_store_dword v19, off, s[0:3], 0 offset:56
	;; [unrolled: 27-line block ×5, first 2 shown]
	flat_load_dwordx2 v[40:41], v[35:36]
	v_lshlrev_b64 v[37:38], 3, v[42:43]
	s_waitcnt vmcnt(0) lgkmcnt(0)
	buffer_store_dword v41, off, s[0:3], 0 offset:140
	buffer_store_dword v40, off, s[0:3], 0 offset:136
	v_add_co_u32_e32 v37, vcc, s4, v37
	v_addc_co_u32_e32 v38, vcc, v44, v38, vcc
	flat_load_dwordx2 v[43:44], v[37:38]
	v_add_u32_e32 v41, s13, v42
	v_ashrrev_i32_e32 v42, 31, v41
	v_lshlrev_b64 v[39:40], 3, v[41:42]
	s_waitcnt vmcnt(0) lgkmcnt(0)
	buffer_store_dword v44, off, s[0:3], 0 offset:148
	buffer_store_dword v43, off, s[0:3], 0 offset:144
	v_add_co_u32_e32 v39, vcc, s4, v39
	v_addc_co_u32_e32 v40, vcc, v45, v40, vcc
	flat_load_dwordx2 v[43:44], v[39:40]
	v_add_u32_e32 v45, s13, v41
	v_ashrrev_i32_e32 v46, 31, v45
	v_lshlrev_b64 v[41:42], 3, v[45:46]
	v_add_u32_e32 v50, s13, v45
	v_add_co_u32_e32 v41, vcc, s4, v41
	v_addc_co_u32_e32 v42, vcc, v47, v42, vcc
	v_ashrrev_i32_e32 v51, 31, v50
	v_add_u32_e32 v45, s13, v50
	s_waitcnt vmcnt(0) lgkmcnt(0)
	buffer_store_dword v44, off, s[0:3], 0 offset:156
	buffer_store_dword v43, off, s[0:3], 0 offset:152
	flat_load_dwordx2 v[46:47], v[41:42]
	v_lshlrev_b64 v[43:44], 3, v[50:51]
	v_mov_b32_e32 v51, s5
	v_add_co_u32_e32 v43, vcc, s4, v43
	v_addc_co_u32_e32 v44, vcc, v48, v44, vcc
	s_waitcnt vmcnt(0) lgkmcnt(0)
	buffer_store_dword v47, off, s[0:3], 0 offset:164
	buffer_store_dword v46, off, s[0:3], 0 offset:160
	flat_load_dwordx2 v[47:48], v[43:44]
	v_ashrrev_i32_e32 v46, 31, v45
	v_lshlrev_b64 v[45:46], 3, v[45:46]
	s_waitcnt vmcnt(0) lgkmcnt(0)
	buffer_store_dword v48, off, s[0:3], 0 offset:172
	buffer_store_dword v47, off, s[0:3], 0 offset:168
	v_add_co_u32_e32 v45, vcc, s4, v45
	v_addc_co_u32_e32 v46, vcc, v51, v46, vcc
	flat_load_dwordx2 v[50:51], v[45:46]
	v_mov_b32_e32 v47, 0
	v_mov_b32_e32 v48, 0xbff00000
	s_waitcnt vmcnt(0) lgkmcnt(0)
	buffer_store_dword v51, off, s[0:3], 0 offset:180
	buffer_store_dword v50, off, s[0:3], 0 offset:176
	s_cbranch_scc1 .LBB86_3
; %bb.2:
	v_mov_b32_e32 v47, 0
	v_lshl_add_u32 v58, v0, 3, v47
	buffer_load_dword v47, v58, s[0:3], 0 offen
	buffer_load_dword v48, v58, s[0:3], 0 offen offset:4
	s_waitcnt vmcnt(0)
	v_div_scale_f64 v[50:51], s[4:5], v[47:48], v[47:48], 1.0
	v_rcp_f64_e32 v[52:53], v[50:51]
	v_fma_f64 v[54:55], -v[50:51], v[52:53], 1.0
	v_fma_f64 v[52:53], v[52:53], v[54:55], v[52:53]
	v_div_scale_f64 v[54:55], vcc, 1.0, v[47:48], 1.0
	v_fma_f64 v[56:57], -v[50:51], v[52:53], 1.0
	v_fma_f64 v[52:53], v[52:53], v[56:57], v[52:53]
	v_mul_f64 v[56:57], v[54:55], v[52:53]
	v_fma_f64 v[50:51], -v[50:51], v[56:57], v[54:55]
	v_div_fmas_f64 v[50:51], v[50:51], v[52:53], v[56:57]
	v_div_fixup_f64 v[47:48], v[50:51], v[47:48], 1.0
	buffer_store_dword v47, v58, s[0:3], 0 offen
	buffer_store_dword v48, v58, s[0:3], 0 offen offset:4
	v_xor_b32_e32 v48, 0x80000000, v48
.LBB86_3:
	s_cmpk_eq_i32 s8, 0x79
	v_add_u32_e32 v50, 0xc0, v49
	v_mov_b32_e32 v51, v49
	s_mov_b64 s[4:5], -1
	ds_write_b64 v49, v[47:48]
	s_cbranch_scc1 .LBB86_217
; %bb.4:
	buffer_load_dword v47, off, s[0:3], 0 offset:168
	buffer_load_dword v48, off, s[0:3], 0 offset:172
	s_movk_i32 s12, 0x48
	s_movk_i32 s13, 0x50
	;; [unrolled: 1-line block ×12, first 2 shown]
	v_cmp_eq_u32_e64 s[4:5], 22, v0
	s_waitcnt vmcnt(0)
	ds_write_b64 v50, v[47:48]
	s_waitcnt lgkmcnt(0)
	; wave barrier
	s_and_saveexec_b64 s[6:7], s[4:5]
	s_cbranch_execz .LBB86_10
; %bb.5:
	s_and_b64 vcc, exec, s[10:11]
	s_cbranch_vccz .LBB86_7
; %bb.6:
	buffer_load_dword v47, v51, s[0:3], 0 offen
	buffer_load_dword v48, v51, s[0:3], 0 offen offset:4
	ds_read_b64 v[52:53], v50
	s_waitcnt vmcnt(0) lgkmcnt(0)
	v_mul_f64 v[47:48], v[47:48], v[52:53]
	s_cbranch_execz .LBB86_8
	s_branch .LBB86_9
.LBB86_7:
                                        ; implicit-def: $vgpr47_vgpr48
.LBB86_8:
	ds_read_b64 v[47:48], v50
.LBB86_9:
	v_mov_b32_e32 v52, 0
	ds_read_b64 v[52:53], v52 offset:168
	s_waitcnt lgkmcnt(0)
	v_mul_f64 v[47:48], v[47:48], v[52:53]
	buffer_store_dword v48, off, s[0:3], 0 offset:172
	buffer_store_dword v47, off, s[0:3], 0 offset:168
.LBB86_10:
	s_or_b64 exec, exec, s[6:7]
	buffer_load_dword v47, off, s[0:3], 0 offset:160
	buffer_load_dword v48, off, s[0:3], 0 offset:164
	s_or_b32 s14, 0, 8
	s_mov_b32 s15, 16
	s_mov_b32 s16, 24
	s_mov_b32 s17, 32
	s_mov_b32 s18, 40
	s_mov_b32 s19, 48
	s_mov_b32 s20, 56
	s_mov_b32 s21, 64
	s_mov_b32 s22, s12
	s_mov_b32 s23, s13
	v_cmp_lt_u32_e64 s[6:7], 20, v0
	s_waitcnt vmcnt(0)
	ds_write_b64 v50, v[47:48]
	s_waitcnt lgkmcnt(0)
	; wave barrier
	s_and_saveexec_b64 s[8:9], s[6:7]
	s_cbranch_execz .LBB86_16
; %bb.11:
	s_andn2_b64 vcc, exec, s[10:11]
	s_cbranch_vccnz .LBB86_13
; %bb.12:
	buffer_load_dword v47, v51, s[0:3], 0 offen
	buffer_load_dword v48, v51, s[0:3], 0 offen offset:4
	ds_read_b64 v[52:53], v50
	s_waitcnt vmcnt(0) lgkmcnt(0)
	v_mul_f64 v[47:48], v[47:48], v[52:53]
	s_cbranch_execz .LBB86_14
	s_branch .LBB86_15
.LBB86_13:
                                        ; implicit-def: $vgpr47_vgpr48
.LBB86_14:
	ds_read_b64 v[47:48], v50
.LBB86_15:
	buffer_load_dword v56, off, s[0:3], 0 offset:168
	buffer_load_dword v57, off, s[0:3], 0 offset:172
	v_mov_b32_e32 v52, 0
	ds_read2_b64 v[52:55], v52 offset0:20 offset1:45
	s_waitcnt vmcnt(0) lgkmcnt(0)
	v_fma_f64 v[54:55], v[56:57], v[54:55], v[47:48]
	v_cndmask_b32_e64 v48, v48, v55, s[4:5]
	v_cndmask_b32_e64 v47, v47, v54, s[4:5]
	v_mul_f64 v[47:48], v[47:48], v[52:53]
	buffer_store_dword v48, off, s[0:3], 0 offset:164
	buffer_store_dword v47, off, s[0:3], 0 offset:160
.LBB86_16:
	s_or_b64 exec, exec, s[8:9]
	buffer_load_dword v47, off, s[0:3], 0 offset:152
	buffer_load_dword v48, off, s[0:3], 0 offset:156
	v_cmp_lt_u32_e64 s[4:5], 19, v0
	s_waitcnt vmcnt(0)
	ds_write_b64 v50, v[47:48]
	s_waitcnt lgkmcnt(0)
	; wave barrier
	s_and_saveexec_b64 s[8:9], s[4:5]
	s_cbranch_execz .LBB86_26
; %bb.17:
	s_andn2_b64 vcc, exec, s[10:11]
	s_cbranch_vccnz .LBB86_19
; %bb.18:
	buffer_load_dword v47, v51, s[0:3], 0 offen
	buffer_load_dword v48, v51, s[0:3], 0 offen offset:4
	ds_read_b64 v[52:53], v50
	s_waitcnt vmcnt(0) lgkmcnt(0)
	v_mul_f64 v[47:48], v[47:48], v[52:53]
	s_cbranch_execz .LBB86_20
	s_branch .LBB86_21
.LBB86_19:
                                        ; implicit-def: $vgpr47_vgpr48
.LBB86_20:
	ds_read_b64 v[47:48], v50
.LBB86_21:
	s_and_saveexec_b64 s[12:13], s[6:7]
	s_cbranch_execz .LBB86_25
; %bb.22:
	v_subrev_u32_e32 v52, 20, v0
	s_movk_i32 s35, 0x160
	s_mov_b64 s[6:7], 0
.LBB86_23:                              ; =>This Inner Loop Header: Depth=1
	v_mov_b32_e32 v55, s34
	buffer_load_dword v53, v55, s[0:3], 0 offen
	buffer_load_dword v54, v55, s[0:3], 0 offen offset:4
	v_mov_b32_e32 v55, s35
	ds_read_b64 v[55:56], v55
	v_add_u32_e32 v52, -1, v52
	s_add_i32 s35, s35, 8
	s_add_i32 s34, s34, 8
	v_cmp_eq_u32_e32 vcc, 0, v52
	s_or_b64 s[6:7], vcc, s[6:7]
	s_waitcnt vmcnt(0) lgkmcnt(0)
	v_fma_f64 v[47:48], v[53:54], v[55:56], v[47:48]
	s_andn2_b64 exec, exec, s[6:7]
	s_cbranch_execnz .LBB86_23
; %bb.24:
	s_or_b64 exec, exec, s[6:7]
.LBB86_25:
	s_or_b64 exec, exec, s[12:13]
	v_mov_b32_e32 v52, 0
	ds_read_b64 v[52:53], v52 offset:152
	s_waitcnt lgkmcnt(0)
	v_mul_f64 v[47:48], v[47:48], v[52:53]
	buffer_store_dword v48, off, s[0:3], 0 offset:156
	buffer_store_dword v47, off, s[0:3], 0 offset:152
.LBB86_26:
	s_or_b64 exec, exec, s[8:9]
	buffer_load_dword v47, off, s[0:3], 0 offset:144
	buffer_load_dword v48, off, s[0:3], 0 offset:148
	v_cmp_lt_u32_e64 s[6:7], 18, v0
	s_waitcnt vmcnt(0)
	ds_write_b64 v50, v[47:48]
	s_waitcnt lgkmcnt(0)
	; wave barrier
	s_and_saveexec_b64 s[8:9], s[6:7]
	s_cbranch_execz .LBB86_36
; %bb.27:
	s_andn2_b64 vcc, exec, s[10:11]
	s_cbranch_vccnz .LBB86_29
; %bb.28:
	buffer_load_dword v47, v51, s[0:3], 0 offen
	buffer_load_dword v48, v51, s[0:3], 0 offen offset:4
	ds_read_b64 v[52:53], v50
	s_waitcnt vmcnt(0) lgkmcnt(0)
	v_mul_f64 v[47:48], v[47:48], v[52:53]
	s_cbranch_execz .LBB86_30
	s_branch .LBB86_31
.LBB86_29:
                                        ; implicit-def: $vgpr47_vgpr48
.LBB86_30:
	ds_read_b64 v[47:48], v50
.LBB86_31:
	s_and_saveexec_b64 s[12:13], s[4:5]
	s_cbranch_execz .LBB86_35
; %bb.32:
	v_subrev_u32_e32 v52, 19, v0
	s_movk_i32 s34, 0x158
	s_mov_b64 s[4:5], 0
.LBB86_33:                              ; =>This Inner Loop Header: Depth=1
	v_mov_b32_e32 v55, s33
	buffer_load_dword v53, v55, s[0:3], 0 offen
	buffer_load_dword v54, v55, s[0:3], 0 offen offset:4
	v_mov_b32_e32 v55, s34
	ds_read_b64 v[55:56], v55
	v_add_u32_e32 v52, -1, v52
	s_add_i32 s34, s34, 8
	s_add_i32 s33, s33, 8
	v_cmp_eq_u32_e32 vcc, 0, v52
	s_or_b64 s[4:5], vcc, s[4:5]
	s_waitcnt vmcnt(0) lgkmcnt(0)
	v_fma_f64 v[47:48], v[53:54], v[55:56], v[47:48]
	s_andn2_b64 exec, exec, s[4:5]
	s_cbranch_execnz .LBB86_33
; %bb.34:
	s_or_b64 exec, exec, s[4:5]
.LBB86_35:
	s_or_b64 exec, exec, s[12:13]
	v_mov_b32_e32 v52, 0
	ds_read_b64 v[52:53], v52 offset:144
	s_waitcnt lgkmcnt(0)
	v_mul_f64 v[47:48], v[47:48], v[52:53]
	buffer_store_dword v48, off, s[0:3], 0 offset:148
	buffer_store_dword v47, off, s[0:3], 0 offset:144
.LBB86_36:
	;; [unrolled: 58-line block ×4, first 2 shown]
	s_or_b64 exec, exec, s[8:9]
	buffer_load_dword v47, off, s[0:3], 0 offset:120
	buffer_load_dword v48, off, s[0:3], 0 offset:124
	v_cmp_lt_u32_e64 s[4:5], 15, v0
	s_waitcnt vmcnt(0)
	ds_write_b64 v50, v[47:48]
	s_waitcnt lgkmcnt(0)
	; wave barrier
	s_and_saveexec_b64 s[8:9], s[4:5]
	s_cbranch_execz .LBB86_66
; %bb.57:
	s_andn2_b64 vcc, exec, s[10:11]
	s_cbranch_vccnz .LBB86_59
; %bb.58:
	buffer_load_dword v47, v51, s[0:3], 0 offen
	buffer_load_dword v48, v51, s[0:3], 0 offen offset:4
	ds_read_b64 v[52:53], v50
	s_waitcnt vmcnt(0) lgkmcnt(0)
	v_mul_f64 v[47:48], v[47:48], v[52:53]
	s_cbranch_execz .LBB86_60
	s_branch .LBB86_61
.LBB86_59:
                                        ; implicit-def: $vgpr47_vgpr48
.LBB86_60:
	ds_read_b64 v[47:48], v50
.LBB86_61:
	s_and_saveexec_b64 s[12:13], s[6:7]
	s_cbranch_execz .LBB86_65
; %bb.62:
	v_add_u32_e32 v52, -16, v0
	s_movk_i32 s30, 0x140
	s_mov_b64 s[6:7], 0
.LBB86_63:                              ; =>This Inner Loop Header: Depth=1
	v_mov_b32_e32 v55, s29
	buffer_load_dword v53, v55, s[0:3], 0 offen
	buffer_load_dword v54, v55, s[0:3], 0 offen offset:4
	v_mov_b32_e32 v55, s30
	ds_read_b64 v[55:56], v55
	v_add_u32_e32 v52, -1, v52
	s_add_i32 s30, s30, 8
	s_add_i32 s29, s29, 8
	v_cmp_eq_u32_e32 vcc, 0, v52
	s_or_b64 s[6:7], vcc, s[6:7]
	s_waitcnt vmcnt(0) lgkmcnt(0)
	v_fma_f64 v[47:48], v[53:54], v[55:56], v[47:48]
	s_andn2_b64 exec, exec, s[6:7]
	s_cbranch_execnz .LBB86_63
; %bb.64:
	s_or_b64 exec, exec, s[6:7]
.LBB86_65:
	s_or_b64 exec, exec, s[12:13]
	v_mov_b32_e32 v52, 0
	ds_read_b64 v[52:53], v52 offset:120
	s_waitcnt lgkmcnt(0)
	v_mul_f64 v[47:48], v[47:48], v[52:53]
	buffer_store_dword v48, off, s[0:3], 0 offset:124
	buffer_store_dword v47, off, s[0:3], 0 offset:120
.LBB86_66:
	s_or_b64 exec, exec, s[8:9]
	buffer_load_dword v47, off, s[0:3], 0 offset:112
	buffer_load_dword v48, off, s[0:3], 0 offset:116
	v_cmp_lt_u32_e64 s[6:7], 14, v0
	s_waitcnt vmcnt(0)
	ds_write_b64 v50, v[47:48]
	s_waitcnt lgkmcnt(0)
	; wave barrier
	s_and_saveexec_b64 s[8:9], s[6:7]
	s_cbranch_execz .LBB86_76
; %bb.67:
	s_andn2_b64 vcc, exec, s[10:11]
	s_cbranch_vccnz .LBB86_69
; %bb.68:
	buffer_load_dword v47, v51, s[0:3], 0 offen
	buffer_load_dword v48, v51, s[0:3], 0 offen offset:4
	ds_read_b64 v[52:53], v50
	s_waitcnt vmcnt(0) lgkmcnt(0)
	v_mul_f64 v[47:48], v[47:48], v[52:53]
	s_cbranch_execz .LBB86_70
	s_branch .LBB86_71
.LBB86_69:
                                        ; implicit-def: $vgpr47_vgpr48
.LBB86_70:
	ds_read_b64 v[47:48], v50
.LBB86_71:
	s_and_saveexec_b64 s[12:13], s[4:5]
	s_cbranch_execz .LBB86_75
; %bb.72:
	v_add_u32_e32 v52, -15, v0
	s_movk_i32 s29, 0x138
	s_mov_b64 s[4:5], 0
.LBB86_73:                              ; =>This Inner Loop Header: Depth=1
	v_mov_b32_e32 v55, s28
	buffer_load_dword v53, v55, s[0:3], 0 offen
	buffer_load_dword v54, v55, s[0:3], 0 offen offset:4
	v_mov_b32_e32 v55, s29
	ds_read_b64 v[55:56], v55
	v_add_u32_e32 v52, -1, v52
	s_add_i32 s29, s29, 8
	s_add_i32 s28, s28, 8
	v_cmp_eq_u32_e32 vcc, 0, v52
	s_or_b64 s[4:5], vcc, s[4:5]
	s_waitcnt vmcnt(0) lgkmcnt(0)
	v_fma_f64 v[47:48], v[53:54], v[55:56], v[47:48]
	s_andn2_b64 exec, exec, s[4:5]
	s_cbranch_execnz .LBB86_73
; %bb.74:
	s_or_b64 exec, exec, s[4:5]
.LBB86_75:
	s_or_b64 exec, exec, s[12:13]
	v_mov_b32_e32 v52, 0
	ds_read_b64 v[52:53], v52 offset:112
	s_waitcnt lgkmcnt(0)
	v_mul_f64 v[47:48], v[47:48], v[52:53]
	buffer_store_dword v48, off, s[0:3], 0 offset:116
	buffer_store_dword v47, off, s[0:3], 0 offset:112
.LBB86_76:
	s_or_b64 exec, exec, s[8:9]
	buffer_load_dword v47, off, s[0:3], 0 offset:104
	buffer_load_dword v48, off, s[0:3], 0 offset:108
	v_cmp_lt_u32_e64 s[4:5], 13, v0
	s_waitcnt vmcnt(0)
	ds_write_b64 v50, v[47:48]
	s_waitcnt lgkmcnt(0)
	; wave barrier
	s_and_saveexec_b64 s[8:9], s[4:5]
	s_cbranch_execz .LBB86_86
; %bb.77:
	s_andn2_b64 vcc, exec, s[10:11]
	s_cbranch_vccnz .LBB86_79
; %bb.78:
	buffer_load_dword v47, v51, s[0:3], 0 offen
	buffer_load_dword v48, v51, s[0:3], 0 offen offset:4
	ds_read_b64 v[52:53], v50
	s_waitcnt vmcnt(0) lgkmcnt(0)
	v_mul_f64 v[47:48], v[47:48], v[52:53]
	s_cbranch_execz .LBB86_80
	s_branch .LBB86_81
.LBB86_79:
                                        ; implicit-def: $vgpr47_vgpr48
.LBB86_80:
	ds_read_b64 v[47:48], v50
.LBB86_81:
	s_and_saveexec_b64 s[12:13], s[6:7]
	s_cbranch_execz .LBB86_85
; %bb.82:
	v_add_u32_e32 v52, -14, v0
	s_movk_i32 s28, 0x130
	s_mov_b64 s[6:7], 0
.LBB86_83:                              ; =>This Inner Loop Header: Depth=1
	v_mov_b32_e32 v55, s27
	buffer_load_dword v53, v55, s[0:3], 0 offen
	buffer_load_dword v54, v55, s[0:3], 0 offen offset:4
	v_mov_b32_e32 v55, s28
	ds_read_b64 v[55:56], v55
	v_add_u32_e32 v52, -1, v52
	s_add_i32 s28, s28, 8
	s_add_i32 s27, s27, 8
	v_cmp_eq_u32_e32 vcc, 0, v52
	s_or_b64 s[6:7], vcc, s[6:7]
	s_waitcnt vmcnt(0) lgkmcnt(0)
	v_fma_f64 v[47:48], v[53:54], v[55:56], v[47:48]
	s_andn2_b64 exec, exec, s[6:7]
	s_cbranch_execnz .LBB86_83
; %bb.84:
	s_or_b64 exec, exec, s[6:7]
.LBB86_85:
	s_or_b64 exec, exec, s[12:13]
	v_mov_b32_e32 v52, 0
	ds_read_b64 v[52:53], v52 offset:104
	s_waitcnt lgkmcnt(0)
	v_mul_f64 v[47:48], v[47:48], v[52:53]
	buffer_store_dword v48, off, s[0:3], 0 offset:108
	buffer_store_dword v47, off, s[0:3], 0 offset:104
.LBB86_86:
	s_or_b64 exec, exec, s[8:9]
	buffer_load_dword v47, off, s[0:3], 0 offset:96
	buffer_load_dword v48, off, s[0:3], 0 offset:100
	v_cmp_lt_u32_e64 s[6:7], 12, v0
	s_waitcnt vmcnt(0)
	ds_write_b64 v50, v[47:48]
	s_waitcnt lgkmcnt(0)
	; wave barrier
	s_and_saveexec_b64 s[8:9], s[6:7]
	s_cbranch_execz .LBB86_96
; %bb.87:
	s_andn2_b64 vcc, exec, s[10:11]
	s_cbranch_vccnz .LBB86_89
; %bb.88:
	buffer_load_dword v47, v51, s[0:3], 0 offen
	buffer_load_dword v48, v51, s[0:3], 0 offen offset:4
	ds_read_b64 v[52:53], v50
	s_waitcnt vmcnt(0) lgkmcnt(0)
	v_mul_f64 v[47:48], v[47:48], v[52:53]
	s_cbranch_execz .LBB86_90
	s_branch .LBB86_91
.LBB86_89:
                                        ; implicit-def: $vgpr47_vgpr48
.LBB86_90:
	ds_read_b64 v[47:48], v50
.LBB86_91:
	s_and_saveexec_b64 s[12:13], s[4:5]
	s_cbranch_execz .LBB86_95
; %bb.92:
	v_add_u32_e32 v52, -13, v0
	s_movk_i32 s27, 0x128
	s_mov_b64 s[4:5], 0
.LBB86_93:                              ; =>This Inner Loop Header: Depth=1
	v_mov_b32_e32 v55, s26
	buffer_load_dword v53, v55, s[0:3], 0 offen
	buffer_load_dword v54, v55, s[0:3], 0 offen offset:4
	v_mov_b32_e32 v55, s27
	ds_read_b64 v[55:56], v55
	v_add_u32_e32 v52, -1, v52
	s_add_i32 s27, s27, 8
	s_add_i32 s26, s26, 8
	v_cmp_eq_u32_e32 vcc, 0, v52
	s_or_b64 s[4:5], vcc, s[4:5]
	s_waitcnt vmcnt(0) lgkmcnt(0)
	v_fma_f64 v[47:48], v[53:54], v[55:56], v[47:48]
	s_andn2_b64 exec, exec, s[4:5]
	s_cbranch_execnz .LBB86_93
; %bb.94:
	s_or_b64 exec, exec, s[4:5]
.LBB86_95:
	s_or_b64 exec, exec, s[12:13]
	v_mov_b32_e32 v52, 0
	ds_read_b64 v[52:53], v52 offset:96
	s_waitcnt lgkmcnt(0)
	v_mul_f64 v[47:48], v[47:48], v[52:53]
	buffer_store_dword v48, off, s[0:3], 0 offset:100
	buffer_store_dword v47, off, s[0:3], 0 offset:96
.LBB86_96:
	s_or_b64 exec, exec, s[8:9]
	buffer_load_dword v47, off, s[0:3], 0 offset:88
	buffer_load_dword v48, off, s[0:3], 0 offset:92
	v_cmp_lt_u32_e64 s[4:5], 11, v0
	s_waitcnt vmcnt(0)
	ds_write_b64 v50, v[47:48]
	s_waitcnt lgkmcnt(0)
	; wave barrier
	s_and_saveexec_b64 s[8:9], s[4:5]
	s_cbranch_execz .LBB86_106
; %bb.97:
	s_andn2_b64 vcc, exec, s[10:11]
	s_cbranch_vccnz .LBB86_99
; %bb.98:
	buffer_load_dword v47, v51, s[0:3], 0 offen
	buffer_load_dword v48, v51, s[0:3], 0 offen offset:4
	ds_read_b64 v[52:53], v50
	s_waitcnt vmcnt(0) lgkmcnt(0)
	v_mul_f64 v[47:48], v[47:48], v[52:53]
	s_cbranch_execz .LBB86_100
	s_branch .LBB86_101
.LBB86_99:
                                        ; implicit-def: $vgpr47_vgpr48
.LBB86_100:
	ds_read_b64 v[47:48], v50
.LBB86_101:
	s_and_saveexec_b64 s[12:13], s[6:7]
	s_cbranch_execz .LBB86_105
; %bb.102:
	v_add_u32_e32 v52, -12, v0
	s_movk_i32 s26, 0x120
	s_mov_b64 s[6:7], 0
.LBB86_103:                             ; =>This Inner Loop Header: Depth=1
	v_mov_b32_e32 v55, s25
	buffer_load_dword v53, v55, s[0:3], 0 offen
	buffer_load_dword v54, v55, s[0:3], 0 offen offset:4
	v_mov_b32_e32 v55, s26
	ds_read_b64 v[55:56], v55
	v_add_u32_e32 v52, -1, v52
	s_add_i32 s26, s26, 8
	s_add_i32 s25, s25, 8
	v_cmp_eq_u32_e32 vcc, 0, v52
	s_or_b64 s[6:7], vcc, s[6:7]
	s_waitcnt vmcnt(0) lgkmcnt(0)
	v_fma_f64 v[47:48], v[53:54], v[55:56], v[47:48]
	s_andn2_b64 exec, exec, s[6:7]
	s_cbranch_execnz .LBB86_103
; %bb.104:
	s_or_b64 exec, exec, s[6:7]
.LBB86_105:
	s_or_b64 exec, exec, s[12:13]
	v_mov_b32_e32 v52, 0
	ds_read_b64 v[52:53], v52 offset:88
	s_waitcnt lgkmcnt(0)
	v_mul_f64 v[47:48], v[47:48], v[52:53]
	buffer_store_dword v48, off, s[0:3], 0 offset:92
	buffer_store_dword v47, off, s[0:3], 0 offset:88
.LBB86_106:
	s_or_b64 exec, exec, s[8:9]
	buffer_load_dword v47, off, s[0:3], 0 offset:80
	buffer_load_dword v48, off, s[0:3], 0 offset:84
	v_cmp_lt_u32_e64 s[6:7], 10, v0
	s_waitcnt vmcnt(0)
	ds_write_b64 v50, v[47:48]
	s_waitcnt lgkmcnt(0)
	; wave barrier
	s_and_saveexec_b64 s[8:9], s[6:7]
	s_cbranch_execz .LBB86_116
; %bb.107:
	s_andn2_b64 vcc, exec, s[10:11]
	s_cbranch_vccnz .LBB86_109
; %bb.108:
	buffer_load_dword v47, v51, s[0:3], 0 offen
	buffer_load_dword v48, v51, s[0:3], 0 offen offset:4
	ds_read_b64 v[52:53], v50
	s_waitcnt vmcnt(0) lgkmcnt(0)
	v_mul_f64 v[47:48], v[47:48], v[52:53]
	s_cbranch_execz .LBB86_110
	s_branch .LBB86_111
.LBB86_109:
                                        ; implicit-def: $vgpr47_vgpr48
.LBB86_110:
	ds_read_b64 v[47:48], v50
.LBB86_111:
	s_and_saveexec_b64 s[12:13], s[4:5]
	s_cbranch_execz .LBB86_115
; %bb.112:
	v_add_u32_e32 v52, -11, v0
	s_movk_i32 s25, 0x118
	s_mov_b64 s[4:5], 0
.LBB86_113:                             ; =>This Inner Loop Header: Depth=1
	v_mov_b32_e32 v55, s24
	buffer_load_dword v53, v55, s[0:3], 0 offen
	buffer_load_dword v54, v55, s[0:3], 0 offen offset:4
	v_mov_b32_e32 v55, s25
	ds_read_b64 v[55:56], v55
	v_add_u32_e32 v52, -1, v52
	s_add_i32 s25, s25, 8
	s_add_i32 s24, s24, 8
	v_cmp_eq_u32_e32 vcc, 0, v52
	s_or_b64 s[4:5], vcc, s[4:5]
	s_waitcnt vmcnt(0) lgkmcnt(0)
	v_fma_f64 v[47:48], v[53:54], v[55:56], v[47:48]
	s_andn2_b64 exec, exec, s[4:5]
	s_cbranch_execnz .LBB86_113
; %bb.114:
	s_or_b64 exec, exec, s[4:5]
.LBB86_115:
	s_or_b64 exec, exec, s[12:13]
	v_mov_b32_e32 v52, 0
	ds_read_b64 v[52:53], v52 offset:80
	s_waitcnt lgkmcnt(0)
	v_mul_f64 v[47:48], v[47:48], v[52:53]
	buffer_store_dword v48, off, s[0:3], 0 offset:84
	buffer_store_dword v47, off, s[0:3], 0 offset:80
.LBB86_116:
	;; [unrolled: 58-line block ×11, first 2 shown]
	s_or_b64 exec, exec, s[8:9]
	buffer_load_dword v47, off, s[0:3], 0
	buffer_load_dword v48, off, s[0:3], 0 offset:4
	v_cmp_ne_u32_e32 vcc, 0, v0
	s_waitcnt vmcnt(0)
	ds_write_b64 v50, v[47:48]
	s_waitcnt lgkmcnt(0)
	; wave barrier
	s_and_saveexec_b64 s[6:7], vcc
	s_cbranch_execz .LBB86_216
; %bb.207:
	s_andn2_b64 vcc, exec, s[10:11]
	s_cbranch_vccnz .LBB86_209
; %bb.208:
	buffer_load_dword v47, v51, s[0:3], 0 offen
	buffer_load_dword v48, v51, s[0:3], 0 offen offset:4
	ds_read_b64 v[52:53], v50
	s_waitcnt vmcnt(0) lgkmcnt(0)
	v_mul_f64 v[47:48], v[47:48], v[52:53]
	s_cbranch_execz .LBB86_210
	s_branch .LBB86_211
.LBB86_209:
                                        ; implicit-def: $vgpr47_vgpr48
.LBB86_210:
	ds_read_b64 v[47:48], v50
.LBB86_211:
	s_and_saveexec_b64 s[8:9], s[4:5]
	s_cbranch_execz .LBB86_215
; %bb.212:
	v_add_u32_e32 v52, -1, v0
	s_movk_i32 s12, 0xc8
	s_mov_b64 s[4:5], 0
.LBB86_213:                             ; =>This Inner Loop Header: Depth=1
	v_mov_b32_e32 v55, s14
	buffer_load_dword v53, v55, s[0:3], 0 offen
	buffer_load_dword v54, v55, s[0:3], 0 offen offset:4
	v_mov_b32_e32 v55, s12
	ds_read_b64 v[55:56], v55
	v_add_u32_e32 v52, -1, v52
	s_add_i32 s12, s12, 8
	s_add_i32 s14, s14, 8
	v_cmp_eq_u32_e32 vcc, 0, v52
	s_or_b64 s[4:5], vcc, s[4:5]
	s_waitcnt vmcnt(0) lgkmcnt(0)
	v_fma_f64 v[47:48], v[53:54], v[55:56], v[47:48]
	s_andn2_b64 exec, exec, s[4:5]
	s_cbranch_execnz .LBB86_213
; %bb.214:
	s_or_b64 exec, exec, s[4:5]
.LBB86_215:
	s_or_b64 exec, exec, s[8:9]
	v_mov_b32_e32 v52, 0
	ds_read_b64 v[52:53], v52
	s_waitcnt lgkmcnt(0)
	v_mul_f64 v[47:48], v[47:48], v[52:53]
	buffer_store_dword v48, off, s[0:3], 0 offset:4
	buffer_store_dword v47, off, s[0:3], 0
.LBB86_216:
	s_or_b64 exec, exec, s[6:7]
	s_mov_b64 s[4:5], 0
.LBB86_217:
	s_and_b64 vcc, exec, s[4:5]
	s_cbranch_vccz .LBB86_429
; %bb.218:
	buffer_load_dword v47, off, s[0:3], 0 offset:8
	buffer_load_dword v48, off, s[0:3], 0 offset:12
	v_cmp_eq_u32_e64 s[6:7], 0, v0
	s_waitcnt vmcnt(0)
	ds_write_b64 v50, v[47:48]
	s_waitcnt lgkmcnt(0)
	; wave barrier
	s_and_saveexec_b64 s[4:5], s[6:7]
	s_cbranch_execz .LBB86_224
; %bb.219:
	s_and_b64 vcc, exec, s[10:11]
	s_cbranch_vccz .LBB86_221
; %bb.220:
	buffer_load_dword v47, v51, s[0:3], 0 offen
	buffer_load_dword v48, v51, s[0:3], 0 offen offset:4
	ds_read_b64 v[52:53], v50
	s_waitcnt vmcnt(0) lgkmcnt(0)
	v_mul_f64 v[47:48], v[47:48], v[52:53]
	s_cbranch_execz .LBB86_222
	s_branch .LBB86_223
.LBB86_221:
                                        ; implicit-def: $vgpr47_vgpr48
.LBB86_222:
	ds_read_b64 v[47:48], v50
.LBB86_223:
	v_mov_b32_e32 v52, 0
	ds_read_b64 v[52:53], v52 offset:8
	s_waitcnt lgkmcnt(0)
	v_mul_f64 v[47:48], v[47:48], v[52:53]
	buffer_store_dword v48, off, s[0:3], 0 offset:12
	buffer_store_dword v47, off, s[0:3], 0 offset:8
.LBB86_224:
	s_or_b64 exec, exec, s[4:5]
	buffer_load_dword v47, off, s[0:3], 0 offset:16
	buffer_load_dword v48, off, s[0:3], 0 offset:20
	v_cndmask_b32_e64 v52, 0, 1, s[10:11]
	v_cmp_gt_u32_e32 vcc, 2, v0
	v_cmp_ne_u32_e64 s[4:5], 1, v52
	s_waitcnt vmcnt(0)
	ds_write_b64 v50, v[47:48]
	s_waitcnt lgkmcnt(0)
	; wave barrier
	s_and_saveexec_b64 s[8:9], vcc
	s_cbranch_execz .LBB86_230
; %bb.225:
	s_and_b64 vcc, exec, s[4:5]
	s_cbranch_vccnz .LBB86_227
; %bb.226:
	buffer_load_dword v47, v51, s[0:3], 0 offen
	buffer_load_dword v48, v51, s[0:3], 0 offen offset:4
	ds_read_b64 v[52:53], v50
	s_waitcnt vmcnt(0) lgkmcnt(0)
	v_mul_f64 v[47:48], v[47:48], v[52:53]
	s_cbranch_execz .LBB86_228
	s_branch .LBB86_229
.LBB86_227:
                                        ; implicit-def: $vgpr47_vgpr48
.LBB86_228:
	ds_read_b64 v[47:48], v50
.LBB86_229:
	buffer_load_dword v56, off, s[0:3], 0 offset:8
	buffer_load_dword v57, off, s[0:3], 0 offset:12
	v_mov_b32_e32 v52, 0
	ds_read2_b64 v[52:55], v52 offset0:2 offset1:25
	s_waitcnt vmcnt(0) lgkmcnt(0)
	v_fma_f64 v[54:55], v[56:57], v[54:55], v[47:48]
	v_cndmask_b32_e64 v48, v48, v55, s[6:7]
	v_cndmask_b32_e64 v47, v47, v54, s[6:7]
	v_mul_f64 v[47:48], v[47:48], v[52:53]
	buffer_store_dword v48, off, s[0:3], 0 offset:20
	buffer_store_dword v47, off, s[0:3], 0 offset:16
.LBB86_230:
	s_or_b64 exec, exec, s[8:9]
	buffer_load_dword v47, off, s[0:3], 0 offset:24
	buffer_load_dword v48, off, s[0:3], 0 offset:28
	v_cmp_gt_u32_e32 vcc, 3, v0
	s_waitcnt vmcnt(0)
	ds_write_b64 v50, v[47:48]
	s_waitcnt lgkmcnt(0)
	; wave barrier
	s_and_saveexec_b64 s[8:9], vcc
	s_cbranch_execz .LBB86_238
; %bb.231:
	s_and_b64 vcc, exec, s[4:5]
	s_cbranch_vccnz .LBB86_233
; %bb.232:
	buffer_load_dword v47, v51, s[0:3], 0 offen
	buffer_load_dword v48, v51, s[0:3], 0 offen offset:4
	ds_read_b64 v[52:53], v50
	s_waitcnt vmcnt(0) lgkmcnt(0)
	v_mul_f64 v[47:48], v[47:48], v[52:53]
	s_cbranch_execz .LBB86_234
	s_branch .LBB86_235
.LBB86_233:
                                        ; implicit-def: $vgpr47_vgpr48
.LBB86_234:
	ds_read_b64 v[47:48], v50
.LBB86_235:
	v_cmp_ne_u32_e32 vcc, 2, v0
	s_and_saveexec_b64 s[10:11], vcc
	s_cbranch_execz .LBB86_237
; %bb.236:
	buffer_load_dword v52, v51, s[0:3], 0 offen offset:8
	buffer_load_dword v53, v51, s[0:3], 0 offen offset:12
	buffer_load_dword v54, off, s[0:3], 0 offset:16
	buffer_load_dword v55, off, s[0:3], 0 offset:20
	ds_read_b64 v[56:57], v50 offset:8
	v_mov_b32_e32 v58, 0
	ds_read_b64 v[58:59], v58 offset:208
	s_waitcnt vmcnt(2) lgkmcnt(1)
	v_fma_f64 v[47:48], v[52:53], v[56:57], v[47:48]
	s_waitcnt vmcnt(0) lgkmcnt(0)
	v_fma_f64 v[52:53], v[54:55], v[58:59], v[47:48]
	v_cndmask_b32_e64 v48, v48, v53, s[6:7]
	v_cndmask_b32_e64 v47, v47, v52, s[6:7]
.LBB86_237:
	s_or_b64 exec, exec, s[10:11]
	v_mov_b32_e32 v52, 0
	ds_read_b64 v[52:53], v52 offset:24
	s_waitcnt lgkmcnt(0)
	v_mul_f64 v[47:48], v[47:48], v[52:53]
	buffer_store_dword v48, off, s[0:3], 0 offset:28
	buffer_store_dword v47, off, s[0:3], 0 offset:24
.LBB86_238:
	s_or_b64 exec, exec, s[8:9]
	buffer_load_dword v47, off, s[0:3], 0 offset:32
	buffer_load_dword v48, off, s[0:3], 0 offset:36
	v_cmp_gt_u32_e32 vcc, 4, v0
	s_waitcnt vmcnt(0)
	ds_write_b64 v50, v[47:48]
	s_waitcnt lgkmcnt(0)
	; wave barrier
	s_and_saveexec_b64 s[6:7], vcc
	s_cbranch_execz .LBB86_248
; %bb.239:
	s_and_b64 vcc, exec, s[4:5]
	s_cbranch_vccnz .LBB86_241
; %bb.240:
	buffer_load_dword v47, v51, s[0:3], 0 offen
	buffer_load_dword v48, v51, s[0:3], 0 offen offset:4
	ds_read_b64 v[52:53], v50
	s_waitcnt vmcnt(0) lgkmcnt(0)
	v_mul_f64 v[47:48], v[47:48], v[52:53]
	s_cbranch_execz .LBB86_242
	s_branch .LBB86_243
.LBB86_241:
                                        ; implicit-def: $vgpr47_vgpr48
.LBB86_242:
	ds_read_b64 v[47:48], v50
.LBB86_243:
	v_cmp_ne_u32_e32 vcc, 3, v0
	s_and_saveexec_b64 s[8:9], vcc
	s_cbranch_execz .LBB86_247
; %bb.244:
	s_mov_b32 s10, 0
	v_add_u32_e32 v52, 0xc8, v49
	v_add3_u32 v53, v49, s10, 8
	s_mov_b64 s[10:11], 0
	v_mov_b32_e32 v54, v0
.LBB86_245:                             ; =>This Inner Loop Header: Depth=1
	buffer_load_dword v55, v53, s[0:3], 0 offen
	buffer_load_dword v56, v53, s[0:3], 0 offen offset:4
	ds_read_b64 v[57:58], v52
	v_add_u32_e32 v54, 1, v54
	v_cmp_lt_u32_e32 vcc, 2, v54
	v_add_u32_e32 v52, 8, v52
	s_or_b64 s[10:11], vcc, s[10:11]
	v_add_u32_e32 v53, 8, v53
	s_waitcnt vmcnt(0) lgkmcnt(0)
	v_fma_f64 v[47:48], v[55:56], v[57:58], v[47:48]
	s_andn2_b64 exec, exec, s[10:11]
	s_cbranch_execnz .LBB86_245
; %bb.246:
	s_or_b64 exec, exec, s[10:11]
.LBB86_247:
	s_or_b64 exec, exec, s[8:9]
	v_mov_b32_e32 v52, 0
	ds_read_b64 v[52:53], v52 offset:32
	s_waitcnt lgkmcnt(0)
	v_mul_f64 v[47:48], v[47:48], v[52:53]
	buffer_store_dword v48, off, s[0:3], 0 offset:36
	buffer_store_dword v47, off, s[0:3], 0 offset:32
.LBB86_248:
	s_or_b64 exec, exec, s[6:7]
	buffer_load_dword v47, off, s[0:3], 0 offset:40
	buffer_load_dword v48, off, s[0:3], 0 offset:44
	v_cmp_gt_u32_e32 vcc, 5, v0
	s_waitcnt vmcnt(0)
	ds_write_b64 v50, v[47:48]
	s_waitcnt lgkmcnt(0)
	; wave barrier
	s_and_saveexec_b64 s[6:7], vcc
	s_cbranch_execz .LBB86_258
; %bb.249:
	s_and_b64 vcc, exec, s[4:5]
	s_cbranch_vccnz .LBB86_251
; %bb.250:
	buffer_load_dword v47, v51, s[0:3], 0 offen
	buffer_load_dword v48, v51, s[0:3], 0 offen offset:4
	ds_read_b64 v[52:53], v50
	s_waitcnt vmcnt(0) lgkmcnt(0)
	v_mul_f64 v[47:48], v[47:48], v[52:53]
	s_cbranch_execz .LBB86_252
	s_branch .LBB86_253
.LBB86_251:
                                        ; implicit-def: $vgpr47_vgpr48
.LBB86_252:
	ds_read_b64 v[47:48], v50
.LBB86_253:
	v_cmp_ne_u32_e32 vcc, 4, v0
	s_and_saveexec_b64 s[8:9], vcc
	s_cbranch_execz .LBB86_257
; %bb.254:
	s_mov_b32 s10, 0
	v_add_u32_e32 v52, 0xc8, v49
	v_add3_u32 v53, v49, s10, 8
	s_mov_b64 s[10:11], 0
	v_mov_b32_e32 v54, v0
.LBB86_255:                             ; =>This Inner Loop Header: Depth=1
	buffer_load_dword v55, v53, s[0:3], 0 offen
	buffer_load_dword v56, v53, s[0:3], 0 offen offset:4
	ds_read_b64 v[57:58], v52
	v_add_u32_e32 v54, 1, v54
	v_cmp_lt_u32_e32 vcc, 3, v54
	v_add_u32_e32 v52, 8, v52
	s_or_b64 s[10:11], vcc, s[10:11]
	v_add_u32_e32 v53, 8, v53
	s_waitcnt vmcnt(0) lgkmcnt(0)
	v_fma_f64 v[47:48], v[55:56], v[57:58], v[47:48]
	s_andn2_b64 exec, exec, s[10:11]
	s_cbranch_execnz .LBB86_255
; %bb.256:
	s_or_b64 exec, exec, s[10:11]
.LBB86_257:
	s_or_b64 exec, exec, s[8:9]
	v_mov_b32_e32 v52, 0
	ds_read_b64 v[52:53], v52 offset:40
	s_waitcnt lgkmcnt(0)
	v_mul_f64 v[47:48], v[47:48], v[52:53]
	buffer_store_dword v48, off, s[0:3], 0 offset:44
	buffer_store_dword v47, off, s[0:3], 0 offset:40
.LBB86_258:
	;; [unrolled: 59-line block ×17, first 2 shown]
	s_or_b64 exec, exec, s[6:7]
	buffer_load_dword v47, off, s[0:3], 0 offset:168
	buffer_load_dword v48, off, s[0:3], 0 offset:172
	v_cmp_gt_u32_e64 s[6:7], 21, v0
	s_waitcnt vmcnt(0)
	ds_write_b64 v50, v[47:48]
	s_waitcnt lgkmcnt(0)
	; wave barrier
	s_and_saveexec_b64 s[8:9], s[6:7]
	s_cbranch_execz .LBB86_418
; %bb.409:
	s_and_b64 vcc, exec, s[4:5]
	s_cbranch_vccnz .LBB86_411
; %bb.410:
	buffer_load_dword v47, v51, s[0:3], 0 offen
	buffer_load_dword v48, v51, s[0:3], 0 offen offset:4
	ds_read_b64 v[52:53], v50
	s_waitcnt vmcnt(0) lgkmcnt(0)
	v_mul_f64 v[47:48], v[47:48], v[52:53]
	s_cbranch_execz .LBB86_412
	s_branch .LBB86_413
.LBB86_411:
                                        ; implicit-def: $vgpr47_vgpr48
.LBB86_412:
	ds_read_b64 v[47:48], v50
.LBB86_413:
	v_cmp_ne_u32_e32 vcc, 20, v0
	s_and_saveexec_b64 s[10:11], vcc
	s_cbranch_execz .LBB86_417
; %bb.414:
	s_mov_b32 s12, 0
	v_add_u32_e32 v52, 0xc8, v49
	v_add3_u32 v53, v49, s12, 8
	s_mov_b64 s[12:13], 0
	v_mov_b32_e32 v54, v0
.LBB86_415:                             ; =>This Inner Loop Header: Depth=1
	buffer_load_dword v55, v53, s[0:3], 0 offen
	buffer_load_dword v56, v53, s[0:3], 0 offen offset:4
	ds_read_b64 v[57:58], v52
	v_add_u32_e32 v54, 1, v54
	v_cmp_lt_u32_e32 vcc, 19, v54
	v_add_u32_e32 v52, 8, v52
	s_or_b64 s[12:13], vcc, s[12:13]
	v_add_u32_e32 v53, 8, v53
	s_waitcnt vmcnt(0) lgkmcnt(0)
	v_fma_f64 v[47:48], v[55:56], v[57:58], v[47:48]
	s_andn2_b64 exec, exec, s[12:13]
	s_cbranch_execnz .LBB86_415
; %bb.416:
	s_or_b64 exec, exec, s[12:13]
.LBB86_417:
	s_or_b64 exec, exec, s[10:11]
	v_mov_b32_e32 v52, 0
	ds_read_b64 v[52:53], v52 offset:168
	s_waitcnt lgkmcnt(0)
	v_mul_f64 v[47:48], v[47:48], v[52:53]
	buffer_store_dword v48, off, s[0:3], 0 offset:172
	buffer_store_dword v47, off, s[0:3], 0 offset:168
.LBB86_418:
	s_or_b64 exec, exec, s[8:9]
	buffer_load_dword v47, off, s[0:3], 0 offset:176
	buffer_load_dword v48, off, s[0:3], 0 offset:180
	v_cmp_ne_u32_e32 vcc, 22, v0
	s_waitcnt vmcnt(0)
	ds_write_b64 v50, v[47:48]
	s_waitcnt lgkmcnt(0)
	; wave barrier
	s_and_saveexec_b64 s[8:9], vcc
	s_cbranch_execz .LBB86_428
; %bb.419:
	s_and_b64 vcc, exec, s[4:5]
	s_cbranch_vccnz .LBB86_421
; %bb.420:
	buffer_load_dword v47, v51, s[0:3], 0 offen
	buffer_load_dword v48, v51, s[0:3], 0 offen offset:4
	ds_read_b64 v[51:52], v50
	s_waitcnt vmcnt(0) lgkmcnt(0)
	v_mul_f64 v[47:48], v[47:48], v[51:52]
	s_cbranch_execz .LBB86_422
	s_branch .LBB86_423
.LBB86_421:
                                        ; implicit-def: $vgpr47_vgpr48
.LBB86_422:
	ds_read_b64 v[47:48], v50
.LBB86_423:
	s_and_saveexec_b64 s[4:5], s[6:7]
	s_cbranch_execz .LBB86_427
; %bb.424:
	s_mov_b32 s6, 0
	v_add_u32_e32 v50, 0xc8, v49
	v_add3_u32 v49, v49, s6, 8
	s_mov_b64 s[6:7], 0
.LBB86_425:                             ; =>This Inner Loop Header: Depth=1
	buffer_load_dword v51, v49, s[0:3], 0 offen
	buffer_load_dword v52, v49, s[0:3], 0 offen offset:4
	ds_read_b64 v[53:54], v50
	v_add_u32_e32 v0, 1, v0
	v_cmp_lt_u32_e32 vcc, 20, v0
	v_add_u32_e32 v50, 8, v50
	s_or_b64 s[6:7], vcc, s[6:7]
	v_add_u32_e32 v49, 8, v49
	s_waitcnt vmcnt(0) lgkmcnt(0)
	v_fma_f64 v[47:48], v[51:52], v[53:54], v[47:48]
	s_andn2_b64 exec, exec, s[6:7]
	s_cbranch_execnz .LBB86_425
; %bb.426:
	s_or_b64 exec, exec, s[6:7]
.LBB86_427:
	s_or_b64 exec, exec, s[4:5]
	v_mov_b32_e32 v0, 0
	ds_read_b64 v[49:50], v0 offset:176
	s_waitcnt lgkmcnt(0)
	v_mul_f64 v[47:48], v[47:48], v[49:50]
	buffer_store_dword v48, off, s[0:3], 0 offset:180
	buffer_store_dword v47, off, s[0:3], 0 offset:176
.LBB86_428:
	s_or_b64 exec, exec, s[8:9]
.LBB86_429:
	buffer_load_dword v47, off, s[0:3], 0
	buffer_load_dword v48, off, s[0:3], 0 offset:4
	s_waitcnt vmcnt(0)
	flat_store_dwordx2 v[1:2], v[47:48]
	buffer_load_dword v0, off, s[0:3], 0 offset:8
	s_nop 0
	buffer_load_dword v1, off, s[0:3], 0 offset:12
	s_waitcnt vmcnt(0)
	flat_store_dwordx2 v[3:4], v[0:1]
	buffer_load_dword v0, off, s[0:3], 0 offset:16
	s_nop 0
	;; [unrolled: 5-line block ×22, first 2 shown]
	buffer_load_dword v1, off, s[0:3], 0 offset:180
	s_waitcnt vmcnt(0)
	flat_store_dwordx2 v[45:46], v[0:1]
.LBB86_430:
	s_endpgm
	.section	.rodata,"a",@progbits
	.p2align	6, 0x0
	.amdhsa_kernel _ZN9rocsolver6v33100L18trti2_kernel_smallILi23EdPKPdEEv13rocblas_fill_17rocblas_diagonal_T1_iil
		.amdhsa_group_segment_fixed_size 376
		.amdhsa_private_segment_fixed_size 192
		.amdhsa_kernarg_size 32
		.amdhsa_user_sgpr_count 6
		.amdhsa_user_sgpr_private_segment_buffer 1
		.amdhsa_user_sgpr_dispatch_ptr 0
		.amdhsa_user_sgpr_queue_ptr 0
		.amdhsa_user_sgpr_kernarg_segment_ptr 1
		.amdhsa_user_sgpr_dispatch_id 0
		.amdhsa_user_sgpr_flat_scratch_init 0
		.amdhsa_user_sgpr_private_segment_size 0
		.amdhsa_uses_dynamic_stack 0
		.amdhsa_system_sgpr_private_segment_wavefront_offset 1
		.amdhsa_system_sgpr_workgroup_id_x 1
		.amdhsa_system_sgpr_workgroup_id_y 0
		.amdhsa_system_sgpr_workgroup_id_z 0
		.amdhsa_system_sgpr_workgroup_info 0
		.amdhsa_system_vgpr_workitem_id 0
		.amdhsa_next_free_vgpr 60
		.amdhsa_next_free_sgpr 36
		.amdhsa_reserve_vcc 1
		.amdhsa_reserve_flat_scratch 0
		.amdhsa_float_round_mode_32 0
		.amdhsa_float_round_mode_16_64 0
		.amdhsa_float_denorm_mode_32 3
		.amdhsa_float_denorm_mode_16_64 3
		.amdhsa_dx10_clamp 1
		.amdhsa_ieee_mode 1
		.amdhsa_fp16_overflow 0
		.amdhsa_exception_fp_ieee_invalid_op 0
		.amdhsa_exception_fp_denorm_src 0
		.amdhsa_exception_fp_ieee_div_zero 0
		.amdhsa_exception_fp_ieee_overflow 0
		.amdhsa_exception_fp_ieee_underflow 0
		.amdhsa_exception_fp_ieee_inexact 0
		.amdhsa_exception_int_div_zero 0
	.end_amdhsa_kernel
	.section	.text._ZN9rocsolver6v33100L18trti2_kernel_smallILi23EdPKPdEEv13rocblas_fill_17rocblas_diagonal_T1_iil,"axG",@progbits,_ZN9rocsolver6v33100L18trti2_kernel_smallILi23EdPKPdEEv13rocblas_fill_17rocblas_diagonal_T1_iil,comdat
.Lfunc_end86:
	.size	_ZN9rocsolver6v33100L18trti2_kernel_smallILi23EdPKPdEEv13rocblas_fill_17rocblas_diagonal_T1_iil, .Lfunc_end86-_ZN9rocsolver6v33100L18trti2_kernel_smallILi23EdPKPdEEv13rocblas_fill_17rocblas_diagonal_T1_iil
                                        ; -- End function
	.set _ZN9rocsolver6v33100L18trti2_kernel_smallILi23EdPKPdEEv13rocblas_fill_17rocblas_diagonal_T1_iil.num_vgpr, 60
	.set _ZN9rocsolver6v33100L18trti2_kernel_smallILi23EdPKPdEEv13rocblas_fill_17rocblas_diagonal_T1_iil.num_agpr, 0
	.set _ZN9rocsolver6v33100L18trti2_kernel_smallILi23EdPKPdEEv13rocblas_fill_17rocblas_diagonal_T1_iil.numbered_sgpr, 36
	.set _ZN9rocsolver6v33100L18trti2_kernel_smallILi23EdPKPdEEv13rocblas_fill_17rocblas_diagonal_T1_iil.num_named_barrier, 0
	.set _ZN9rocsolver6v33100L18trti2_kernel_smallILi23EdPKPdEEv13rocblas_fill_17rocblas_diagonal_T1_iil.private_seg_size, 192
	.set _ZN9rocsolver6v33100L18trti2_kernel_smallILi23EdPKPdEEv13rocblas_fill_17rocblas_diagonal_T1_iil.uses_vcc, 1
	.set _ZN9rocsolver6v33100L18trti2_kernel_smallILi23EdPKPdEEv13rocblas_fill_17rocblas_diagonal_T1_iil.uses_flat_scratch, 0
	.set _ZN9rocsolver6v33100L18trti2_kernel_smallILi23EdPKPdEEv13rocblas_fill_17rocblas_diagonal_T1_iil.has_dyn_sized_stack, 0
	.set _ZN9rocsolver6v33100L18trti2_kernel_smallILi23EdPKPdEEv13rocblas_fill_17rocblas_diagonal_T1_iil.has_recursion, 0
	.set _ZN9rocsolver6v33100L18trti2_kernel_smallILi23EdPKPdEEv13rocblas_fill_17rocblas_diagonal_T1_iil.has_indirect_call, 0
	.section	.AMDGPU.csdata,"",@progbits
; Kernel info:
; codeLenInByte = 13328
; TotalNumSgprs: 40
; NumVgprs: 60
; ScratchSize: 192
; MemoryBound: 0
; FloatMode: 240
; IeeeMode: 1
; LDSByteSize: 376 bytes/workgroup (compile time only)
; SGPRBlocks: 4
; VGPRBlocks: 14
; NumSGPRsForWavesPerEU: 40
; NumVGPRsForWavesPerEU: 60
; Occupancy: 4
; WaveLimiterHint : 1
; COMPUTE_PGM_RSRC2:SCRATCH_EN: 1
; COMPUTE_PGM_RSRC2:USER_SGPR: 6
; COMPUTE_PGM_RSRC2:TRAP_HANDLER: 0
; COMPUTE_PGM_RSRC2:TGID_X_EN: 1
; COMPUTE_PGM_RSRC2:TGID_Y_EN: 0
; COMPUTE_PGM_RSRC2:TGID_Z_EN: 0
; COMPUTE_PGM_RSRC2:TIDIG_COMP_CNT: 0
	.section	.text._ZN9rocsolver6v33100L18trti2_kernel_smallILi24EdPKPdEEv13rocblas_fill_17rocblas_diagonal_T1_iil,"axG",@progbits,_ZN9rocsolver6v33100L18trti2_kernel_smallILi24EdPKPdEEv13rocblas_fill_17rocblas_diagonal_T1_iil,comdat
	.globl	_ZN9rocsolver6v33100L18trti2_kernel_smallILi24EdPKPdEEv13rocblas_fill_17rocblas_diagonal_T1_iil ; -- Begin function _ZN9rocsolver6v33100L18trti2_kernel_smallILi24EdPKPdEEv13rocblas_fill_17rocblas_diagonal_T1_iil
	.p2align	8
	.type	_ZN9rocsolver6v33100L18trti2_kernel_smallILi24EdPKPdEEv13rocblas_fill_17rocblas_diagonal_T1_iil,@function
_ZN9rocsolver6v33100L18trti2_kernel_smallILi24EdPKPdEEv13rocblas_fill_17rocblas_diagonal_T1_iil: ; @_ZN9rocsolver6v33100L18trti2_kernel_smallILi24EdPKPdEEv13rocblas_fill_17rocblas_diagonal_T1_iil
; %bb.0:
	s_add_u32 s0, s0, s7
	s_addc_u32 s1, s1, 0
	v_cmp_gt_u32_e32 vcc, 24, v0
	s_and_saveexec_b64 s[8:9], vcc
	s_cbranch_execz .LBB87_450
; %bb.1:
	s_load_dwordx2 s[12:13], s[4:5], 0x10
	s_load_dwordx4 s[8:11], s[4:5], 0x0
	s_ashr_i32 s7, s6, 31
	s_lshl_b64 s[6:7], s[6:7], 3
	v_lshlrev_b32_e32 v51, 3, v0
	s_waitcnt lgkmcnt(0)
	s_ashr_i32 s5, s12, 31
	s_add_u32 s6, s10, s6
	s_addc_u32 s7, s11, s7
	s_load_dwordx2 s[6:7], s[6:7], 0x0
	s_mov_b32 s4, s12
	s_lshl_b64 s[4:5], s[4:5], 3
	s_waitcnt lgkmcnt(0)
	s_add_u32 s4, s6, s4
	s_addc_u32 s5, s7, s5
	v_mov_b32_e32 v2, s5
	v_add_co_u32_e32 v1, vcc, s4, v51
	v_addc_co_u32_e32 v2, vcc, 0, v2, vcc
	flat_load_dwordx2 v[5:6], v[1:2]
	s_mov_b32 s6, s13
	s_ashr_i32 s7, s13, 31
	s_lshl_b64 s[6:7], s[6:7], 3
	v_mov_b32_e32 v4, s7
	v_add_co_u32_e32 v3, vcc, s6, v1
	v_addc_co_u32_e32 v4, vcc, v2, v4, vcc
	s_add_i32 s6, s13, s13
	v_add_u32_e32 v9, s6, v0
	v_ashrrev_i32_e32 v10, 31, v9
	v_mov_b32_e32 v11, s5
	v_add_u32_e32 v12, s13, v9
	v_ashrrev_i32_e32 v13, 31, v12
	v_mov_b32_e32 v14, s5
	v_mov_b32_e32 v15, s5
	;; [unrolled: 1-line block ×20, first 2 shown]
	s_cmpk_lg_i32 s9, 0x84
	s_cselect_b64 s[10:11], -1, 0
	s_cmpk_eq_i32 s9, 0x84
	s_waitcnt vmcnt(0) lgkmcnt(0)
	buffer_store_dword v6, off, s[0:3], 0 offset:4
	buffer_store_dword v5, off, s[0:3], 0
	flat_load_dwordx2 v[7:8], v[3:4]
	v_lshlrev_b64 v[5:6], 3, v[9:10]
	s_waitcnt vmcnt(0) lgkmcnt(0)
	buffer_store_dword v8, off, s[0:3], 0 offset:12
	buffer_store_dword v7, off, s[0:3], 0 offset:8
	v_add_co_u32_e32 v5, vcc, s4, v5
	v_addc_co_u32_e32 v6, vcc, v11, v6, vcc
	flat_load_dwordx2 v[10:11], v[5:6]
	v_lshlrev_b64 v[7:8], 3, v[12:13]
	s_waitcnt vmcnt(0) lgkmcnt(0)
	buffer_store_dword v11, off, s[0:3], 0 offset:20
	buffer_store_dword v10, off, s[0:3], 0 offset:16
	v_add_co_u32_e32 v7, vcc, s4, v7
	v_addc_co_u32_e32 v8, vcc, v14, v8, vcc
	flat_load_dwordx2 v[13:14], v[7:8]
	v_add_u32_e32 v11, s13, v12
	v_ashrrev_i32_e32 v12, 31, v11
	v_lshlrev_b64 v[9:10], 3, v[11:12]
	s_waitcnt vmcnt(0) lgkmcnt(0)
	buffer_store_dword v14, off, s[0:3], 0 offset:28
	buffer_store_dword v13, off, s[0:3], 0 offset:24
	v_add_co_u32_e32 v9, vcc, s4, v9
	v_addc_co_u32_e32 v10, vcc, v15, v10, vcc
	flat_load_dwordx2 v[13:14], v[9:10]
	v_add_u32_e32 v15, s13, v11
	v_ashrrev_i32_e32 v16, 31, v15
	v_lshlrev_b64 v[11:12], 3, v[15:16]
	v_add_u32_e32 v18, s13, v15
	v_add_co_u32_e32 v11, vcc, s4, v11
	v_addc_co_u32_e32 v12, vcc, v17, v12, vcc
	v_ashrrev_i32_e32 v19, 31, v18
	s_waitcnt vmcnt(0) lgkmcnt(0)
	buffer_store_dword v14, off, s[0:3], 0 offset:36
	buffer_store_dword v13, off, s[0:3], 0 offset:32
	flat_load_dwordx2 v[16:17], v[11:12]
	v_lshlrev_b64 v[13:14], 3, v[18:19]
	s_waitcnt vmcnt(0) lgkmcnt(0)
	buffer_store_dword v17, off, s[0:3], 0 offset:44
	buffer_store_dword v16, off, s[0:3], 0 offset:40
	v_add_co_u32_e32 v13, vcc, s4, v13
	v_addc_co_u32_e32 v14, vcc, v20, v14, vcc
	flat_load_dwordx2 v[19:20], v[13:14]
	v_add_u32_e32 v17, s13, v18
	v_ashrrev_i32_e32 v18, 31, v17
	v_lshlrev_b64 v[15:16], 3, v[17:18]
	s_waitcnt vmcnt(0) lgkmcnt(0)
	buffer_store_dword v20, off, s[0:3], 0 offset:52
	buffer_store_dword v19, off, s[0:3], 0 offset:48
	v_add_co_u32_e32 v15, vcc, s4, v15
	v_addc_co_u32_e32 v16, vcc, v21, v16, vcc
	flat_load_dwordx2 v[19:20], v[15:16]
	v_add_u32_e32 v21, s13, v17
	v_ashrrev_i32_e32 v22, 31, v21
	v_lshlrev_b64 v[17:18], 3, v[21:22]
	v_add_u32_e32 v24, s13, v21
	v_add_co_u32_e32 v17, vcc, s4, v17
	v_addc_co_u32_e32 v18, vcc, v23, v18, vcc
	v_ashrrev_i32_e32 v25, 31, v24
	s_waitcnt vmcnt(0) lgkmcnt(0)
	buffer_store_dword v20, off, s[0:3], 0 offset:60
	buffer_store_dword v19, off, s[0:3], 0 offset:56
	;; [unrolled: 27-line block ×6, first 2 shown]
	flat_load_dwordx2 v[46:47], v[41:42]
	v_lshlrev_b64 v[43:44], 3, v[48:49]
	s_waitcnt vmcnt(0) lgkmcnt(0)
	buffer_store_dword v47, off, s[0:3], 0 offset:164
	buffer_store_dword v46, off, s[0:3], 0 offset:160
	v_add_co_u32_e32 v43, vcc, s4, v43
	v_addc_co_u32_e32 v44, vcc, v50, v44, vcc
	flat_load_dwordx2 v[49:50], v[43:44]
	v_add_u32_e32 v47, s13, v48
	v_ashrrev_i32_e32 v48, 31, v47
	v_lshlrev_b64 v[45:46], 3, v[47:48]
	v_add_u32_e32 v47, s13, v47
	v_add_co_u32_e32 v45, vcc, s4, v45
	v_addc_co_u32_e32 v46, vcc, v52, v46, vcc
	v_ashrrev_i32_e32 v48, 31, v47
	v_lshlrev_b64 v[47:48], 3, v[47:48]
	s_waitcnt vmcnt(0) lgkmcnt(0)
	buffer_store_dword v50, off, s[0:3], 0 offset:172
	buffer_store_dword v49, off, s[0:3], 0 offset:168
	flat_load_dwordx2 v[49:50], v[45:46]
	v_add_co_u32_e32 v47, vcc, s4, v47
	v_addc_co_u32_e32 v48, vcc, v52, v48, vcc
	s_waitcnt vmcnt(0) lgkmcnt(0)
	buffer_store_dword v50, off, s[0:3], 0 offset:180
	buffer_store_dword v49, off, s[0:3], 0 offset:176
	flat_load_dwordx2 v[52:53], v[47:48]
	v_mov_b32_e32 v49, 0
	v_mov_b32_e32 v50, 0xbff00000
	s_waitcnt vmcnt(0) lgkmcnt(0)
	buffer_store_dword v53, off, s[0:3], 0 offset:188
	buffer_store_dword v52, off, s[0:3], 0 offset:184
	s_cbranch_scc1 .LBB87_3
; %bb.2:
	v_mov_b32_e32 v49, 0
	v_lshl_add_u32 v60, v0, 3, v49
	buffer_load_dword v49, v60, s[0:3], 0 offen
	buffer_load_dword v50, v60, s[0:3], 0 offen offset:4
	s_waitcnt vmcnt(0)
	v_div_scale_f64 v[52:53], s[4:5], v[49:50], v[49:50], 1.0
	v_rcp_f64_e32 v[54:55], v[52:53]
	v_fma_f64 v[56:57], -v[52:53], v[54:55], 1.0
	v_fma_f64 v[54:55], v[54:55], v[56:57], v[54:55]
	v_div_scale_f64 v[56:57], vcc, 1.0, v[49:50], 1.0
	v_fma_f64 v[58:59], -v[52:53], v[54:55], 1.0
	v_fma_f64 v[54:55], v[54:55], v[58:59], v[54:55]
	v_mul_f64 v[58:59], v[56:57], v[54:55]
	v_fma_f64 v[52:53], -v[52:53], v[58:59], v[56:57]
	v_div_fmas_f64 v[52:53], v[52:53], v[54:55], v[58:59]
	v_div_fixup_f64 v[49:50], v[52:53], v[49:50], 1.0
	buffer_store_dword v49, v60, s[0:3], 0 offen
	buffer_store_dword v50, v60, s[0:3], 0 offen offset:4
	v_xor_b32_e32 v50, 0x80000000, v50
.LBB87_3:
	s_cmpk_eq_i32 s8, 0x79
	v_add_u32_e32 v52, 0xc0, v51
	v_mov_b32_e32 v53, v51
	s_mov_b64 s[4:5], -1
	ds_write_b64 v51, v[49:50]
	s_cbranch_scc1 .LBB87_227
; %bb.4:
	buffer_load_dword v49, off, s[0:3], 0 offset:176
	buffer_load_dword v50, off, s[0:3], 0 offset:180
	s_movk_i32 s12, 0x48
	s_movk_i32 s13, 0x50
	;; [unrolled: 1-line block ×13, first 2 shown]
	v_cmp_eq_u32_e64 s[4:5], 23, v0
	s_waitcnt vmcnt(0)
	ds_write_b64 v52, v[49:50]
	s_waitcnt lgkmcnt(0)
	; wave barrier
	s_and_saveexec_b64 s[6:7], s[4:5]
	s_cbranch_execz .LBB87_10
; %bb.5:
	s_and_b64 vcc, exec, s[10:11]
	s_cbranch_vccz .LBB87_7
; %bb.6:
	buffer_load_dword v49, v53, s[0:3], 0 offen
	buffer_load_dword v50, v53, s[0:3], 0 offen offset:4
	ds_read_b64 v[54:55], v52
	s_waitcnt vmcnt(0) lgkmcnt(0)
	v_mul_f64 v[49:50], v[49:50], v[54:55]
	s_cbranch_execz .LBB87_8
	s_branch .LBB87_9
.LBB87_7:
                                        ; implicit-def: $vgpr49_vgpr50
.LBB87_8:
	ds_read_b64 v[49:50], v52
.LBB87_9:
	v_mov_b32_e32 v54, 0
	ds_read_b64 v[54:55], v54 offset:176
	s_waitcnt lgkmcnt(0)
	v_mul_f64 v[49:50], v[49:50], v[54:55]
	buffer_store_dword v50, off, s[0:3], 0 offset:180
	buffer_store_dword v49, off, s[0:3], 0 offset:176
.LBB87_10:
	s_or_b64 exec, exec, s[6:7]
	buffer_load_dword v49, off, s[0:3], 0 offset:168
	buffer_load_dword v50, off, s[0:3], 0 offset:172
	s_or_b32 s14, 0, 8
	s_mov_b32 s15, 16
	s_mov_b32 s16, 24
	;; [unrolled: 1-line block ×9, first 2 shown]
	v_cmp_lt_u32_e64 s[6:7], 21, v0
	s_waitcnt vmcnt(0)
	ds_write_b64 v52, v[49:50]
	s_waitcnt lgkmcnt(0)
	; wave barrier
	s_and_saveexec_b64 s[8:9], s[6:7]
	s_cbranch_execz .LBB87_16
; %bb.11:
	s_andn2_b64 vcc, exec, s[10:11]
	s_cbranch_vccnz .LBB87_13
; %bb.12:
	buffer_load_dword v49, v53, s[0:3], 0 offen
	buffer_load_dword v50, v53, s[0:3], 0 offen offset:4
	ds_read_b64 v[54:55], v52
	s_waitcnt vmcnt(0) lgkmcnt(0)
	v_mul_f64 v[49:50], v[49:50], v[54:55]
	s_cbranch_execz .LBB87_14
	s_branch .LBB87_15
.LBB87_13:
                                        ; implicit-def: $vgpr49_vgpr50
.LBB87_14:
	ds_read_b64 v[49:50], v52
.LBB87_15:
	buffer_load_dword v58, off, s[0:3], 0 offset:176
	buffer_load_dword v59, off, s[0:3], 0 offset:180
	v_mov_b32_e32 v54, 0
	ds_read2_b64 v[54:57], v54 offset0:21 offset1:46
	s_waitcnt vmcnt(0) lgkmcnt(0)
	v_fma_f64 v[56:57], v[58:59], v[56:57], v[49:50]
	v_cndmask_b32_e64 v50, v50, v57, s[4:5]
	v_cndmask_b32_e64 v49, v49, v56, s[4:5]
	v_mul_f64 v[49:50], v[49:50], v[54:55]
	buffer_store_dword v50, off, s[0:3], 0 offset:172
	buffer_store_dword v49, off, s[0:3], 0 offset:168
.LBB87_16:
	s_or_b64 exec, exec, s[8:9]
	buffer_load_dword v49, off, s[0:3], 0 offset:160
	buffer_load_dword v50, off, s[0:3], 0 offset:164
	v_cmp_lt_u32_e64 s[4:5], 20, v0
	s_waitcnt vmcnt(0)
	ds_write_b64 v52, v[49:50]
	s_waitcnt lgkmcnt(0)
	; wave barrier
	s_and_saveexec_b64 s[8:9], s[4:5]
	s_cbranch_execz .LBB87_26
; %bb.17:
	s_andn2_b64 vcc, exec, s[10:11]
	s_cbranch_vccnz .LBB87_19
; %bb.18:
	buffer_load_dword v49, v53, s[0:3], 0 offen
	buffer_load_dword v50, v53, s[0:3], 0 offen offset:4
	ds_read_b64 v[54:55], v52
	s_waitcnt vmcnt(0) lgkmcnt(0)
	v_mul_f64 v[49:50], v[49:50], v[54:55]
	s_cbranch_execz .LBB87_20
	s_branch .LBB87_21
.LBB87_19:
                                        ; implicit-def: $vgpr49_vgpr50
.LBB87_20:
	ds_read_b64 v[49:50], v52
.LBB87_21:
	s_and_saveexec_b64 s[12:13], s[6:7]
	s_cbranch_execz .LBB87_25
; %bb.22:
	v_subrev_u32_e32 v54, 21, v0
	s_movk_i32 s36, 0x168
	s_mov_b64 s[6:7], 0
.LBB87_23:                              ; =>This Inner Loop Header: Depth=1
	v_mov_b32_e32 v57, s35
	buffer_load_dword v55, v57, s[0:3], 0 offen
	buffer_load_dword v56, v57, s[0:3], 0 offen offset:4
	v_mov_b32_e32 v57, s36
	ds_read_b64 v[57:58], v57
	v_add_u32_e32 v54, -1, v54
	s_add_i32 s36, s36, 8
	s_add_i32 s35, s35, 8
	v_cmp_eq_u32_e32 vcc, 0, v54
	s_or_b64 s[6:7], vcc, s[6:7]
	s_waitcnt vmcnt(0) lgkmcnt(0)
	v_fma_f64 v[49:50], v[55:56], v[57:58], v[49:50]
	s_andn2_b64 exec, exec, s[6:7]
	s_cbranch_execnz .LBB87_23
; %bb.24:
	s_or_b64 exec, exec, s[6:7]
.LBB87_25:
	s_or_b64 exec, exec, s[12:13]
	v_mov_b32_e32 v54, 0
	ds_read_b64 v[54:55], v54 offset:160
	s_waitcnt lgkmcnt(0)
	v_mul_f64 v[49:50], v[49:50], v[54:55]
	buffer_store_dword v50, off, s[0:3], 0 offset:164
	buffer_store_dword v49, off, s[0:3], 0 offset:160
.LBB87_26:
	s_or_b64 exec, exec, s[8:9]
	buffer_load_dword v49, off, s[0:3], 0 offset:152
	buffer_load_dword v50, off, s[0:3], 0 offset:156
	v_cmp_lt_u32_e64 s[6:7], 19, v0
	s_waitcnt vmcnt(0)
	ds_write_b64 v52, v[49:50]
	s_waitcnt lgkmcnt(0)
	; wave barrier
	s_and_saveexec_b64 s[8:9], s[6:7]
	s_cbranch_execz .LBB87_36
; %bb.27:
	s_andn2_b64 vcc, exec, s[10:11]
	s_cbranch_vccnz .LBB87_29
; %bb.28:
	buffer_load_dword v49, v53, s[0:3], 0 offen
	buffer_load_dword v50, v53, s[0:3], 0 offen offset:4
	ds_read_b64 v[54:55], v52
	s_waitcnt vmcnt(0) lgkmcnt(0)
	v_mul_f64 v[49:50], v[49:50], v[54:55]
	s_cbranch_execz .LBB87_30
	s_branch .LBB87_31
.LBB87_29:
                                        ; implicit-def: $vgpr49_vgpr50
.LBB87_30:
	ds_read_b64 v[49:50], v52
.LBB87_31:
	s_and_saveexec_b64 s[12:13], s[4:5]
	s_cbranch_execz .LBB87_35
; %bb.32:
	v_subrev_u32_e32 v54, 20, v0
	s_movk_i32 s35, 0x160
	s_mov_b64 s[4:5], 0
.LBB87_33:                              ; =>This Inner Loop Header: Depth=1
	v_mov_b32_e32 v57, s34
	buffer_load_dword v55, v57, s[0:3], 0 offen
	buffer_load_dword v56, v57, s[0:3], 0 offen offset:4
	v_mov_b32_e32 v57, s35
	ds_read_b64 v[57:58], v57
	v_add_u32_e32 v54, -1, v54
	s_add_i32 s35, s35, 8
	s_add_i32 s34, s34, 8
	v_cmp_eq_u32_e32 vcc, 0, v54
	s_or_b64 s[4:5], vcc, s[4:5]
	s_waitcnt vmcnt(0) lgkmcnt(0)
	v_fma_f64 v[49:50], v[55:56], v[57:58], v[49:50]
	s_andn2_b64 exec, exec, s[4:5]
	s_cbranch_execnz .LBB87_33
; %bb.34:
	s_or_b64 exec, exec, s[4:5]
.LBB87_35:
	s_or_b64 exec, exec, s[12:13]
	v_mov_b32_e32 v54, 0
	ds_read_b64 v[54:55], v54 offset:152
	s_waitcnt lgkmcnt(0)
	v_mul_f64 v[49:50], v[49:50], v[54:55]
	buffer_store_dword v50, off, s[0:3], 0 offset:156
	buffer_store_dword v49, off, s[0:3], 0 offset:152
.LBB87_36:
	;; [unrolled: 58-line block ×5, first 2 shown]
	s_or_b64 exec, exec, s[8:9]
	buffer_load_dword v49, off, s[0:3], 0 offset:120
	buffer_load_dword v50, off, s[0:3], 0 offset:124
	v_cmp_lt_u32_e64 s[6:7], 15, v0
	s_waitcnt vmcnt(0)
	ds_write_b64 v52, v[49:50]
	s_waitcnt lgkmcnt(0)
	; wave barrier
	s_and_saveexec_b64 s[8:9], s[6:7]
	s_cbranch_execz .LBB87_76
; %bb.67:
	s_andn2_b64 vcc, exec, s[10:11]
	s_cbranch_vccnz .LBB87_69
; %bb.68:
	buffer_load_dword v49, v53, s[0:3], 0 offen
	buffer_load_dword v50, v53, s[0:3], 0 offen offset:4
	ds_read_b64 v[54:55], v52
	s_waitcnt vmcnt(0) lgkmcnt(0)
	v_mul_f64 v[49:50], v[49:50], v[54:55]
	s_cbranch_execz .LBB87_70
	s_branch .LBB87_71
.LBB87_69:
                                        ; implicit-def: $vgpr49_vgpr50
.LBB87_70:
	ds_read_b64 v[49:50], v52
.LBB87_71:
	s_and_saveexec_b64 s[12:13], s[4:5]
	s_cbranch_execz .LBB87_75
; %bb.72:
	v_add_u32_e32 v54, -16, v0
	s_movk_i32 s30, 0x140
	s_mov_b64 s[4:5], 0
.LBB87_73:                              ; =>This Inner Loop Header: Depth=1
	v_mov_b32_e32 v57, s29
	buffer_load_dword v55, v57, s[0:3], 0 offen
	buffer_load_dword v56, v57, s[0:3], 0 offen offset:4
	v_mov_b32_e32 v57, s30
	ds_read_b64 v[57:58], v57
	v_add_u32_e32 v54, -1, v54
	s_add_i32 s30, s30, 8
	s_add_i32 s29, s29, 8
	v_cmp_eq_u32_e32 vcc, 0, v54
	s_or_b64 s[4:5], vcc, s[4:5]
	s_waitcnt vmcnt(0) lgkmcnt(0)
	v_fma_f64 v[49:50], v[55:56], v[57:58], v[49:50]
	s_andn2_b64 exec, exec, s[4:5]
	s_cbranch_execnz .LBB87_73
; %bb.74:
	s_or_b64 exec, exec, s[4:5]
.LBB87_75:
	s_or_b64 exec, exec, s[12:13]
	v_mov_b32_e32 v54, 0
	ds_read_b64 v[54:55], v54 offset:120
	s_waitcnt lgkmcnt(0)
	v_mul_f64 v[49:50], v[49:50], v[54:55]
	buffer_store_dword v50, off, s[0:3], 0 offset:124
	buffer_store_dword v49, off, s[0:3], 0 offset:120
.LBB87_76:
	s_or_b64 exec, exec, s[8:9]
	buffer_load_dword v49, off, s[0:3], 0 offset:112
	buffer_load_dword v50, off, s[0:3], 0 offset:116
	v_cmp_lt_u32_e64 s[4:5], 14, v0
	s_waitcnt vmcnt(0)
	ds_write_b64 v52, v[49:50]
	s_waitcnt lgkmcnt(0)
	; wave barrier
	s_and_saveexec_b64 s[8:9], s[4:5]
	s_cbranch_execz .LBB87_86
; %bb.77:
	s_andn2_b64 vcc, exec, s[10:11]
	s_cbranch_vccnz .LBB87_79
; %bb.78:
	buffer_load_dword v49, v53, s[0:3], 0 offen
	buffer_load_dword v50, v53, s[0:3], 0 offen offset:4
	ds_read_b64 v[54:55], v52
	s_waitcnt vmcnt(0) lgkmcnt(0)
	v_mul_f64 v[49:50], v[49:50], v[54:55]
	s_cbranch_execz .LBB87_80
	s_branch .LBB87_81
.LBB87_79:
                                        ; implicit-def: $vgpr49_vgpr50
.LBB87_80:
	ds_read_b64 v[49:50], v52
.LBB87_81:
	s_and_saveexec_b64 s[12:13], s[6:7]
	s_cbranch_execz .LBB87_85
; %bb.82:
	v_add_u32_e32 v54, -15, v0
	s_movk_i32 s29, 0x138
	s_mov_b64 s[6:7], 0
.LBB87_83:                              ; =>This Inner Loop Header: Depth=1
	v_mov_b32_e32 v57, s28
	buffer_load_dword v55, v57, s[0:3], 0 offen
	buffer_load_dword v56, v57, s[0:3], 0 offen offset:4
	v_mov_b32_e32 v57, s29
	ds_read_b64 v[57:58], v57
	v_add_u32_e32 v54, -1, v54
	s_add_i32 s29, s29, 8
	s_add_i32 s28, s28, 8
	v_cmp_eq_u32_e32 vcc, 0, v54
	s_or_b64 s[6:7], vcc, s[6:7]
	s_waitcnt vmcnt(0) lgkmcnt(0)
	v_fma_f64 v[49:50], v[55:56], v[57:58], v[49:50]
	s_andn2_b64 exec, exec, s[6:7]
	s_cbranch_execnz .LBB87_83
; %bb.84:
	s_or_b64 exec, exec, s[6:7]
.LBB87_85:
	s_or_b64 exec, exec, s[12:13]
	v_mov_b32_e32 v54, 0
	ds_read_b64 v[54:55], v54 offset:112
	s_waitcnt lgkmcnt(0)
	v_mul_f64 v[49:50], v[49:50], v[54:55]
	buffer_store_dword v50, off, s[0:3], 0 offset:116
	buffer_store_dword v49, off, s[0:3], 0 offset:112
.LBB87_86:
	;; [unrolled: 58-line block ×3, first 2 shown]
	s_or_b64 exec, exec, s[8:9]
	buffer_load_dword v49, off, s[0:3], 0 offset:96
	buffer_load_dword v50, off, s[0:3], 0 offset:100
	v_cmp_lt_u32_e64 s[4:5], 12, v0
	s_waitcnt vmcnt(0)
	ds_write_b64 v52, v[49:50]
	s_waitcnt lgkmcnt(0)
	; wave barrier
	s_and_saveexec_b64 s[8:9], s[4:5]
	s_cbranch_execz .LBB87_106
; %bb.97:
	s_andn2_b64 vcc, exec, s[10:11]
	s_cbranch_vccnz .LBB87_99
; %bb.98:
	buffer_load_dword v49, v53, s[0:3], 0 offen
	buffer_load_dword v50, v53, s[0:3], 0 offen offset:4
	ds_read_b64 v[54:55], v52
	s_waitcnt vmcnt(0) lgkmcnt(0)
	v_mul_f64 v[49:50], v[49:50], v[54:55]
	s_cbranch_execz .LBB87_100
	s_branch .LBB87_101
.LBB87_99:
                                        ; implicit-def: $vgpr49_vgpr50
.LBB87_100:
	ds_read_b64 v[49:50], v52
.LBB87_101:
	s_and_saveexec_b64 s[12:13], s[6:7]
	s_cbranch_execz .LBB87_105
; %bb.102:
	v_add_u32_e32 v54, -13, v0
	s_movk_i32 s27, 0x128
	s_mov_b64 s[6:7], 0
.LBB87_103:                             ; =>This Inner Loop Header: Depth=1
	v_mov_b32_e32 v57, s26
	buffer_load_dword v55, v57, s[0:3], 0 offen
	buffer_load_dword v56, v57, s[0:3], 0 offen offset:4
	v_mov_b32_e32 v57, s27
	ds_read_b64 v[57:58], v57
	v_add_u32_e32 v54, -1, v54
	s_add_i32 s27, s27, 8
	s_add_i32 s26, s26, 8
	v_cmp_eq_u32_e32 vcc, 0, v54
	s_or_b64 s[6:7], vcc, s[6:7]
	s_waitcnt vmcnt(0) lgkmcnt(0)
	v_fma_f64 v[49:50], v[55:56], v[57:58], v[49:50]
	s_andn2_b64 exec, exec, s[6:7]
	s_cbranch_execnz .LBB87_103
; %bb.104:
	s_or_b64 exec, exec, s[6:7]
.LBB87_105:
	s_or_b64 exec, exec, s[12:13]
	v_mov_b32_e32 v54, 0
	ds_read_b64 v[54:55], v54 offset:96
	s_waitcnt lgkmcnt(0)
	v_mul_f64 v[49:50], v[49:50], v[54:55]
	buffer_store_dword v50, off, s[0:3], 0 offset:100
	buffer_store_dword v49, off, s[0:3], 0 offset:96
.LBB87_106:
	s_or_b64 exec, exec, s[8:9]
	buffer_load_dword v49, off, s[0:3], 0 offset:88
	buffer_load_dword v50, off, s[0:3], 0 offset:92
	v_cmp_lt_u32_e64 s[6:7], 11, v0
	s_waitcnt vmcnt(0)
	ds_write_b64 v52, v[49:50]
	s_waitcnt lgkmcnt(0)
	; wave barrier
	s_and_saveexec_b64 s[8:9], s[6:7]
	s_cbranch_execz .LBB87_116
; %bb.107:
	s_andn2_b64 vcc, exec, s[10:11]
	s_cbranch_vccnz .LBB87_109
; %bb.108:
	buffer_load_dword v49, v53, s[0:3], 0 offen
	buffer_load_dword v50, v53, s[0:3], 0 offen offset:4
	ds_read_b64 v[54:55], v52
	s_waitcnt vmcnt(0) lgkmcnt(0)
	v_mul_f64 v[49:50], v[49:50], v[54:55]
	s_cbranch_execz .LBB87_110
	s_branch .LBB87_111
.LBB87_109:
                                        ; implicit-def: $vgpr49_vgpr50
.LBB87_110:
	ds_read_b64 v[49:50], v52
.LBB87_111:
	s_and_saveexec_b64 s[12:13], s[4:5]
	s_cbranch_execz .LBB87_115
; %bb.112:
	v_add_u32_e32 v54, -12, v0
	s_movk_i32 s26, 0x120
	s_mov_b64 s[4:5], 0
.LBB87_113:                             ; =>This Inner Loop Header: Depth=1
	v_mov_b32_e32 v57, s25
	buffer_load_dword v55, v57, s[0:3], 0 offen
	buffer_load_dword v56, v57, s[0:3], 0 offen offset:4
	v_mov_b32_e32 v57, s26
	ds_read_b64 v[57:58], v57
	v_add_u32_e32 v54, -1, v54
	s_add_i32 s26, s26, 8
	s_add_i32 s25, s25, 8
	v_cmp_eq_u32_e32 vcc, 0, v54
	s_or_b64 s[4:5], vcc, s[4:5]
	s_waitcnt vmcnt(0) lgkmcnt(0)
	v_fma_f64 v[49:50], v[55:56], v[57:58], v[49:50]
	s_andn2_b64 exec, exec, s[4:5]
	s_cbranch_execnz .LBB87_113
; %bb.114:
	s_or_b64 exec, exec, s[4:5]
.LBB87_115:
	s_or_b64 exec, exec, s[12:13]
	v_mov_b32_e32 v54, 0
	ds_read_b64 v[54:55], v54 offset:88
	s_waitcnt lgkmcnt(0)
	v_mul_f64 v[49:50], v[49:50], v[54:55]
	buffer_store_dword v50, off, s[0:3], 0 offset:92
	buffer_store_dword v49, off, s[0:3], 0 offset:88
.LBB87_116:
	s_or_b64 exec, exec, s[8:9]
	buffer_load_dword v49, off, s[0:3], 0 offset:80
	buffer_load_dword v50, off, s[0:3], 0 offset:84
	v_cmp_lt_u32_e64 s[4:5], 10, v0
	s_waitcnt vmcnt(0)
	ds_write_b64 v52, v[49:50]
	s_waitcnt lgkmcnt(0)
	; wave barrier
	s_and_saveexec_b64 s[8:9], s[4:5]
	s_cbranch_execz .LBB87_126
; %bb.117:
	s_andn2_b64 vcc, exec, s[10:11]
	s_cbranch_vccnz .LBB87_119
; %bb.118:
	buffer_load_dword v49, v53, s[0:3], 0 offen
	buffer_load_dword v50, v53, s[0:3], 0 offen offset:4
	ds_read_b64 v[54:55], v52
	s_waitcnt vmcnt(0) lgkmcnt(0)
	v_mul_f64 v[49:50], v[49:50], v[54:55]
	s_cbranch_execz .LBB87_120
	s_branch .LBB87_121
.LBB87_119:
                                        ; implicit-def: $vgpr49_vgpr50
.LBB87_120:
	ds_read_b64 v[49:50], v52
.LBB87_121:
	s_and_saveexec_b64 s[12:13], s[6:7]
	s_cbranch_execz .LBB87_125
; %bb.122:
	v_add_u32_e32 v54, -11, v0
	s_movk_i32 s25, 0x118
	s_mov_b64 s[6:7], 0
.LBB87_123:                             ; =>This Inner Loop Header: Depth=1
	v_mov_b32_e32 v57, s24
	buffer_load_dword v55, v57, s[0:3], 0 offen
	buffer_load_dword v56, v57, s[0:3], 0 offen offset:4
	v_mov_b32_e32 v57, s25
	ds_read_b64 v[57:58], v57
	v_add_u32_e32 v54, -1, v54
	s_add_i32 s25, s25, 8
	s_add_i32 s24, s24, 8
	v_cmp_eq_u32_e32 vcc, 0, v54
	s_or_b64 s[6:7], vcc, s[6:7]
	s_waitcnt vmcnt(0) lgkmcnt(0)
	v_fma_f64 v[49:50], v[55:56], v[57:58], v[49:50]
	s_andn2_b64 exec, exec, s[6:7]
	s_cbranch_execnz .LBB87_123
; %bb.124:
	s_or_b64 exec, exec, s[6:7]
.LBB87_125:
	s_or_b64 exec, exec, s[12:13]
	v_mov_b32_e32 v54, 0
	ds_read_b64 v[54:55], v54 offset:80
	s_waitcnt lgkmcnt(0)
	v_mul_f64 v[49:50], v[49:50], v[54:55]
	buffer_store_dword v50, off, s[0:3], 0 offset:84
	buffer_store_dword v49, off, s[0:3], 0 offset:80
.LBB87_126:
	s_or_b64 exec, exec, s[8:9]
	buffer_load_dword v49, off, s[0:3], 0 offset:72
	buffer_load_dword v50, off, s[0:3], 0 offset:76
	v_cmp_lt_u32_e64 s[6:7], 9, v0
	s_waitcnt vmcnt(0)
	ds_write_b64 v52, v[49:50]
	s_waitcnt lgkmcnt(0)
	; wave barrier
	s_and_saveexec_b64 s[8:9], s[6:7]
	s_cbranch_execz .LBB87_136
; %bb.127:
	s_andn2_b64 vcc, exec, s[10:11]
	s_cbranch_vccnz .LBB87_129
; %bb.128:
	buffer_load_dword v49, v53, s[0:3], 0 offen
	buffer_load_dword v50, v53, s[0:3], 0 offen offset:4
	ds_read_b64 v[54:55], v52
	s_waitcnt vmcnt(0) lgkmcnt(0)
	v_mul_f64 v[49:50], v[49:50], v[54:55]
	s_cbranch_execz .LBB87_130
	s_branch .LBB87_131
.LBB87_129:
                                        ; implicit-def: $vgpr49_vgpr50
.LBB87_130:
	ds_read_b64 v[49:50], v52
.LBB87_131:
	s_and_saveexec_b64 s[12:13], s[4:5]
	s_cbranch_execz .LBB87_135
; %bb.132:
	v_add_u32_e32 v54, -10, v0
	s_movk_i32 s24, 0x110
	s_mov_b64 s[4:5], 0
.LBB87_133:                             ; =>This Inner Loop Header: Depth=1
	v_mov_b32_e32 v57, s23
	buffer_load_dword v55, v57, s[0:3], 0 offen
	buffer_load_dword v56, v57, s[0:3], 0 offen offset:4
	v_mov_b32_e32 v57, s24
	ds_read_b64 v[57:58], v57
	v_add_u32_e32 v54, -1, v54
	s_add_i32 s24, s24, 8
	s_add_i32 s23, s23, 8
	v_cmp_eq_u32_e32 vcc, 0, v54
	s_or_b64 s[4:5], vcc, s[4:5]
	s_waitcnt vmcnt(0) lgkmcnt(0)
	v_fma_f64 v[49:50], v[55:56], v[57:58], v[49:50]
	s_andn2_b64 exec, exec, s[4:5]
	s_cbranch_execnz .LBB87_133
; %bb.134:
	s_or_b64 exec, exec, s[4:5]
.LBB87_135:
	s_or_b64 exec, exec, s[12:13]
	v_mov_b32_e32 v54, 0
	ds_read_b64 v[54:55], v54 offset:72
	s_waitcnt lgkmcnt(0)
	v_mul_f64 v[49:50], v[49:50], v[54:55]
	buffer_store_dword v50, off, s[0:3], 0 offset:76
	buffer_store_dword v49, off, s[0:3], 0 offset:72
.LBB87_136:
	s_or_b64 exec, exec, s[8:9]
	buffer_load_dword v49, off, s[0:3], 0 offset:64
	buffer_load_dword v50, off, s[0:3], 0 offset:68
	v_cmp_lt_u32_e64 s[4:5], 8, v0
	s_waitcnt vmcnt(0)
	ds_write_b64 v52, v[49:50]
	s_waitcnt lgkmcnt(0)
	; wave barrier
	s_and_saveexec_b64 s[8:9], s[4:5]
	s_cbranch_execz .LBB87_146
; %bb.137:
	s_andn2_b64 vcc, exec, s[10:11]
	s_cbranch_vccnz .LBB87_139
; %bb.138:
	buffer_load_dword v49, v53, s[0:3], 0 offen
	buffer_load_dword v50, v53, s[0:3], 0 offen offset:4
	ds_read_b64 v[54:55], v52
	s_waitcnt vmcnt(0) lgkmcnt(0)
	v_mul_f64 v[49:50], v[49:50], v[54:55]
	s_cbranch_execz .LBB87_140
	s_branch .LBB87_141
.LBB87_139:
                                        ; implicit-def: $vgpr49_vgpr50
.LBB87_140:
	ds_read_b64 v[49:50], v52
.LBB87_141:
	s_and_saveexec_b64 s[12:13], s[6:7]
	s_cbranch_execz .LBB87_145
; %bb.142:
	v_add_u32_e32 v54, -9, v0
	s_movk_i32 s23, 0x108
	s_mov_b64 s[6:7], 0
.LBB87_143:                             ; =>This Inner Loop Header: Depth=1
	v_mov_b32_e32 v57, s22
	buffer_load_dword v55, v57, s[0:3], 0 offen
	buffer_load_dword v56, v57, s[0:3], 0 offen offset:4
	v_mov_b32_e32 v57, s23
	ds_read_b64 v[57:58], v57
	v_add_u32_e32 v54, -1, v54
	s_add_i32 s23, s23, 8
	s_add_i32 s22, s22, 8
	v_cmp_eq_u32_e32 vcc, 0, v54
	s_or_b64 s[6:7], vcc, s[6:7]
	s_waitcnt vmcnt(0) lgkmcnt(0)
	v_fma_f64 v[49:50], v[55:56], v[57:58], v[49:50]
	s_andn2_b64 exec, exec, s[6:7]
	s_cbranch_execnz .LBB87_143
; %bb.144:
	s_or_b64 exec, exec, s[6:7]
.LBB87_145:
	s_or_b64 exec, exec, s[12:13]
	v_mov_b32_e32 v54, 0
	ds_read_b64 v[54:55], v54 offset:64
	s_waitcnt lgkmcnt(0)
	v_mul_f64 v[49:50], v[49:50], v[54:55]
	buffer_store_dword v50, off, s[0:3], 0 offset:68
	buffer_store_dword v49, off, s[0:3], 0 offset:64
.LBB87_146:
	s_or_b64 exec, exec, s[8:9]
	buffer_load_dword v49, off, s[0:3], 0 offset:56
	buffer_load_dword v50, off, s[0:3], 0 offset:60
	v_cmp_lt_u32_e64 s[6:7], 7, v0
	s_waitcnt vmcnt(0)
	ds_write_b64 v52, v[49:50]
	s_waitcnt lgkmcnt(0)
	; wave barrier
	s_and_saveexec_b64 s[8:9], s[6:7]
	s_cbranch_execz .LBB87_156
; %bb.147:
	s_andn2_b64 vcc, exec, s[10:11]
	s_cbranch_vccnz .LBB87_149
; %bb.148:
	buffer_load_dword v49, v53, s[0:3], 0 offen
	buffer_load_dword v50, v53, s[0:3], 0 offen offset:4
	ds_read_b64 v[54:55], v52
	s_waitcnt vmcnt(0) lgkmcnt(0)
	v_mul_f64 v[49:50], v[49:50], v[54:55]
	s_cbranch_execz .LBB87_150
	s_branch .LBB87_151
.LBB87_149:
                                        ; implicit-def: $vgpr49_vgpr50
.LBB87_150:
	ds_read_b64 v[49:50], v52
.LBB87_151:
	s_and_saveexec_b64 s[12:13], s[4:5]
	s_cbranch_execz .LBB87_155
; %bb.152:
	v_add_u32_e32 v54, -8, v0
	s_movk_i32 s22, 0x100
	s_mov_b64 s[4:5], 0
.LBB87_153:                             ; =>This Inner Loop Header: Depth=1
	v_mov_b32_e32 v57, s21
	buffer_load_dword v55, v57, s[0:3], 0 offen
	buffer_load_dword v56, v57, s[0:3], 0 offen offset:4
	v_mov_b32_e32 v57, s22
	ds_read_b64 v[57:58], v57
	v_add_u32_e32 v54, -1, v54
	s_add_i32 s22, s22, 8
	s_add_i32 s21, s21, 8
	v_cmp_eq_u32_e32 vcc, 0, v54
	s_or_b64 s[4:5], vcc, s[4:5]
	s_waitcnt vmcnt(0) lgkmcnt(0)
	v_fma_f64 v[49:50], v[55:56], v[57:58], v[49:50]
	s_andn2_b64 exec, exec, s[4:5]
	s_cbranch_execnz .LBB87_153
; %bb.154:
	s_or_b64 exec, exec, s[4:5]
.LBB87_155:
	s_or_b64 exec, exec, s[12:13]
	v_mov_b32_e32 v54, 0
	ds_read_b64 v[54:55], v54 offset:56
	s_waitcnt lgkmcnt(0)
	v_mul_f64 v[49:50], v[49:50], v[54:55]
	buffer_store_dword v50, off, s[0:3], 0 offset:60
	buffer_store_dword v49, off, s[0:3], 0 offset:56
.LBB87_156:
	s_or_b64 exec, exec, s[8:9]
	buffer_load_dword v49, off, s[0:3], 0 offset:48
	buffer_load_dword v50, off, s[0:3], 0 offset:52
	v_cmp_lt_u32_e64 s[4:5], 6, v0
	s_waitcnt vmcnt(0)
	ds_write_b64 v52, v[49:50]
	s_waitcnt lgkmcnt(0)
	; wave barrier
	s_and_saveexec_b64 s[8:9], s[4:5]
	s_cbranch_execz .LBB87_166
; %bb.157:
	s_andn2_b64 vcc, exec, s[10:11]
	s_cbranch_vccnz .LBB87_159
; %bb.158:
	buffer_load_dword v49, v53, s[0:3], 0 offen
	buffer_load_dword v50, v53, s[0:3], 0 offen offset:4
	ds_read_b64 v[54:55], v52
	s_waitcnt vmcnt(0) lgkmcnt(0)
	v_mul_f64 v[49:50], v[49:50], v[54:55]
	s_cbranch_execz .LBB87_160
	s_branch .LBB87_161
.LBB87_159:
                                        ; implicit-def: $vgpr49_vgpr50
.LBB87_160:
	ds_read_b64 v[49:50], v52
.LBB87_161:
	s_and_saveexec_b64 s[12:13], s[6:7]
	s_cbranch_execz .LBB87_165
; %bb.162:
	v_add_u32_e32 v54, -7, v0
	s_movk_i32 s21, 0xf8
	s_mov_b64 s[6:7], 0
.LBB87_163:                             ; =>This Inner Loop Header: Depth=1
	v_mov_b32_e32 v57, s20
	buffer_load_dword v55, v57, s[0:3], 0 offen
	buffer_load_dword v56, v57, s[0:3], 0 offen offset:4
	v_mov_b32_e32 v57, s21
	ds_read_b64 v[57:58], v57
	v_add_u32_e32 v54, -1, v54
	s_add_i32 s21, s21, 8
	s_add_i32 s20, s20, 8
	v_cmp_eq_u32_e32 vcc, 0, v54
	s_or_b64 s[6:7], vcc, s[6:7]
	s_waitcnt vmcnt(0) lgkmcnt(0)
	v_fma_f64 v[49:50], v[55:56], v[57:58], v[49:50]
	s_andn2_b64 exec, exec, s[6:7]
	s_cbranch_execnz .LBB87_163
; %bb.164:
	s_or_b64 exec, exec, s[6:7]
.LBB87_165:
	s_or_b64 exec, exec, s[12:13]
	v_mov_b32_e32 v54, 0
	ds_read_b64 v[54:55], v54 offset:48
	s_waitcnt lgkmcnt(0)
	v_mul_f64 v[49:50], v[49:50], v[54:55]
	buffer_store_dword v50, off, s[0:3], 0 offset:52
	buffer_store_dword v49, off, s[0:3], 0 offset:48
.LBB87_166:
	s_or_b64 exec, exec, s[8:9]
	buffer_load_dword v49, off, s[0:3], 0 offset:40
	buffer_load_dword v50, off, s[0:3], 0 offset:44
	v_cmp_lt_u32_e64 s[6:7], 5, v0
	s_waitcnt vmcnt(0)
	ds_write_b64 v52, v[49:50]
	s_waitcnt lgkmcnt(0)
	; wave barrier
	s_and_saveexec_b64 s[8:9], s[6:7]
	s_cbranch_execz .LBB87_176
; %bb.167:
	s_andn2_b64 vcc, exec, s[10:11]
	s_cbranch_vccnz .LBB87_169
; %bb.168:
	buffer_load_dword v49, v53, s[0:3], 0 offen
	buffer_load_dword v50, v53, s[0:3], 0 offen offset:4
	ds_read_b64 v[54:55], v52
	s_waitcnt vmcnt(0) lgkmcnt(0)
	v_mul_f64 v[49:50], v[49:50], v[54:55]
	s_cbranch_execz .LBB87_170
	s_branch .LBB87_171
.LBB87_169:
                                        ; implicit-def: $vgpr49_vgpr50
.LBB87_170:
	ds_read_b64 v[49:50], v52
.LBB87_171:
	s_and_saveexec_b64 s[12:13], s[4:5]
	s_cbranch_execz .LBB87_175
; %bb.172:
	v_add_u32_e32 v54, -6, v0
	s_movk_i32 s20, 0xf0
	s_mov_b64 s[4:5], 0
.LBB87_173:                             ; =>This Inner Loop Header: Depth=1
	v_mov_b32_e32 v57, s19
	buffer_load_dword v55, v57, s[0:3], 0 offen
	buffer_load_dword v56, v57, s[0:3], 0 offen offset:4
	v_mov_b32_e32 v57, s20
	ds_read_b64 v[57:58], v57
	v_add_u32_e32 v54, -1, v54
	s_add_i32 s20, s20, 8
	s_add_i32 s19, s19, 8
	v_cmp_eq_u32_e32 vcc, 0, v54
	s_or_b64 s[4:5], vcc, s[4:5]
	s_waitcnt vmcnt(0) lgkmcnt(0)
	v_fma_f64 v[49:50], v[55:56], v[57:58], v[49:50]
	s_andn2_b64 exec, exec, s[4:5]
	s_cbranch_execnz .LBB87_173
; %bb.174:
	s_or_b64 exec, exec, s[4:5]
.LBB87_175:
	s_or_b64 exec, exec, s[12:13]
	v_mov_b32_e32 v54, 0
	ds_read_b64 v[54:55], v54 offset:40
	s_waitcnt lgkmcnt(0)
	v_mul_f64 v[49:50], v[49:50], v[54:55]
	buffer_store_dword v50, off, s[0:3], 0 offset:44
	buffer_store_dword v49, off, s[0:3], 0 offset:40
.LBB87_176:
	s_or_b64 exec, exec, s[8:9]
	buffer_load_dword v49, off, s[0:3], 0 offset:32
	buffer_load_dword v50, off, s[0:3], 0 offset:36
	v_cmp_lt_u32_e64 s[4:5], 4, v0
	s_waitcnt vmcnt(0)
	ds_write_b64 v52, v[49:50]
	s_waitcnt lgkmcnt(0)
	; wave barrier
	s_and_saveexec_b64 s[8:9], s[4:5]
	s_cbranch_execz .LBB87_186
; %bb.177:
	s_andn2_b64 vcc, exec, s[10:11]
	s_cbranch_vccnz .LBB87_179
; %bb.178:
	buffer_load_dword v49, v53, s[0:3], 0 offen
	buffer_load_dword v50, v53, s[0:3], 0 offen offset:4
	ds_read_b64 v[54:55], v52
	s_waitcnt vmcnt(0) lgkmcnt(0)
	v_mul_f64 v[49:50], v[49:50], v[54:55]
	s_cbranch_execz .LBB87_180
	s_branch .LBB87_181
.LBB87_179:
                                        ; implicit-def: $vgpr49_vgpr50
.LBB87_180:
	ds_read_b64 v[49:50], v52
.LBB87_181:
	s_and_saveexec_b64 s[12:13], s[6:7]
	s_cbranch_execz .LBB87_185
; %bb.182:
	v_add_u32_e32 v54, -5, v0
	s_movk_i32 s19, 0xe8
	s_mov_b64 s[6:7], 0
.LBB87_183:                             ; =>This Inner Loop Header: Depth=1
	v_mov_b32_e32 v57, s18
	buffer_load_dword v55, v57, s[0:3], 0 offen
	buffer_load_dword v56, v57, s[0:3], 0 offen offset:4
	v_mov_b32_e32 v57, s19
	ds_read_b64 v[57:58], v57
	v_add_u32_e32 v54, -1, v54
	s_add_i32 s19, s19, 8
	s_add_i32 s18, s18, 8
	v_cmp_eq_u32_e32 vcc, 0, v54
	s_or_b64 s[6:7], vcc, s[6:7]
	s_waitcnt vmcnt(0) lgkmcnt(0)
	v_fma_f64 v[49:50], v[55:56], v[57:58], v[49:50]
	s_andn2_b64 exec, exec, s[6:7]
	s_cbranch_execnz .LBB87_183
; %bb.184:
	s_or_b64 exec, exec, s[6:7]
.LBB87_185:
	s_or_b64 exec, exec, s[12:13]
	v_mov_b32_e32 v54, 0
	ds_read_b64 v[54:55], v54 offset:32
	s_waitcnt lgkmcnt(0)
	v_mul_f64 v[49:50], v[49:50], v[54:55]
	buffer_store_dword v50, off, s[0:3], 0 offset:36
	buffer_store_dword v49, off, s[0:3], 0 offset:32
.LBB87_186:
	s_or_b64 exec, exec, s[8:9]
	buffer_load_dword v49, off, s[0:3], 0 offset:24
	buffer_load_dword v50, off, s[0:3], 0 offset:28
	v_cmp_lt_u32_e64 s[6:7], 3, v0
	s_waitcnt vmcnt(0)
	ds_write_b64 v52, v[49:50]
	s_waitcnt lgkmcnt(0)
	; wave barrier
	s_and_saveexec_b64 s[8:9], s[6:7]
	s_cbranch_execz .LBB87_196
; %bb.187:
	s_andn2_b64 vcc, exec, s[10:11]
	s_cbranch_vccnz .LBB87_189
; %bb.188:
	buffer_load_dword v49, v53, s[0:3], 0 offen
	buffer_load_dword v50, v53, s[0:3], 0 offen offset:4
	ds_read_b64 v[54:55], v52
	s_waitcnt vmcnt(0) lgkmcnt(0)
	v_mul_f64 v[49:50], v[49:50], v[54:55]
	s_cbranch_execz .LBB87_190
	s_branch .LBB87_191
.LBB87_189:
                                        ; implicit-def: $vgpr49_vgpr50
.LBB87_190:
	ds_read_b64 v[49:50], v52
.LBB87_191:
	s_and_saveexec_b64 s[12:13], s[4:5]
	s_cbranch_execz .LBB87_195
; %bb.192:
	v_add_u32_e32 v54, -4, v0
	s_movk_i32 s18, 0xe0
	s_mov_b64 s[4:5], 0
.LBB87_193:                             ; =>This Inner Loop Header: Depth=1
	v_mov_b32_e32 v57, s17
	buffer_load_dword v55, v57, s[0:3], 0 offen
	buffer_load_dword v56, v57, s[0:3], 0 offen offset:4
	v_mov_b32_e32 v57, s18
	ds_read_b64 v[57:58], v57
	v_add_u32_e32 v54, -1, v54
	s_add_i32 s18, s18, 8
	s_add_i32 s17, s17, 8
	v_cmp_eq_u32_e32 vcc, 0, v54
	s_or_b64 s[4:5], vcc, s[4:5]
	s_waitcnt vmcnt(0) lgkmcnt(0)
	v_fma_f64 v[49:50], v[55:56], v[57:58], v[49:50]
	s_andn2_b64 exec, exec, s[4:5]
	s_cbranch_execnz .LBB87_193
; %bb.194:
	s_or_b64 exec, exec, s[4:5]
.LBB87_195:
	s_or_b64 exec, exec, s[12:13]
	v_mov_b32_e32 v54, 0
	ds_read_b64 v[54:55], v54 offset:24
	s_waitcnt lgkmcnt(0)
	v_mul_f64 v[49:50], v[49:50], v[54:55]
	buffer_store_dword v50, off, s[0:3], 0 offset:28
	buffer_store_dword v49, off, s[0:3], 0 offset:24
.LBB87_196:
	s_or_b64 exec, exec, s[8:9]
	buffer_load_dword v49, off, s[0:3], 0 offset:16
	buffer_load_dword v50, off, s[0:3], 0 offset:20
	v_cmp_lt_u32_e64 s[4:5], 2, v0
	s_waitcnt vmcnt(0)
	ds_write_b64 v52, v[49:50]
	s_waitcnt lgkmcnt(0)
	; wave barrier
	s_and_saveexec_b64 s[8:9], s[4:5]
	s_cbranch_execz .LBB87_206
; %bb.197:
	s_andn2_b64 vcc, exec, s[10:11]
	s_cbranch_vccnz .LBB87_199
; %bb.198:
	buffer_load_dword v49, v53, s[0:3], 0 offen
	buffer_load_dword v50, v53, s[0:3], 0 offen offset:4
	ds_read_b64 v[54:55], v52
	s_waitcnt vmcnt(0) lgkmcnt(0)
	v_mul_f64 v[49:50], v[49:50], v[54:55]
	s_cbranch_execz .LBB87_200
	s_branch .LBB87_201
.LBB87_199:
                                        ; implicit-def: $vgpr49_vgpr50
.LBB87_200:
	ds_read_b64 v[49:50], v52
.LBB87_201:
	s_and_saveexec_b64 s[12:13], s[6:7]
	s_cbranch_execz .LBB87_205
; %bb.202:
	v_add_u32_e32 v54, -3, v0
	s_movk_i32 s17, 0xd8
	s_mov_b64 s[6:7], 0
.LBB87_203:                             ; =>This Inner Loop Header: Depth=1
	v_mov_b32_e32 v57, s16
	buffer_load_dword v55, v57, s[0:3], 0 offen
	buffer_load_dword v56, v57, s[0:3], 0 offen offset:4
	v_mov_b32_e32 v57, s17
	ds_read_b64 v[57:58], v57
	v_add_u32_e32 v54, -1, v54
	s_add_i32 s17, s17, 8
	s_add_i32 s16, s16, 8
	v_cmp_eq_u32_e32 vcc, 0, v54
	s_or_b64 s[6:7], vcc, s[6:7]
	s_waitcnt vmcnt(0) lgkmcnt(0)
	v_fma_f64 v[49:50], v[55:56], v[57:58], v[49:50]
	s_andn2_b64 exec, exec, s[6:7]
	s_cbranch_execnz .LBB87_203
; %bb.204:
	s_or_b64 exec, exec, s[6:7]
.LBB87_205:
	s_or_b64 exec, exec, s[12:13]
	v_mov_b32_e32 v54, 0
	ds_read_b64 v[54:55], v54 offset:16
	s_waitcnt lgkmcnt(0)
	v_mul_f64 v[49:50], v[49:50], v[54:55]
	buffer_store_dword v50, off, s[0:3], 0 offset:20
	buffer_store_dword v49, off, s[0:3], 0 offset:16
.LBB87_206:
	s_or_b64 exec, exec, s[8:9]
	buffer_load_dword v49, off, s[0:3], 0 offset:8
	buffer_load_dword v50, off, s[0:3], 0 offset:12
	v_cmp_lt_u32_e64 s[6:7], 1, v0
	s_waitcnt vmcnt(0)
	ds_write_b64 v52, v[49:50]
	s_waitcnt lgkmcnt(0)
	; wave barrier
	s_and_saveexec_b64 s[8:9], s[6:7]
	s_cbranch_execz .LBB87_216
; %bb.207:
	s_andn2_b64 vcc, exec, s[10:11]
	s_cbranch_vccnz .LBB87_209
; %bb.208:
	buffer_load_dword v49, v53, s[0:3], 0 offen
	buffer_load_dword v50, v53, s[0:3], 0 offen offset:4
	ds_read_b64 v[54:55], v52
	s_waitcnt vmcnt(0) lgkmcnt(0)
	v_mul_f64 v[49:50], v[49:50], v[54:55]
	s_cbranch_execz .LBB87_210
	s_branch .LBB87_211
.LBB87_209:
                                        ; implicit-def: $vgpr49_vgpr50
.LBB87_210:
	ds_read_b64 v[49:50], v52
.LBB87_211:
	s_and_saveexec_b64 s[12:13], s[4:5]
	s_cbranch_execz .LBB87_215
; %bb.212:
	v_add_u32_e32 v54, -2, v0
	s_movk_i32 s16, 0xd0
	s_mov_b64 s[4:5], 0
.LBB87_213:                             ; =>This Inner Loop Header: Depth=1
	v_mov_b32_e32 v57, s15
	buffer_load_dword v55, v57, s[0:3], 0 offen
	buffer_load_dword v56, v57, s[0:3], 0 offen offset:4
	v_mov_b32_e32 v57, s16
	ds_read_b64 v[57:58], v57
	v_add_u32_e32 v54, -1, v54
	s_add_i32 s16, s16, 8
	s_add_i32 s15, s15, 8
	v_cmp_eq_u32_e32 vcc, 0, v54
	s_or_b64 s[4:5], vcc, s[4:5]
	s_waitcnt vmcnt(0) lgkmcnt(0)
	v_fma_f64 v[49:50], v[55:56], v[57:58], v[49:50]
	s_andn2_b64 exec, exec, s[4:5]
	s_cbranch_execnz .LBB87_213
; %bb.214:
	s_or_b64 exec, exec, s[4:5]
.LBB87_215:
	s_or_b64 exec, exec, s[12:13]
	v_mov_b32_e32 v54, 0
	ds_read_b64 v[54:55], v54 offset:8
	s_waitcnt lgkmcnt(0)
	v_mul_f64 v[49:50], v[49:50], v[54:55]
	buffer_store_dword v50, off, s[0:3], 0 offset:12
	buffer_store_dword v49, off, s[0:3], 0 offset:8
.LBB87_216:
	s_or_b64 exec, exec, s[8:9]
	buffer_load_dword v49, off, s[0:3], 0
	buffer_load_dword v50, off, s[0:3], 0 offset:4
	v_cmp_ne_u32_e32 vcc, 0, v0
	s_waitcnt vmcnt(0)
	ds_write_b64 v52, v[49:50]
	s_waitcnt lgkmcnt(0)
	; wave barrier
	s_and_saveexec_b64 s[4:5], vcc
	s_cbranch_execz .LBB87_226
; %bb.217:
	s_andn2_b64 vcc, exec, s[10:11]
	s_cbranch_vccnz .LBB87_219
; %bb.218:
	buffer_load_dword v49, v53, s[0:3], 0 offen
	buffer_load_dword v50, v53, s[0:3], 0 offen offset:4
	ds_read_b64 v[54:55], v52
	s_waitcnt vmcnt(0) lgkmcnt(0)
	v_mul_f64 v[49:50], v[49:50], v[54:55]
	s_cbranch_execz .LBB87_220
	s_branch .LBB87_221
.LBB87_219:
                                        ; implicit-def: $vgpr49_vgpr50
.LBB87_220:
	ds_read_b64 v[49:50], v52
.LBB87_221:
	s_and_saveexec_b64 s[8:9], s[6:7]
	s_cbranch_execz .LBB87_225
; %bb.222:
	v_add_u32_e32 v54, -1, v0
	s_movk_i32 s12, 0xc8
	s_mov_b64 s[6:7], 0
.LBB87_223:                             ; =>This Inner Loop Header: Depth=1
	v_mov_b32_e32 v57, s14
	buffer_load_dword v55, v57, s[0:3], 0 offen
	buffer_load_dword v56, v57, s[0:3], 0 offen offset:4
	v_mov_b32_e32 v57, s12
	ds_read_b64 v[57:58], v57
	v_add_u32_e32 v54, -1, v54
	s_add_i32 s12, s12, 8
	s_add_i32 s14, s14, 8
	v_cmp_eq_u32_e32 vcc, 0, v54
	s_or_b64 s[6:7], vcc, s[6:7]
	s_waitcnt vmcnt(0) lgkmcnt(0)
	v_fma_f64 v[49:50], v[55:56], v[57:58], v[49:50]
	s_andn2_b64 exec, exec, s[6:7]
	s_cbranch_execnz .LBB87_223
; %bb.224:
	s_or_b64 exec, exec, s[6:7]
.LBB87_225:
	s_or_b64 exec, exec, s[8:9]
	v_mov_b32_e32 v54, 0
	ds_read_b64 v[54:55], v54
	s_waitcnt lgkmcnt(0)
	v_mul_f64 v[49:50], v[49:50], v[54:55]
	buffer_store_dword v50, off, s[0:3], 0 offset:4
	buffer_store_dword v49, off, s[0:3], 0
.LBB87_226:
	s_or_b64 exec, exec, s[4:5]
	s_mov_b64 s[4:5], 0
.LBB87_227:
	s_and_b64 vcc, exec, s[4:5]
	s_cbranch_vccz .LBB87_449
; %bb.228:
	buffer_load_dword v49, off, s[0:3], 0 offset:8
	buffer_load_dword v50, off, s[0:3], 0 offset:12
	v_cmp_eq_u32_e64 s[6:7], 0, v0
	s_waitcnt vmcnt(0)
	ds_write_b64 v52, v[49:50]
	s_waitcnt lgkmcnt(0)
	; wave barrier
	s_and_saveexec_b64 s[4:5], s[6:7]
	s_cbranch_execz .LBB87_234
; %bb.229:
	s_and_b64 vcc, exec, s[10:11]
	s_cbranch_vccz .LBB87_231
; %bb.230:
	buffer_load_dword v49, v53, s[0:3], 0 offen
	buffer_load_dword v50, v53, s[0:3], 0 offen offset:4
	ds_read_b64 v[54:55], v52
	s_waitcnt vmcnt(0) lgkmcnt(0)
	v_mul_f64 v[49:50], v[49:50], v[54:55]
	s_cbranch_execz .LBB87_232
	s_branch .LBB87_233
.LBB87_231:
                                        ; implicit-def: $vgpr49_vgpr50
.LBB87_232:
	ds_read_b64 v[49:50], v52
.LBB87_233:
	v_mov_b32_e32 v54, 0
	ds_read_b64 v[54:55], v54 offset:8
	s_waitcnt lgkmcnt(0)
	v_mul_f64 v[49:50], v[49:50], v[54:55]
	buffer_store_dword v50, off, s[0:3], 0 offset:12
	buffer_store_dword v49, off, s[0:3], 0 offset:8
.LBB87_234:
	s_or_b64 exec, exec, s[4:5]
	buffer_load_dword v49, off, s[0:3], 0 offset:16
	buffer_load_dword v50, off, s[0:3], 0 offset:20
	v_cndmask_b32_e64 v54, 0, 1, s[10:11]
	v_cmp_gt_u32_e32 vcc, 2, v0
	v_cmp_ne_u32_e64 s[4:5], 1, v54
	s_waitcnt vmcnt(0)
	ds_write_b64 v52, v[49:50]
	s_waitcnt lgkmcnt(0)
	; wave barrier
	s_and_saveexec_b64 s[8:9], vcc
	s_cbranch_execz .LBB87_240
; %bb.235:
	s_and_b64 vcc, exec, s[4:5]
	s_cbranch_vccnz .LBB87_237
; %bb.236:
	buffer_load_dword v49, v53, s[0:3], 0 offen
	buffer_load_dword v50, v53, s[0:3], 0 offen offset:4
	ds_read_b64 v[54:55], v52
	s_waitcnt vmcnt(0) lgkmcnt(0)
	v_mul_f64 v[49:50], v[49:50], v[54:55]
	s_cbranch_execz .LBB87_238
	s_branch .LBB87_239
.LBB87_237:
                                        ; implicit-def: $vgpr49_vgpr50
.LBB87_238:
	ds_read_b64 v[49:50], v52
.LBB87_239:
	buffer_load_dword v58, off, s[0:3], 0 offset:8
	buffer_load_dword v59, off, s[0:3], 0 offset:12
	v_mov_b32_e32 v54, 0
	ds_read2_b64 v[54:57], v54 offset0:2 offset1:25
	s_waitcnt vmcnt(0) lgkmcnt(0)
	v_fma_f64 v[56:57], v[58:59], v[56:57], v[49:50]
	v_cndmask_b32_e64 v50, v50, v57, s[6:7]
	v_cndmask_b32_e64 v49, v49, v56, s[6:7]
	v_mul_f64 v[49:50], v[49:50], v[54:55]
	buffer_store_dword v50, off, s[0:3], 0 offset:20
	buffer_store_dword v49, off, s[0:3], 0 offset:16
.LBB87_240:
	s_or_b64 exec, exec, s[8:9]
	buffer_load_dword v49, off, s[0:3], 0 offset:24
	buffer_load_dword v50, off, s[0:3], 0 offset:28
	v_cmp_gt_u32_e32 vcc, 3, v0
	s_waitcnt vmcnt(0)
	ds_write_b64 v52, v[49:50]
	s_waitcnt lgkmcnt(0)
	; wave barrier
	s_and_saveexec_b64 s[8:9], vcc
	s_cbranch_execz .LBB87_248
; %bb.241:
	s_and_b64 vcc, exec, s[4:5]
	s_cbranch_vccnz .LBB87_243
; %bb.242:
	buffer_load_dword v49, v53, s[0:3], 0 offen
	buffer_load_dword v50, v53, s[0:3], 0 offen offset:4
	ds_read_b64 v[54:55], v52
	s_waitcnt vmcnt(0) lgkmcnt(0)
	v_mul_f64 v[49:50], v[49:50], v[54:55]
	s_cbranch_execz .LBB87_244
	s_branch .LBB87_245
.LBB87_243:
                                        ; implicit-def: $vgpr49_vgpr50
.LBB87_244:
	ds_read_b64 v[49:50], v52
.LBB87_245:
	v_cmp_ne_u32_e32 vcc, 2, v0
	s_and_saveexec_b64 s[10:11], vcc
	s_cbranch_execz .LBB87_247
; %bb.246:
	buffer_load_dword v54, v53, s[0:3], 0 offen offset:8
	buffer_load_dword v55, v53, s[0:3], 0 offen offset:12
	buffer_load_dword v56, off, s[0:3], 0 offset:16
	buffer_load_dword v57, off, s[0:3], 0 offset:20
	ds_read_b64 v[58:59], v52 offset:8
	v_mov_b32_e32 v60, 0
	ds_read_b64 v[60:61], v60 offset:208
	s_waitcnt vmcnt(2) lgkmcnt(1)
	v_fma_f64 v[49:50], v[54:55], v[58:59], v[49:50]
	s_waitcnt vmcnt(0) lgkmcnt(0)
	v_fma_f64 v[54:55], v[56:57], v[60:61], v[49:50]
	v_cndmask_b32_e64 v50, v50, v55, s[6:7]
	v_cndmask_b32_e64 v49, v49, v54, s[6:7]
.LBB87_247:
	s_or_b64 exec, exec, s[10:11]
	v_mov_b32_e32 v54, 0
	ds_read_b64 v[54:55], v54 offset:24
	s_waitcnt lgkmcnt(0)
	v_mul_f64 v[49:50], v[49:50], v[54:55]
	buffer_store_dword v50, off, s[0:3], 0 offset:28
	buffer_store_dword v49, off, s[0:3], 0 offset:24
.LBB87_248:
	s_or_b64 exec, exec, s[8:9]
	buffer_load_dword v49, off, s[0:3], 0 offset:32
	buffer_load_dword v50, off, s[0:3], 0 offset:36
	v_cmp_gt_u32_e32 vcc, 4, v0
	s_waitcnt vmcnt(0)
	ds_write_b64 v52, v[49:50]
	s_waitcnt lgkmcnt(0)
	; wave barrier
	s_and_saveexec_b64 s[6:7], vcc
	s_cbranch_execz .LBB87_258
; %bb.249:
	s_and_b64 vcc, exec, s[4:5]
	s_cbranch_vccnz .LBB87_251
; %bb.250:
	buffer_load_dword v49, v53, s[0:3], 0 offen
	buffer_load_dword v50, v53, s[0:3], 0 offen offset:4
	ds_read_b64 v[54:55], v52
	s_waitcnt vmcnt(0) lgkmcnt(0)
	v_mul_f64 v[49:50], v[49:50], v[54:55]
	s_cbranch_execz .LBB87_252
	s_branch .LBB87_253
.LBB87_251:
                                        ; implicit-def: $vgpr49_vgpr50
.LBB87_252:
	ds_read_b64 v[49:50], v52
.LBB87_253:
	v_cmp_ne_u32_e32 vcc, 3, v0
	s_and_saveexec_b64 s[8:9], vcc
	s_cbranch_execz .LBB87_257
; %bb.254:
	s_mov_b32 s10, 0
	v_add_u32_e32 v54, 0xc8, v51
	v_add3_u32 v55, v51, s10, 8
	s_mov_b64 s[10:11], 0
	v_mov_b32_e32 v56, v0
.LBB87_255:                             ; =>This Inner Loop Header: Depth=1
	buffer_load_dword v57, v55, s[0:3], 0 offen
	buffer_load_dword v58, v55, s[0:3], 0 offen offset:4
	ds_read_b64 v[59:60], v54
	v_add_u32_e32 v56, 1, v56
	v_cmp_lt_u32_e32 vcc, 2, v56
	v_add_u32_e32 v54, 8, v54
	s_or_b64 s[10:11], vcc, s[10:11]
	v_add_u32_e32 v55, 8, v55
	s_waitcnt vmcnt(0) lgkmcnt(0)
	v_fma_f64 v[49:50], v[57:58], v[59:60], v[49:50]
	s_andn2_b64 exec, exec, s[10:11]
	s_cbranch_execnz .LBB87_255
; %bb.256:
	s_or_b64 exec, exec, s[10:11]
.LBB87_257:
	s_or_b64 exec, exec, s[8:9]
	v_mov_b32_e32 v54, 0
	ds_read_b64 v[54:55], v54 offset:32
	s_waitcnt lgkmcnt(0)
	v_mul_f64 v[49:50], v[49:50], v[54:55]
	buffer_store_dword v50, off, s[0:3], 0 offset:36
	buffer_store_dword v49, off, s[0:3], 0 offset:32
.LBB87_258:
	s_or_b64 exec, exec, s[6:7]
	buffer_load_dword v49, off, s[0:3], 0 offset:40
	buffer_load_dword v50, off, s[0:3], 0 offset:44
	v_cmp_gt_u32_e32 vcc, 5, v0
	s_waitcnt vmcnt(0)
	ds_write_b64 v52, v[49:50]
	s_waitcnt lgkmcnt(0)
	; wave barrier
	s_and_saveexec_b64 s[6:7], vcc
	s_cbranch_execz .LBB87_268
; %bb.259:
	s_and_b64 vcc, exec, s[4:5]
	s_cbranch_vccnz .LBB87_261
; %bb.260:
	buffer_load_dword v49, v53, s[0:3], 0 offen
	buffer_load_dword v50, v53, s[0:3], 0 offen offset:4
	ds_read_b64 v[54:55], v52
	s_waitcnt vmcnt(0) lgkmcnt(0)
	v_mul_f64 v[49:50], v[49:50], v[54:55]
	s_cbranch_execz .LBB87_262
	s_branch .LBB87_263
.LBB87_261:
                                        ; implicit-def: $vgpr49_vgpr50
.LBB87_262:
	ds_read_b64 v[49:50], v52
.LBB87_263:
	v_cmp_ne_u32_e32 vcc, 4, v0
	s_and_saveexec_b64 s[8:9], vcc
	s_cbranch_execz .LBB87_267
; %bb.264:
	s_mov_b32 s10, 0
	v_add_u32_e32 v54, 0xc8, v51
	v_add3_u32 v55, v51, s10, 8
	s_mov_b64 s[10:11], 0
	v_mov_b32_e32 v56, v0
.LBB87_265:                             ; =>This Inner Loop Header: Depth=1
	buffer_load_dword v57, v55, s[0:3], 0 offen
	buffer_load_dword v58, v55, s[0:3], 0 offen offset:4
	ds_read_b64 v[59:60], v54
	v_add_u32_e32 v56, 1, v56
	v_cmp_lt_u32_e32 vcc, 3, v56
	v_add_u32_e32 v54, 8, v54
	s_or_b64 s[10:11], vcc, s[10:11]
	v_add_u32_e32 v55, 8, v55
	s_waitcnt vmcnt(0) lgkmcnt(0)
	v_fma_f64 v[49:50], v[57:58], v[59:60], v[49:50]
	s_andn2_b64 exec, exec, s[10:11]
	s_cbranch_execnz .LBB87_265
; %bb.266:
	s_or_b64 exec, exec, s[10:11]
.LBB87_267:
	s_or_b64 exec, exec, s[8:9]
	v_mov_b32_e32 v54, 0
	ds_read_b64 v[54:55], v54 offset:40
	s_waitcnt lgkmcnt(0)
	v_mul_f64 v[49:50], v[49:50], v[54:55]
	buffer_store_dword v50, off, s[0:3], 0 offset:44
	buffer_store_dword v49, off, s[0:3], 0 offset:40
.LBB87_268:
	;; [unrolled: 59-line block ×18, first 2 shown]
	s_or_b64 exec, exec, s[6:7]
	buffer_load_dword v49, off, s[0:3], 0 offset:176
	buffer_load_dword v50, off, s[0:3], 0 offset:180
	v_cmp_gt_u32_e64 s[6:7], 22, v0
	s_waitcnt vmcnt(0)
	ds_write_b64 v52, v[49:50]
	s_waitcnt lgkmcnt(0)
	; wave barrier
	s_and_saveexec_b64 s[8:9], s[6:7]
	s_cbranch_execz .LBB87_438
; %bb.429:
	s_and_b64 vcc, exec, s[4:5]
	s_cbranch_vccnz .LBB87_431
; %bb.430:
	buffer_load_dword v49, v53, s[0:3], 0 offen
	buffer_load_dword v50, v53, s[0:3], 0 offen offset:4
	ds_read_b64 v[54:55], v52
	s_waitcnt vmcnt(0) lgkmcnt(0)
	v_mul_f64 v[49:50], v[49:50], v[54:55]
	s_cbranch_execz .LBB87_432
	s_branch .LBB87_433
.LBB87_431:
                                        ; implicit-def: $vgpr49_vgpr50
.LBB87_432:
	ds_read_b64 v[49:50], v52
.LBB87_433:
	v_cmp_ne_u32_e32 vcc, 21, v0
	s_and_saveexec_b64 s[10:11], vcc
	s_cbranch_execz .LBB87_437
; %bb.434:
	s_mov_b32 s12, 0
	v_add_u32_e32 v54, 0xc8, v51
	v_add3_u32 v55, v51, s12, 8
	s_mov_b64 s[12:13], 0
	v_mov_b32_e32 v56, v0
.LBB87_435:                             ; =>This Inner Loop Header: Depth=1
	buffer_load_dword v57, v55, s[0:3], 0 offen
	buffer_load_dword v58, v55, s[0:3], 0 offen offset:4
	ds_read_b64 v[59:60], v54
	v_add_u32_e32 v56, 1, v56
	v_cmp_lt_u32_e32 vcc, 20, v56
	v_add_u32_e32 v54, 8, v54
	s_or_b64 s[12:13], vcc, s[12:13]
	v_add_u32_e32 v55, 8, v55
	s_waitcnt vmcnt(0) lgkmcnt(0)
	v_fma_f64 v[49:50], v[57:58], v[59:60], v[49:50]
	s_andn2_b64 exec, exec, s[12:13]
	s_cbranch_execnz .LBB87_435
; %bb.436:
	s_or_b64 exec, exec, s[12:13]
.LBB87_437:
	s_or_b64 exec, exec, s[10:11]
	v_mov_b32_e32 v54, 0
	ds_read_b64 v[54:55], v54 offset:176
	s_waitcnt lgkmcnt(0)
	v_mul_f64 v[49:50], v[49:50], v[54:55]
	buffer_store_dword v50, off, s[0:3], 0 offset:180
	buffer_store_dword v49, off, s[0:3], 0 offset:176
.LBB87_438:
	s_or_b64 exec, exec, s[8:9]
	buffer_load_dword v49, off, s[0:3], 0 offset:184
	buffer_load_dword v50, off, s[0:3], 0 offset:188
	v_cmp_ne_u32_e32 vcc, 23, v0
	s_waitcnt vmcnt(0)
	ds_write_b64 v52, v[49:50]
	s_waitcnt lgkmcnt(0)
	; wave barrier
	s_and_saveexec_b64 s[8:9], vcc
	s_cbranch_execz .LBB87_448
; %bb.439:
	s_and_b64 vcc, exec, s[4:5]
	s_cbranch_vccnz .LBB87_441
; %bb.440:
	buffer_load_dword v49, v53, s[0:3], 0 offen
	buffer_load_dword v50, v53, s[0:3], 0 offen offset:4
	ds_read_b64 v[53:54], v52
	s_waitcnt vmcnt(0) lgkmcnt(0)
	v_mul_f64 v[49:50], v[49:50], v[53:54]
	s_cbranch_execz .LBB87_442
	s_branch .LBB87_443
.LBB87_441:
                                        ; implicit-def: $vgpr49_vgpr50
.LBB87_442:
	ds_read_b64 v[49:50], v52
.LBB87_443:
	s_and_saveexec_b64 s[4:5], s[6:7]
	s_cbranch_execz .LBB87_447
; %bb.444:
	s_mov_b32 s6, 0
	v_add_u32_e32 v52, 0xc8, v51
	v_add3_u32 v51, v51, s6, 8
	s_mov_b64 s[6:7], 0
.LBB87_445:                             ; =>This Inner Loop Header: Depth=1
	buffer_load_dword v53, v51, s[0:3], 0 offen
	buffer_load_dword v54, v51, s[0:3], 0 offen offset:4
	ds_read_b64 v[55:56], v52
	v_add_u32_e32 v0, 1, v0
	v_cmp_lt_u32_e32 vcc, 21, v0
	v_add_u32_e32 v52, 8, v52
	s_or_b64 s[6:7], vcc, s[6:7]
	v_add_u32_e32 v51, 8, v51
	s_waitcnt vmcnt(0) lgkmcnt(0)
	v_fma_f64 v[49:50], v[53:54], v[55:56], v[49:50]
	s_andn2_b64 exec, exec, s[6:7]
	s_cbranch_execnz .LBB87_445
; %bb.446:
	s_or_b64 exec, exec, s[6:7]
.LBB87_447:
	s_or_b64 exec, exec, s[4:5]
	v_mov_b32_e32 v0, 0
	ds_read_b64 v[51:52], v0 offset:184
	s_waitcnt lgkmcnt(0)
	v_mul_f64 v[49:50], v[49:50], v[51:52]
	buffer_store_dword v50, off, s[0:3], 0 offset:188
	buffer_store_dword v49, off, s[0:3], 0 offset:184
.LBB87_448:
	s_or_b64 exec, exec, s[8:9]
.LBB87_449:
	buffer_load_dword v49, off, s[0:3], 0
	buffer_load_dword v50, off, s[0:3], 0 offset:4
	s_waitcnt vmcnt(0)
	flat_store_dwordx2 v[1:2], v[49:50]
	buffer_load_dword v0, off, s[0:3], 0 offset:8
	s_nop 0
	buffer_load_dword v1, off, s[0:3], 0 offset:12
	s_waitcnt vmcnt(0)
	flat_store_dwordx2 v[3:4], v[0:1]
	buffer_load_dword v0, off, s[0:3], 0 offset:16
	s_nop 0
	;; [unrolled: 5-line block ×23, first 2 shown]
	buffer_load_dword v1, off, s[0:3], 0 offset:188
	s_waitcnt vmcnt(0)
	flat_store_dwordx2 v[47:48], v[0:1]
.LBB87_450:
	s_endpgm
	.section	.rodata,"a",@progbits
	.p2align	6, 0x0
	.amdhsa_kernel _ZN9rocsolver6v33100L18trti2_kernel_smallILi24EdPKPdEEv13rocblas_fill_17rocblas_diagonal_T1_iil
		.amdhsa_group_segment_fixed_size 384
		.amdhsa_private_segment_fixed_size 208
		.amdhsa_kernarg_size 32
		.amdhsa_user_sgpr_count 6
		.amdhsa_user_sgpr_private_segment_buffer 1
		.amdhsa_user_sgpr_dispatch_ptr 0
		.amdhsa_user_sgpr_queue_ptr 0
		.amdhsa_user_sgpr_kernarg_segment_ptr 1
		.amdhsa_user_sgpr_dispatch_id 0
		.amdhsa_user_sgpr_flat_scratch_init 0
		.amdhsa_user_sgpr_private_segment_size 0
		.amdhsa_uses_dynamic_stack 0
		.amdhsa_system_sgpr_private_segment_wavefront_offset 1
		.amdhsa_system_sgpr_workgroup_id_x 1
		.amdhsa_system_sgpr_workgroup_id_y 0
		.amdhsa_system_sgpr_workgroup_id_z 0
		.amdhsa_system_sgpr_workgroup_info 0
		.amdhsa_system_vgpr_workitem_id 0
		.amdhsa_next_free_vgpr 62
		.amdhsa_next_free_sgpr 37
		.amdhsa_reserve_vcc 1
		.amdhsa_reserve_flat_scratch 0
		.amdhsa_float_round_mode_32 0
		.amdhsa_float_round_mode_16_64 0
		.amdhsa_float_denorm_mode_32 3
		.amdhsa_float_denorm_mode_16_64 3
		.amdhsa_dx10_clamp 1
		.amdhsa_ieee_mode 1
		.amdhsa_fp16_overflow 0
		.amdhsa_exception_fp_ieee_invalid_op 0
		.amdhsa_exception_fp_denorm_src 0
		.amdhsa_exception_fp_ieee_div_zero 0
		.amdhsa_exception_fp_ieee_overflow 0
		.amdhsa_exception_fp_ieee_underflow 0
		.amdhsa_exception_fp_ieee_inexact 0
		.amdhsa_exception_int_div_zero 0
	.end_amdhsa_kernel
	.section	.text._ZN9rocsolver6v33100L18trti2_kernel_smallILi24EdPKPdEEv13rocblas_fill_17rocblas_diagonal_T1_iil,"axG",@progbits,_ZN9rocsolver6v33100L18trti2_kernel_smallILi24EdPKPdEEv13rocblas_fill_17rocblas_diagonal_T1_iil,comdat
.Lfunc_end87:
	.size	_ZN9rocsolver6v33100L18trti2_kernel_smallILi24EdPKPdEEv13rocblas_fill_17rocblas_diagonal_T1_iil, .Lfunc_end87-_ZN9rocsolver6v33100L18trti2_kernel_smallILi24EdPKPdEEv13rocblas_fill_17rocblas_diagonal_T1_iil
                                        ; -- End function
	.set _ZN9rocsolver6v33100L18trti2_kernel_smallILi24EdPKPdEEv13rocblas_fill_17rocblas_diagonal_T1_iil.num_vgpr, 62
	.set _ZN9rocsolver6v33100L18trti2_kernel_smallILi24EdPKPdEEv13rocblas_fill_17rocblas_diagonal_T1_iil.num_agpr, 0
	.set _ZN9rocsolver6v33100L18trti2_kernel_smallILi24EdPKPdEEv13rocblas_fill_17rocblas_diagonal_T1_iil.numbered_sgpr, 37
	.set _ZN9rocsolver6v33100L18trti2_kernel_smallILi24EdPKPdEEv13rocblas_fill_17rocblas_diagonal_T1_iil.num_named_barrier, 0
	.set _ZN9rocsolver6v33100L18trti2_kernel_smallILi24EdPKPdEEv13rocblas_fill_17rocblas_diagonal_T1_iil.private_seg_size, 208
	.set _ZN9rocsolver6v33100L18trti2_kernel_smallILi24EdPKPdEEv13rocblas_fill_17rocblas_diagonal_T1_iil.uses_vcc, 1
	.set _ZN9rocsolver6v33100L18trti2_kernel_smallILi24EdPKPdEEv13rocblas_fill_17rocblas_diagonal_T1_iil.uses_flat_scratch, 0
	.set _ZN9rocsolver6v33100L18trti2_kernel_smallILi24EdPKPdEEv13rocblas_fill_17rocblas_diagonal_T1_iil.has_dyn_sized_stack, 0
	.set _ZN9rocsolver6v33100L18trti2_kernel_smallILi24EdPKPdEEv13rocblas_fill_17rocblas_diagonal_T1_iil.has_recursion, 0
	.set _ZN9rocsolver6v33100L18trti2_kernel_smallILi24EdPKPdEEv13rocblas_fill_17rocblas_diagonal_T1_iil.has_indirect_call, 0
	.section	.AMDGPU.csdata,"",@progbits
; Kernel info:
; codeLenInByte = 13928
; TotalNumSgprs: 41
; NumVgprs: 62
; ScratchSize: 208
; MemoryBound: 0
; FloatMode: 240
; IeeeMode: 1
; LDSByteSize: 384 bytes/workgroup (compile time only)
; SGPRBlocks: 5
; VGPRBlocks: 15
; NumSGPRsForWavesPerEU: 41
; NumVGPRsForWavesPerEU: 62
; Occupancy: 4
; WaveLimiterHint : 1
; COMPUTE_PGM_RSRC2:SCRATCH_EN: 1
; COMPUTE_PGM_RSRC2:USER_SGPR: 6
; COMPUTE_PGM_RSRC2:TRAP_HANDLER: 0
; COMPUTE_PGM_RSRC2:TGID_X_EN: 1
; COMPUTE_PGM_RSRC2:TGID_Y_EN: 0
; COMPUTE_PGM_RSRC2:TGID_Z_EN: 0
; COMPUTE_PGM_RSRC2:TIDIG_COMP_CNT: 0
	.section	.text._ZN9rocsolver6v33100L18trti2_kernel_smallILi25EdPKPdEEv13rocblas_fill_17rocblas_diagonal_T1_iil,"axG",@progbits,_ZN9rocsolver6v33100L18trti2_kernel_smallILi25EdPKPdEEv13rocblas_fill_17rocblas_diagonal_T1_iil,comdat
	.globl	_ZN9rocsolver6v33100L18trti2_kernel_smallILi25EdPKPdEEv13rocblas_fill_17rocblas_diagonal_T1_iil ; -- Begin function _ZN9rocsolver6v33100L18trti2_kernel_smallILi25EdPKPdEEv13rocblas_fill_17rocblas_diagonal_T1_iil
	.p2align	8
	.type	_ZN9rocsolver6v33100L18trti2_kernel_smallILi25EdPKPdEEv13rocblas_fill_17rocblas_diagonal_T1_iil,@function
_ZN9rocsolver6v33100L18trti2_kernel_smallILi25EdPKPdEEv13rocblas_fill_17rocblas_diagonal_T1_iil: ; @_ZN9rocsolver6v33100L18trti2_kernel_smallILi25EdPKPdEEv13rocblas_fill_17rocblas_diagonal_T1_iil
; %bb.0:
	s_add_u32 s0, s0, s7
	s_addc_u32 s1, s1, 0
	v_cmp_gt_u32_e32 vcc, 25, v0
	s_and_saveexec_b64 s[8:9], vcc
	s_cbranch_execz .LBB88_470
; %bb.1:
	s_load_dwordx2 s[12:13], s[4:5], 0x10
	s_load_dwordx4 s[8:11], s[4:5], 0x0
	s_ashr_i32 s7, s6, 31
	s_lshl_b64 s[6:7], s[6:7], 3
	v_lshlrev_b32_e32 v53, 3, v0
	s_waitcnt lgkmcnt(0)
	s_ashr_i32 s5, s12, 31
	s_add_u32 s6, s10, s6
	s_addc_u32 s7, s11, s7
	s_load_dwordx2 s[6:7], s[6:7], 0x0
	s_mov_b32 s4, s12
	s_lshl_b64 s[4:5], s[4:5], 3
	s_waitcnt lgkmcnt(0)
	s_add_u32 s4, s6, s4
	s_addc_u32 s5, s7, s5
	v_mov_b32_e32 v2, s5
	v_add_co_u32_e32 v1, vcc, s4, v53
	v_addc_co_u32_e32 v2, vcc, 0, v2, vcc
	flat_load_dwordx2 v[5:6], v[1:2]
	s_mov_b32 s6, s13
	s_ashr_i32 s7, s13, 31
	s_lshl_b64 s[6:7], s[6:7], 3
	v_mov_b32_e32 v4, s7
	v_add_co_u32_e32 v3, vcc, s6, v1
	v_addc_co_u32_e32 v4, vcc, v2, v4, vcc
	s_add_i32 s6, s13, s13
	v_add_u32_e32 v9, s6, v0
	v_ashrrev_i32_e32 v10, 31, v9
	v_mov_b32_e32 v11, s5
	v_add_u32_e32 v12, s13, v9
	v_ashrrev_i32_e32 v13, 31, v12
	v_mov_b32_e32 v14, s5
	v_mov_b32_e32 v15, s5
	;; [unrolled: 1-line block ×21, first 2 shown]
	s_cmpk_lg_i32 s9, 0x84
	s_cselect_b64 s[10:11], -1, 0
	s_cmpk_eq_i32 s9, 0x84
	s_waitcnt vmcnt(0) lgkmcnt(0)
	buffer_store_dword v6, off, s[0:3], 0 offset:4
	buffer_store_dword v5, off, s[0:3], 0
	flat_load_dwordx2 v[7:8], v[3:4]
	v_lshlrev_b64 v[5:6], 3, v[9:10]
	s_waitcnt vmcnt(0) lgkmcnt(0)
	buffer_store_dword v8, off, s[0:3], 0 offset:12
	buffer_store_dword v7, off, s[0:3], 0 offset:8
	v_add_co_u32_e32 v5, vcc, s4, v5
	v_addc_co_u32_e32 v6, vcc, v11, v6, vcc
	flat_load_dwordx2 v[10:11], v[5:6]
	v_lshlrev_b64 v[7:8], 3, v[12:13]
	s_waitcnt vmcnt(0) lgkmcnt(0)
	buffer_store_dword v11, off, s[0:3], 0 offset:20
	buffer_store_dword v10, off, s[0:3], 0 offset:16
	v_add_co_u32_e32 v7, vcc, s4, v7
	v_addc_co_u32_e32 v8, vcc, v14, v8, vcc
	flat_load_dwordx2 v[13:14], v[7:8]
	v_add_u32_e32 v11, s13, v12
	v_ashrrev_i32_e32 v12, 31, v11
	v_lshlrev_b64 v[9:10], 3, v[11:12]
	s_waitcnt vmcnt(0) lgkmcnt(0)
	buffer_store_dword v14, off, s[0:3], 0 offset:28
	buffer_store_dword v13, off, s[0:3], 0 offset:24
	v_add_co_u32_e32 v9, vcc, s4, v9
	v_addc_co_u32_e32 v10, vcc, v15, v10, vcc
	flat_load_dwordx2 v[13:14], v[9:10]
	v_add_u32_e32 v15, s13, v11
	v_ashrrev_i32_e32 v16, 31, v15
	v_lshlrev_b64 v[11:12], 3, v[15:16]
	v_add_u32_e32 v18, s13, v15
	v_add_co_u32_e32 v11, vcc, s4, v11
	v_addc_co_u32_e32 v12, vcc, v17, v12, vcc
	v_ashrrev_i32_e32 v19, 31, v18
	s_waitcnt vmcnt(0) lgkmcnt(0)
	buffer_store_dword v14, off, s[0:3], 0 offset:36
	buffer_store_dword v13, off, s[0:3], 0 offset:32
	flat_load_dwordx2 v[16:17], v[11:12]
	v_lshlrev_b64 v[13:14], 3, v[18:19]
	s_waitcnt vmcnt(0) lgkmcnt(0)
	buffer_store_dword v17, off, s[0:3], 0 offset:44
	buffer_store_dword v16, off, s[0:3], 0 offset:40
	v_add_co_u32_e32 v13, vcc, s4, v13
	v_addc_co_u32_e32 v14, vcc, v20, v14, vcc
	flat_load_dwordx2 v[19:20], v[13:14]
	v_add_u32_e32 v17, s13, v18
	v_ashrrev_i32_e32 v18, 31, v17
	v_lshlrev_b64 v[15:16], 3, v[17:18]
	s_waitcnt vmcnt(0) lgkmcnt(0)
	buffer_store_dword v20, off, s[0:3], 0 offset:52
	buffer_store_dword v19, off, s[0:3], 0 offset:48
	v_add_co_u32_e32 v15, vcc, s4, v15
	v_addc_co_u32_e32 v16, vcc, v21, v16, vcc
	flat_load_dwordx2 v[19:20], v[15:16]
	v_add_u32_e32 v21, s13, v17
	v_ashrrev_i32_e32 v22, 31, v21
	v_lshlrev_b64 v[17:18], 3, v[21:22]
	v_add_u32_e32 v24, s13, v21
	v_add_co_u32_e32 v17, vcc, s4, v17
	v_addc_co_u32_e32 v18, vcc, v23, v18, vcc
	v_ashrrev_i32_e32 v25, 31, v24
	s_waitcnt vmcnt(0) lgkmcnt(0)
	buffer_store_dword v20, off, s[0:3], 0 offset:60
	buffer_store_dword v19, off, s[0:3], 0 offset:56
	;; [unrolled: 27-line block ×6, first 2 shown]
	flat_load_dwordx2 v[46:47], v[41:42]
	v_lshlrev_b64 v[43:44], 3, v[48:49]
	s_waitcnt vmcnt(0) lgkmcnt(0)
	buffer_store_dword v47, off, s[0:3], 0 offset:164
	buffer_store_dword v46, off, s[0:3], 0 offset:160
	v_add_co_u32_e32 v43, vcc, s4, v43
	v_addc_co_u32_e32 v44, vcc, v50, v44, vcc
	flat_load_dwordx2 v[49:50], v[43:44]
	v_add_u32_e32 v47, s13, v48
	v_ashrrev_i32_e32 v48, 31, v47
	v_lshlrev_b64 v[45:46], 3, v[47:48]
	s_waitcnt vmcnt(0) lgkmcnt(0)
	buffer_store_dword v50, off, s[0:3], 0 offset:172
	buffer_store_dword v49, off, s[0:3], 0 offset:168
	v_add_co_u32_e32 v45, vcc, s4, v45
	v_addc_co_u32_e32 v46, vcc, v51, v46, vcc
	flat_load_dwordx2 v[49:50], v[45:46]
	v_add_u32_e32 v51, s13, v47
	v_ashrrev_i32_e32 v52, 31, v51
	v_lshlrev_b64 v[47:48], 3, v[51:52]
	v_mov_b32_e32 v52, s5
	v_add_co_u32_e32 v47, vcc, s4, v47
	v_addc_co_u32_e32 v48, vcc, v54, v48, vcc
	s_waitcnt vmcnt(0) lgkmcnt(0)
	buffer_store_dword v50, off, s[0:3], 0 offset:180
	buffer_store_dword v49, off, s[0:3], 0 offset:176
	flat_load_dwordx2 v[54:55], v[47:48]
	v_add_u32_e32 v49, s13, v51
	v_ashrrev_i32_e32 v50, 31, v49
	v_lshlrev_b64 v[49:50], 3, v[49:50]
	s_waitcnt vmcnt(0) lgkmcnt(0)
	buffer_store_dword v55, off, s[0:3], 0 offset:188
	buffer_store_dword v54, off, s[0:3], 0 offset:184
	v_add_co_u32_e32 v49, vcc, s4, v49
	v_addc_co_u32_e32 v50, vcc, v52, v50, vcc
	flat_load_dwordx2 v[54:55], v[49:50]
	v_mov_b32_e32 v51, 0
	v_mov_b32_e32 v52, 0xbff00000
	s_waitcnt vmcnt(0) lgkmcnt(0)
	buffer_store_dword v55, off, s[0:3], 0 offset:196
	buffer_store_dword v54, off, s[0:3], 0 offset:192
	s_cbranch_scc1 .LBB88_3
; %bb.2:
	v_mov_b32_e32 v51, 0
	v_lshl_add_u32 v62, v0, 3, v51
	buffer_load_dword v51, v62, s[0:3], 0 offen
	buffer_load_dword v52, v62, s[0:3], 0 offen offset:4
	s_waitcnt vmcnt(0)
	v_div_scale_f64 v[54:55], s[4:5], v[51:52], v[51:52], 1.0
	v_rcp_f64_e32 v[56:57], v[54:55]
	v_fma_f64 v[58:59], -v[54:55], v[56:57], 1.0
	v_fma_f64 v[56:57], v[56:57], v[58:59], v[56:57]
	v_div_scale_f64 v[58:59], vcc, 1.0, v[51:52], 1.0
	v_fma_f64 v[60:61], -v[54:55], v[56:57], 1.0
	v_fma_f64 v[56:57], v[56:57], v[60:61], v[56:57]
	v_mul_f64 v[60:61], v[58:59], v[56:57]
	v_fma_f64 v[54:55], -v[54:55], v[60:61], v[58:59]
	v_div_fmas_f64 v[54:55], v[54:55], v[56:57], v[60:61]
	v_div_fixup_f64 v[51:52], v[54:55], v[51:52], 1.0
	buffer_store_dword v51, v62, s[0:3], 0 offen
	buffer_store_dword v52, v62, s[0:3], 0 offen offset:4
	v_xor_b32_e32 v52, 0x80000000, v52
.LBB88_3:
	s_cmpk_eq_i32 s8, 0x79
	v_add_u32_e32 v54, 0xd0, v53
	v_mov_b32_e32 v55, v53
	s_mov_b64 s[4:5], -1
	ds_write_b64 v53, v[51:52]
	s_cbranch_scc1 .LBB88_237
; %bb.4:
	buffer_load_dword v51, off, s[0:3], 0 offset:184
	buffer_load_dword v52, off, s[0:3], 0 offset:188
	s_movk_i32 s12, 0x48
	s_movk_i32 s13, 0x50
	;; [unrolled: 1-line block ×14, first 2 shown]
	v_cmp_eq_u32_e64 s[4:5], 24, v0
	s_waitcnt vmcnt(0)
	ds_write_b64 v54, v[51:52]
	s_waitcnt lgkmcnt(0)
	; wave barrier
	s_and_saveexec_b64 s[6:7], s[4:5]
	s_cbranch_execz .LBB88_10
; %bb.5:
	s_and_b64 vcc, exec, s[10:11]
	s_cbranch_vccz .LBB88_7
; %bb.6:
	buffer_load_dword v51, v55, s[0:3], 0 offen
	buffer_load_dword v52, v55, s[0:3], 0 offen offset:4
	ds_read_b64 v[56:57], v54
	s_waitcnt vmcnt(0) lgkmcnt(0)
	v_mul_f64 v[51:52], v[51:52], v[56:57]
	s_cbranch_execz .LBB88_8
	s_branch .LBB88_9
.LBB88_7:
                                        ; implicit-def: $vgpr51_vgpr52
.LBB88_8:
	ds_read_b64 v[51:52], v54
.LBB88_9:
	v_mov_b32_e32 v56, 0
	ds_read_b64 v[56:57], v56 offset:184
	s_waitcnt lgkmcnt(0)
	v_mul_f64 v[51:52], v[51:52], v[56:57]
	buffer_store_dword v52, off, s[0:3], 0 offset:188
	buffer_store_dword v51, off, s[0:3], 0 offset:184
.LBB88_10:
	s_or_b64 exec, exec, s[6:7]
	buffer_load_dword v51, off, s[0:3], 0 offset:176
	buffer_load_dword v52, off, s[0:3], 0 offset:180
	s_or_b32 s14, 0, 8
	s_mov_b32 s15, 16
	s_mov_b32 s16, 24
	;; [unrolled: 1-line block ×9, first 2 shown]
	v_cmp_lt_u32_e64 s[6:7], 22, v0
	s_waitcnt vmcnt(0)
	ds_write_b64 v54, v[51:52]
	s_waitcnt lgkmcnt(0)
	; wave barrier
	s_and_saveexec_b64 s[8:9], s[6:7]
	s_cbranch_execz .LBB88_16
; %bb.11:
	s_andn2_b64 vcc, exec, s[10:11]
	s_cbranch_vccnz .LBB88_13
; %bb.12:
	buffer_load_dword v51, v55, s[0:3], 0 offen
	buffer_load_dword v52, v55, s[0:3], 0 offen offset:4
	ds_read_b64 v[56:57], v54
	s_waitcnt vmcnt(0) lgkmcnt(0)
	v_mul_f64 v[51:52], v[51:52], v[56:57]
	s_cbranch_execz .LBB88_14
	s_branch .LBB88_15
.LBB88_13:
                                        ; implicit-def: $vgpr51_vgpr52
.LBB88_14:
	ds_read_b64 v[51:52], v54
.LBB88_15:
	buffer_load_dword v60, off, s[0:3], 0 offset:184
	buffer_load_dword v61, off, s[0:3], 0 offset:188
	v_mov_b32_e32 v56, 0
	ds_read2_b64 v[56:59], v56 offset0:22 offset1:49
	s_waitcnt vmcnt(0) lgkmcnt(0)
	v_fma_f64 v[58:59], v[60:61], v[58:59], v[51:52]
	v_cndmask_b32_e64 v52, v52, v59, s[4:5]
	v_cndmask_b32_e64 v51, v51, v58, s[4:5]
	v_mul_f64 v[51:52], v[51:52], v[56:57]
	buffer_store_dword v52, off, s[0:3], 0 offset:180
	buffer_store_dword v51, off, s[0:3], 0 offset:176
.LBB88_16:
	s_or_b64 exec, exec, s[8:9]
	buffer_load_dword v51, off, s[0:3], 0 offset:168
	buffer_load_dword v52, off, s[0:3], 0 offset:172
	v_cmp_lt_u32_e64 s[4:5], 21, v0
	s_waitcnt vmcnt(0)
	ds_write_b64 v54, v[51:52]
	s_waitcnt lgkmcnt(0)
	; wave barrier
	s_and_saveexec_b64 s[8:9], s[4:5]
	s_cbranch_execz .LBB88_26
; %bb.17:
	s_andn2_b64 vcc, exec, s[10:11]
	s_cbranch_vccnz .LBB88_19
; %bb.18:
	buffer_load_dword v51, v55, s[0:3], 0 offen
	buffer_load_dword v52, v55, s[0:3], 0 offen offset:4
	ds_read_b64 v[56:57], v54
	s_waitcnt vmcnt(0) lgkmcnt(0)
	v_mul_f64 v[51:52], v[51:52], v[56:57]
	s_cbranch_execz .LBB88_20
	s_branch .LBB88_21
.LBB88_19:
                                        ; implicit-def: $vgpr51_vgpr52
.LBB88_20:
	ds_read_b64 v[51:52], v54
.LBB88_21:
	s_and_saveexec_b64 s[12:13], s[6:7]
	s_cbranch_execz .LBB88_25
; %bb.22:
	v_subrev_u32_e32 v56, 22, v0
	s_movk_i32 s37, 0x180
	s_mov_b64 s[6:7], 0
.LBB88_23:                              ; =>This Inner Loop Header: Depth=1
	v_mov_b32_e32 v59, s36
	buffer_load_dword v57, v59, s[0:3], 0 offen
	buffer_load_dword v58, v59, s[0:3], 0 offen offset:4
	v_mov_b32_e32 v59, s37
	ds_read_b64 v[59:60], v59
	v_add_u32_e32 v56, -1, v56
	s_add_i32 s37, s37, 8
	s_add_i32 s36, s36, 8
	v_cmp_eq_u32_e32 vcc, 0, v56
	s_or_b64 s[6:7], vcc, s[6:7]
	s_waitcnt vmcnt(0) lgkmcnt(0)
	v_fma_f64 v[51:52], v[57:58], v[59:60], v[51:52]
	s_andn2_b64 exec, exec, s[6:7]
	s_cbranch_execnz .LBB88_23
; %bb.24:
	s_or_b64 exec, exec, s[6:7]
.LBB88_25:
	s_or_b64 exec, exec, s[12:13]
	v_mov_b32_e32 v56, 0
	ds_read_b64 v[56:57], v56 offset:168
	s_waitcnt lgkmcnt(0)
	v_mul_f64 v[51:52], v[51:52], v[56:57]
	buffer_store_dword v52, off, s[0:3], 0 offset:172
	buffer_store_dword v51, off, s[0:3], 0 offset:168
.LBB88_26:
	s_or_b64 exec, exec, s[8:9]
	buffer_load_dword v51, off, s[0:3], 0 offset:160
	buffer_load_dword v52, off, s[0:3], 0 offset:164
	v_cmp_lt_u32_e64 s[6:7], 20, v0
	s_waitcnt vmcnt(0)
	ds_write_b64 v54, v[51:52]
	s_waitcnt lgkmcnt(0)
	; wave barrier
	s_and_saveexec_b64 s[8:9], s[6:7]
	s_cbranch_execz .LBB88_36
; %bb.27:
	s_andn2_b64 vcc, exec, s[10:11]
	s_cbranch_vccnz .LBB88_29
; %bb.28:
	buffer_load_dword v51, v55, s[0:3], 0 offen
	buffer_load_dword v52, v55, s[0:3], 0 offen offset:4
	ds_read_b64 v[56:57], v54
	s_waitcnt vmcnt(0) lgkmcnt(0)
	v_mul_f64 v[51:52], v[51:52], v[56:57]
	s_cbranch_execz .LBB88_30
	s_branch .LBB88_31
.LBB88_29:
                                        ; implicit-def: $vgpr51_vgpr52
.LBB88_30:
	ds_read_b64 v[51:52], v54
.LBB88_31:
	s_and_saveexec_b64 s[12:13], s[4:5]
	s_cbranch_execz .LBB88_35
; %bb.32:
	v_subrev_u32_e32 v56, 21, v0
	s_movk_i32 s36, 0x178
	s_mov_b64 s[4:5], 0
.LBB88_33:                              ; =>This Inner Loop Header: Depth=1
	v_mov_b32_e32 v59, s35
	buffer_load_dword v57, v59, s[0:3], 0 offen
	buffer_load_dword v58, v59, s[0:3], 0 offen offset:4
	v_mov_b32_e32 v59, s36
	ds_read_b64 v[59:60], v59
	v_add_u32_e32 v56, -1, v56
	s_add_i32 s36, s36, 8
	s_add_i32 s35, s35, 8
	v_cmp_eq_u32_e32 vcc, 0, v56
	s_or_b64 s[4:5], vcc, s[4:5]
	s_waitcnt vmcnt(0) lgkmcnt(0)
	v_fma_f64 v[51:52], v[57:58], v[59:60], v[51:52]
	s_andn2_b64 exec, exec, s[4:5]
	s_cbranch_execnz .LBB88_33
; %bb.34:
	s_or_b64 exec, exec, s[4:5]
.LBB88_35:
	s_or_b64 exec, exec, s[12:13]
	v_mov_b32_e32 v56, 0
	ds_read_b64 v[56:57], v56 offset:160
	s_waitcnt lgkmcnt(0)
	v_mul_f64 v[51:52], v[51:52], v[56:57]
	buffer_store_dword v52, off, s[0:3], 0 offset:164
	buffer_store_dword v51, off, s[0:3], 0 offset:160
.LBB88_36:
	;; [unrolled: 58-line block ×6, first 2 shown]
	s_or_b64 exec, exec, s[8:9]
	buffer_load_dword v51, off, s[0:3], 0 offset:120
	buffer_load_dword v52, off, s[0:3], 0 offset:124
	v_cmp_lt_u32_e64 s[4:5], 15, v0
	s_waitcnt vmcnt(0)
	ds_write_b64 v54, v[51:52]
	s_waitcnt lgkmcnt(0)
	; wave barrier
	s_and_saveexec_b64 s[8:9], s[4:5]
	s_cbranch_execz .LBB88_86
; %bb.77:
	s_andn2_b64 vcc, exec, s[10:11]
	s_cbranch_vccnz .LBB88_79
; %bb.78:
	buffer_load_dword v51, v55, s[0:3], 0 offen
	buffer_load_dword v52, v55, s[0:3], 0 offen offset:4
	ds_read_b64 v[56:57], v54
	s_waitcnt vmcnt(0) lgkmcnt(0)
	v_mul_f64 v[51:52], v[51:52], v[56:57]
	s_cbranch_execz .LBB88_80
	s_branch .LBB88_81
.LBB88_79:
                                        ; implicit-def: $vgpr51_vgpr52
.LBB88_80:
	ds_read_b64 v[51:52], v54
.LBB88_81:
	s_and_saveexec_b64 s[12:13], s[6:7]
	s_cbranch_execz .LBB88_85
; %bb.82:
	v_add_u32_e32 v56, -16, v0
	s_movk_i32 s30, 0x150
	s_mov_b64 s[6:7], 0
.LBB88_83:                              ; =>This Inner Loop Header: Depth=1
	v_mov_b32_e32 v59, s29
	buffer_load_dword v57, v59, s[0:3], 0 offen
	buffer_load_dword v58, v59, s[0:3], 0 offen offset:4
	v_mov_b32_e32 v59, s30
	ds_read_b64 v[59:60], v59
	v_add_u32_e32 v56, -1, v56
	s_add_i32 s30, s30, 8
	s_add_i32 s29, s29, 8
	v_cmp_eq_u32_e32 vcc, 0, v56
	s_or_b64 s[6:7], vcc, s[6:7]
	s_waitcnt vmcnt(0) lgkmcnt(0)
	v_fma_f64 v[51:52], v[57:58], v[59:60], v[51:52]
	s_andn2_b64 exec, exec, s[6:7]
	s_cbranch_execnz .LBB88_83
; %bb.84:
	s_or_b64 exec, exec, s[6:7]
.LBB88_85:
	s_or_b64 exec, exec, s[12:13]
	v_mov_b32_e32 v56, 0
	ds_read_b64 v[56:57], v56 offset:120
	s_waitcnt lgkmcnt(0)
	v_mul_f64 v[51:52], v[51:52], v[56:57]
	buffer_store_dword v52, off, s[0:3], 0 offset:124
	buffer_store_dword v51, off, s[0:3], 0 offset:120
.LBB88_86:
	s_or_b64 exec, exec, s[8:9]
	buffer_load_dword v51, off, s[0:3], 0 offset:112
	buffer_load_dword v52, off, s[0:3], 0 offset:116
	v_cmp_lt_u32_e64 s[6:7], 14, v0
	s_waitcnt vmcnt(0)
	ds_write_b64 v54, v[51:52]
	s_waitcnt lgkmcnt(0)
	; wave barrier
	s_and_saveexec_b64 s[8:9], s[6:7]
	s_cbranch_execz .LBB88_96
; %bb.87:
	s_andn2_b64 vcc, exec, s[10:11]
	s_cbranch_vccnz .LBB88_89
; %bb.88:
	buffer_load_dword v51, v55, s[0:3], 0 offen
	buffer_load_dword v52, v55, s[0:3], 0 offen offset:4
	ds_read_b64 v[56:57], v54
	s_waitcnt vmcnt(0) lgkmcnt(0)
	v_mul_f64 v[51:52], v[51:52], v[56:57]
	s_cbranch_execz .LBB88_90
	s_branch .LBB88_91
.LBB88_89:
                                        ; implicit-def: $vgpr51_vgpr52
.LBB88_90:
	ds_read_b64 v[51:52], v54
.LBB88_91:
	s_and_saveexec_b64 s[12:13], s[4:5]
	s_cbranch_execz .LBB88_95
; %bb.92:
	v_add_u32_e32 v56, -15, v0
	s_movk_i32 s29, 0x148
	s_mov_b64 s[4:5], 0
.LBB88_93:                              ; =>This Inner Loop Header: Depth=1
	v_mov_b32_e32 v59, s28
	buffer_load_dword v57, v59, s[0:3], 0 offen
	buffer_load_dword v58, v59, s[0:3], 0 offen offset:4
	v_mov_b32_e32 v59, s29
	ds_read_b64 v[59:60], v59
	v_add_u32_e32 v56, -1, v56
	s_add_i32 s29, s29, 8
	s_add_i32 s28, s28, 8
	v_cmp_eq_u32_e32 vcc, 0, v56
	s_or_b64 s[4:5], vcc, s[4:5]
	s_waitcnt vmcnt(0) lgkmcnt(0)
	v_fma_f64 v[51:52], v[57:58], v[59:60], v[51:52]
	s_andn2_b64 exec, exec, s[4:5]
	s_cbranch_execnz .LBB88_93
; %bb.94:
	s_or_b64 exec, exec, s[4:5]
.LBB88_95:
	s_or_b64 exec, exec, s[12:13]
	v_mov_b32_e32 v56, 0
	ds_read_b64 v[56:57], v56 offset:112
	s_waitcnt lgkmcnt(0)
	v_mul_f64 v[51:52], v[51:52], v[56:57]
	buffer_store_dword v52, off, s[0:3], 0 offset:116
	buffer_store_dword v51, off, s[0:3], 0 offset:112
.LBB88_96:
	s_or_b64 exec, exec, s[8:9]
	buffer_load_dword v51, off, s[0:3], 0 offset:104
	buffer_load_dword v52, off, s[0:3], 0 offset:108
	v_cmp_lt_u32_e64 s[4:5], 13, v0
	s_waitcnt vmcnt(0)
	ds_write_b64 v54, v[51:52]
	s_waitcnt lgkmcnt(0)
	; wave barrier
	s_and_saveexec_b64 s[8:9], s[4:5]
	s_cbranch_execz .LBB88_106
; %bb.97:
	s_andn2_b64 vcc, exec, s[10:11]
	s_cbranch_vccnz .LBB88_99
; %bb.98:
	buffer_load_dword v51, v55, s[0:3], 0 offen
	buffer_load_dword v52, v55, s[0:3], 0 offen offset:4
	ds_read_b64 v[56:57], v54
	s_waitcnt vmcnt(0) lgkmcnt(0)
	v_mul_f64 v[51:52], v[51:52], v[56:57]
	s_cbranch_execz .LBB88_100
	s_branch .LBB88_101
.LBB88_99:
                                        ; implicit-def: $vgpr51_vgpr52
.LBB88_100:
	ds_read_b64 v[51:52], v54
.LBB88_101:
	s_and_saveexec_b64 s[12:13], s[6:7]
	s_cbranch_execz .LBB88_105
; %bb.102:
	v_add_u32_e32 v56, -14, v0
	s_movk_i32 s28, 0x140
	s_mov_b64 s[6:7], 0
.LBB88_103:                             ; =>This Inner Loop Header: Depth=1
	v_mov_b32_e32 v59, s27
	buffer_load_dword v57, v59, s[0:3], 0 offen
	buffer_load_dword v58, v59, s[0:3], 0 offen offset:4
	v_mov_b32_e32 v59, s28
	ds_read_b64 v[59:60], v59
	v_add_u32_e32 v56, -1, v56
	s_add_i32 s28, s28, 8
	s_add_i32 s27, s27, 8
	v_cmp_eq_u32_e32 vcc, 0, v56
	s_or_b64 s[6:7], vcc, s[6:7]
	s_waitcnt vmcnt(0) lgkmcnt(0)
	v_fma_f64 v[51:52], v[57:58], v[59:60], v[51:52]
	s_andn2_b64 exec, exec, s[6:7]
	s_cbranch_execnz .LBB88_103
; %bb.104:
	s_or_b64 exec, exec, s[6:7]
.LBB88_105:
	s_or_b64 exec, exec, s[12:13]
	v_mov_b32_e32 v56, 0
	ds_read_b64 v[56:57], v56 offset:104
	s_waitcnt lgkmcnt(0)
	v_mul_f64 v[51:52], v[51:52], v[56:57]
	buffer_store_dword v52, off, s[0:3], 0 offset:108
	buffer_store_dword v51, off, s[0:3], 0 offset:104
.LBB88_106:
	s_or_b64 exec, exec, s[8:9]
	buffer_load_dword v51, off, s[0:3], 0 offset:96
	buffer_load_dword v52, off, s[0:3], 0 offset:100
	v_cmp_lt_u32_e64 s[6:7], 12, v0
	s_waitcnt vmcnt(0)
	ds_write_b64 v54, v[51:52]
	s_waitcnt lgkmcnt(0)
	; wave barrier
	s_and_saveexec_b64 s[8:9], s[6:7]
	s_cbranch_execz .LBB88_116
; %bb.107:
	s_andn2_b64 vcc, exec, s[10:11]
	s_cbranch_vccnz .LBB88_109
; %bb.108:
	buffer_load_dword v51, v55, s[0:3], 0 offen
	buffer_load_dword v52, v55, s[0:3], 0 offen offset:4
	ds_read_b64 v[56:57], v54
	s_waitcnt vmcnt(0) lgkmcnt(0)
	v_mul_f64 v[51:52], v[51:52], v[56:57]
	s_cbranch_execz .LBB88_110
	s_branch .LBB88_111
.LBB88_109:
                                        ; implicit-def: $vgpr51_vgpr52
.LBB88_110:
	ds_read_b64 v[51:52], v54
.LBB88_111:
	s_and_saveexec_b64 s[12:13], s[4:5]
	s_cbranch_execz .LBB88_115
; %bb.112:
	v_add_u32_e32 v56, -13, v0
	s_movk_i32 s27, 0x138
	s_mov_b64 s[4:5], 0
.LBB88_113:                             ; =>This Inner Loop Header: Depth=1
	v_mov_b32_e32 v59, s26
	buffer_load_dword v57, v59, s[0:3], 0 offen
	buffer_load_dword v58, v59, s[0:3], 0 offen offset:4
	v_mov_b32_e32 v59, s27
	ds_read_b64 v[59:60], v59
	v_add_u32_e32 v56, -1, v56
	s_add_i32 s27, s27, 8
	s_add_i32 s26, s26, 8
	v_cmp_eq_u32_e32 vcc, 0, v56
	s_or_b64 s[4:5], vcc, s[4:5]
	s_waitcnt vmcnt(0) lgkmcnt(0)
	v_fma_f64 v[51:52], v[57:58], v[59:60], v[51:52]
	s_andn2_b64 exec, exec, s[4:5]
	s_cbranch_execnz .LBB88_113
; %bb.114:
	s_or_b64 exec, exec, s[4:5]
.LBB88_115:
	s_or_b64 exec, exec, s[12:13]
	v_mov_b32_e32 v56, 0
	ds_read_b64 v[56:57], v56 offset:96
	s_waitcnt lgkmcnt(0)
	v_mul_f64 v[51:52], v[51:52], v[56:57]
	buffer_store_dword v52, off, s[0:3], 0 offset:100
	buffer_store_dword v51, off, s[0:3], 0 offset:96
.LBB88_116:
	;; [unrolled: 58-line block ×13, first 2 shown]
	s_or_b64 exec, exec, s[8:9]
	buffer_load_dword v51, off, s[0:3], 0
	buffer_load_dword v52, off, s[0:3], 0 offset:4
	v_cmp_ne_u32_e32 vcc, 0, v0
	s_waitcnt vmcnt(0)
	ds_write_b64 v54, v[51:52]
	s_waitcnt lgkmcnt(0)
	; wave barrier
	s_and_saveexec_b64 s[6:7], vcc
	s_cbranch_execz .LBB88_236
; %bb.227:
	s_andn2_b64 vcc, exec, s[10:11]
	s_cbranch_vccnz .LBB88_229
; %bb.228:
	buffer_load_dword v51, v55, s[0:3], 0 offen
	buffer_load_dword v52, v55, s[0:3], 0 offen offset:4
	ds_read_b64 v[56:57], v54
	s_waitcnt vmcnt(0) lgkmcnt(0)
	v_mul_f64 v[51:52], v[51:52], v[56:57]
	s_cbranch_execz .LBB88_230
	s_branch .LBB88_231
.LBB88_229:
                                        ; implicit-def: $vgpr51_vgpr52
.LBB88_230:
	ds_read_b64 v[51:52], v54
.LBB88_231:
	s_and_saveexec_b64 s[8:9], s[4:5]
	s_cbranch_execz .LBB88_235
; %bb.232:
	v_add_u32_e32 v56, -1, v0
	s_movk_i32 s12, 0xd8
	s_mov_b64 s[4:5], 0
.LBB88_233:                             ; =>This Inner Loop Header: Depth=1
	v_mov_b32_e32 v59, s14
	buffer_load_dword v57, v59, s[0:3], 0 offen
	buffer_load_dword v58, v59, s[0:3], 0 offen offset:4
	v_mov_b32_e32 v59, s12
	ds_read_b64 v[59:60], v59
	v_add_u32_e32 v56, -1, v56
	s_add_i32 s12, s12, 8
	s_add_i32 s14, s14, 8
	v_cmp_eq_u32_e32 vcc, 0, v56
	s_or_b64 s[4:5], vcc, s[4:5]
	s_waitcnt vmcnt(0) lgkmcnt(0)
	v_fma_f64 v[51:52], v[57:58], v[59:60], v[51:52]
	s_andn2_b64 exec, exec, s[4:5]
	s_cbranch_execnz .LBB88_233
; %bb.234:
	s_or_b64 exec, exec, s[4:5]
.LBB88_235:
	s_or_b64 exec, exec, s[8:9]
	v_mov_b32_e32 v56, 0
	ds_read_b64 v[56:57], v56
	s_waitcnt lgkmcnt(0)
	v_mul_f64 v[51:52], v[51:52], v[56:57]
	buffer_store_dword v52, off, s[0:3], 0 offset:4
	buffer_store_dword v51, off, s[0:3], 0
.LBB88_236:
	s_or_b64 exec, exec, s[6:7]
	s_mov_b64 s[4:5], 0
.LBB88_237:
	s_and_b64 vcc, exec, s[4:5]
	s_cbranch_vccz .LBB88_469
; %bb.238:
	buffer_load_dword v51, off, s[0:3], 0 offset:8
	buffer_load_dword v52, off, s[0:3], 0 offset:12
	v_cmp_eq_u32_e64 s[6:7], 0, v0
	s_waitcnt vmcnt(0)
	ds_write_b64 v54, v[51:52]
	s_waitcnt lgkmcnt(0)
	; wave barrier
	s_and_saveexec_b64 s[4:5], s[6:7]
	s_cbranch_execz .LBB88_244
; %bb.239:
	s_and_b64 vcc, exec, s[10:11]
	s_cbranch_vccz .LBB88_241
; %bb.240:
	buffer_load_dword v51, v55, s[0:3], 0 offen
	buffer_load_dword v52, v55, s[0:3], 0 offen offset:4
	ds_read_b64 v[56:57], v54
	s_waitcnt vmcnt(0) lgkmcnt(0)
	v_mul_f64 v[51:52], v[51:52], v[56:57]
	s_cbranch_execz .LBB88_242
	s_branch .LBB88_243
.LBB88_241:
                                        ; implicit-def: $vgpr51_vgpr52
.LBB88_242:
	ds_read_b64 v[51:52], v54
.LBB88_243:
	v_mov_b32_e32 v56, 0
	ds_read_b64 v[56:57], v56 offset:8
	s_waitcnt lgkmcnt(0)
	v_mul_f64 v[51:52], v[51:52], v[56:57]
	buffer_store_dword v52, off, s[0:3], 0 offset:12
	buffer_store_dword v51, off, s[0:3], 0 offset:8
.LBB88_244:
	s_or_b64 exec, exec, s[4:5]
	buffer_load_dword v51, off, s[0:3], 0 offset:16
	buffer_load_dword v52, off, s[0:3], 0 offset:20
	v_cndmask_b32_e64 v56, 0, 1, s[10:11]
	v_cmp_gt_u32_e32 vcc, 2, v0
	v_cmp_ne_u32_e64 s[4:5], 1, v56
	s_waitcnt vmcnt(0)
	ds_write_b64 v54, v[51:52]
	s_waitcnt lgkmcnt(0)
	; wave barrier
	s_and_saveexec_b64 s[8:9], vcc
	s_cbranch_execz .LBB88_250
; %bb.245:
	s_and_b64 vcc, exec, s[4:5]
	s_cbranch_vccnz .LBB88_247
; %bb.246:
	buffer_load_dword v51, v55, s[0:3], 0 offen
	buffer_load_dword v52, v55, s[0:3], 0 offen offset:4
	ds_read_b64 v[56:57], v54
	s_waitcnt vmcnt(0) lgkmcnt(0)
	v_mul_f64 v[51:52], v[51:52], v[56:57]
	s_cbranch_execz .LBB88_248
	s_branch .LBB88_249
.LBB88_247:
                                        ; implicit-def: $vgpr51_vgpr52
.LBB88_248:
	ds_read_b64 v[51:52], v54
.LBB88_249:
	buffer_load_dword v60, off, s[0:3], 0 offset:8
	buffer_load_dword v61, off, s[0:3], 0 offset:12
	v_mov_b32_e32 v56, 0
	ds_read2_b64 v[56:59], v56 offset0:2 offset1:27
	s_waitcnt vmcnt(0) lgkmcnt(0)
	v_fma_f64 v[58:59], v[60:61], v[58:59], v[51:52]
	v_cndmask_b32_e64 v52, v52, v59, s[6:7]
	v_cndmask_b32_e64 v51, v51, v58, s[6:7]
	v_mul_f64 v[51:52], v[51:52], v[56:57]
	buffer_store_dword v52, off, s[0:3], 0 offset:20
	buffer_store_dword v51, off, s[0:3], 0 offset:16
.LBB88_250:
	s_or_b64 exec, exec, s[8:9]
	buffer_load_dword v51, off, s[0:3], 0 offset:24
	buffer_load_dword v52, off, s[0:3], 0 offset:28
	v_cmp_gt_u32_e32 vcc, 3, v0
	s_waitcnt vmcnt(0)
	ds_write_b64 v54, v[51:52]
	s_waitcnt lgkmcnt(0)
	; wave barrier
	s_and_saveexec_b64 s[8:9], vcc
	s_cbranch_execz .LBB88_258
; %bb.251:
	s_and_b64 vcc, exec, s[4:5]
	s_cbranch_vccnz .LBB88_253
; %bb.252:
	buffer_load_dword v51, v55, s[0:3], 0 offen
	buffer_load_dword v52, v55, s[0:3], 0 offen offset:4
	ds_read_b64 v[56:57], v54
	s_waitcnt vmcnt(0) lgkmcnt(0)
	v_mul_f64 v[51:52], v[51:52], v[56:57]
	s_cbranch_execz .LBB88_254
	s_branch .LBB88_255
.LBB88_253:
                                        ; implicit-def: $vgpr51_vgpr52
.LBB88_254:
	ds_read_b64 v[51:52], v54
.LBB88_255:
	v_cmp_ne_u32_e32 vcc, 2, v0
	s_and_saveexec_b64 s[10:11], vcc
	s_cbranch_execz .LBB88_257
; %bb.256:
	buffer_load_dword v56, v55, s[0:3], 0 offen offset:8
	buffer_load_dword v57, v55, s[0:3], 0 offen offset:12
	buffer_load_dword v58, off, s[0:3], 0 offset:16
	buffer_load_dword v59, off, s[0:3], 0 offset:20
	ds_read_b64 v[60:61], v54 offset:8
	v_mov_b32_e32 v62, 0
	ds_read_b64 v[62:63], v62 offset:224
	s_waitcnt vmcnt(2) lgkmcnt(1)
	v_fma_f64 v[51:52], v[56:57], v[60:61], v[51:52]
	s_waitcnt vmcnt(0) lgkmcnt(0)
	v_fma_f64 v[56:57], v[58:59], v[62:63], v[51:52]
	v_cndmask_b32_e64 v52, v52, v57, s[6:7]
	v_cndmask_b32_e64 v51, v51, v56, s[6:7]
.LBB88_257:
	s_or_b64 exec, exec, s[10:11]
	v_mov_b32_e32 v56, 0
	ds_read_b64 v[56:57], v56 offset:24
	s_waitcnt lgkmcnt(0)
	v_mul_f64 v[51:52], v[51:52], v[56:57]
	buffer_store_dword v52, off, s[0:3], 0 offset:28
	buffer_store_dword v51, off, s[0:3], 0 offset:24
.LBB88_258:
	s_or_b64 exec, exec, s[8:9]
	buffer_load_dword v51, off, s[0:3], 0 offset:32
	buffer_load_dword v52, off, s[0:3], 0 offset:36
	v_cmp_gt_u32_e32 vcc, 4, v0
	s_waitcnt vmcnt(0)
	ds_write_b64 v54, v[51:52]
	s_waitcnt lgkmcnt(0)
	; wave barrier
	s_and_saveexec_b64 s[6:7], vcc
	s_cbranch_execz .LBB88_268
; %bb.259:
	s_and_b64 vcc, exec, s[4:5]
	s_cbranch_vccnz .LBB88_261
; %bb.260:
	buffer_load_dword v51, v55, s[0:3], 0 offen
	buffer_load_dword v52, v55, s[0:3], 0 offen offset:4
	ds_read_b64 v[56:57], v54
	s_waitcnt vmcnt(0) lgkmcnt(0)
	v_mul_f64 v[51:52], v[51:52], v[56:57]
	s_cbranch_execz .LBB88_262
	s_branch .LBB88_263
.LBB88_261:
                                        ; implicit-def: $vgpr51_vgpr52
.LBB88_262:
	ds_read_b64 v[51:52], v54
.LBB88_263:
	v_cmp_ne_u32_e32 vcc, 3, v0
	s_and_saveexec_b64 s[8:9], vcc
	s_cbranch_execz .LBB88_267
; %bb.264:
	s_mov_b32 s10, 0
	v_add_u32_e32 v56, 0xd8, v53
	v_add3_u32 v57, v53, s10, 8
	s_mov_b64 s[10:11], 0
	v_mov_b32_e32 v58, v0
.LBB88_265:                             ; =>This Inner Loop Header: Depth=1
	buffer_load_dword v59, v57, s[0:3], 0 offen
	buffer_load_dword v60, v57, s[0:3], 0 offen offset:4
	ds_read_b64 v[61:62], v56
	v_add_u32_e32 v58, 1, v58
	v_cmp_lt_u32_e32 vcc, 2, v58
	v_add_u32_e32 v56, 8, v56
	s_or_b64 s[10:11], vcc, s[10:11]
	v_add_u32_e32 v57, 8, v57
	s_waitcnt vmcnt(0) lgkmcnt(0)
	v_fma_f64 v[51:52], v[59:60], v[61:62], v[51:52]
	s_andn2_b64 exec, exec, s[10:11]
	s_cbranch_execnz .LBB88_265
; %bb.266:
	s_or_b64 exec, exec, s[10:11]
.LBB88_267:
	s_or_b64 exec, exec, s[8:9]
	v_mov_b32_e32 v56, 0
	ds_read_b64 v[56:57], v56 offset:32
	s_waitcnt lgkmcnt(0)
	v_mul_f64 v[51:52], v[51:52], v[56:57]
	buffer_store_dword v52, off, s[0:3], 0 offset:36
	buffer_store_dword v51, off, s[0:3], 0 offset:32
.LBB88_268:
	s_or_b64 exec, exec, s[6:7]
	buffer_load_dword v51, off, s[0:3], 0 offset:40
	buffer_load_dword v52, off, s[0:3], 0 offset:44
	v_cmp_gt_u32_e32 vcc, 5, v0
	s_waitcnt vmcnt(0)
	ds_write_b64 v54, v[51:52]
	s_waitcnt lgkmcnt(0)
	; wave barrier
	s_and_saveexec_b64 s[6:7], vcc
	s_cbranch_execz .LBB88_278
; %bb.269:
	s_and_b64 vcc, exec, s[4:5]
	s_cbranch_vccnz .LBB88_271
; %bb.270:
	buffer_load_dword v51, v55, s[0:3], 0 offen
	buffer_load_dword v52, v55, s[0:3], 0 offen offset:4
	ds_read_b64 v[56:57], v54
	s_waitcnt vmcnt(0) lgkmcnt(0)
	v_mul_f64 v[51:52], v[51:52], v[56:57]
	s_cbranch_execz .LBB88_272
	s_branch .LBB88_273
.LBB88_271:
                                        ; implicit-def: $vgpr51_vgpr52
.LBB88_272:
	ds_read_b64 v[51:52], v54
.LBB88_273:
	v_cmp_ne_u32_e32 vcc, 4, v0
	s_and_saveexec_b64 s[8:9], vcc
	s_cbranch_execz .LBB88_277
; %bb.274:
	s_mov_b32 s10, 0
	v_add_u32_e32 v56, 0xd8, v53
	v_add3_u32 v57, v53, s10, 8
	s_mov_b64 s[10:11], 0
	v_mov_b32_e32 v58, v0
.LBB88_275:                             ; =>This Inner Loop Header: Depth=1
	buffer_load_dword v59, v57, s[0:3], 0 offen
	buffer_load_dword v60, v57, s[0:3], 0 offen offset:4
	ds_read_b64 v[61:62], v56
	v_add_u32_e32 v58, 1, v58
	v_cmp_lt_u32_e32 vcc, 3, v58
	v_add_u32_e32 v56, 8, v56
	s_or_b64 s[10:11], vcc, s[10:11]
	v_add_u32_e32 v57, 8, v57
	s_waitcnt vmcnt(0) lgkmcnt(0)
	v_fma_f64 v[51:52], v[59:60], v[61:62], v[51:52]
	s_andn2_b64 exec, exec, s[10:11]
	s_cbranch_execnz .LBB88_275
; %bb.276:
	s_or_b64 exec, exec, s[10:11]
.LBB88_277:
	s_or_b64 exec, exec, s[8:9]
	v_mov_b32_e32 v56, 0
	ds_read_b64 v[56:57], v56 offset:40
	s_waitcnt lgkmcnt(0)
	v_mul_f64 v[51:52], v[51:52], v[56:57]
	buffer_store_dword v52, off, s[0:3], 0 offset:44
	buffer_store_dword v51, off, s[0:3], 0 offset:40
.LBB88_278:
	s_or_b64 exec, exec, s[6:7]
	buffer_load_dword v51, off, s[0:3], 0 offset:48
	buffer_load_dword v52, off, s[0:3], 0 offset:52
	v_cmp_gt_u32_e32 vcc, 6, v0
	s_waitcnt vmcnt(0)
	ds_write_b64 v54, v[51:52]
	s_waitcnt lgkmcnt(0)
	; wave barrier
	s_and_saveexec_b64 s[6:7], vcc
	s_cbranch_execz .LBB88_288
; %bb.279:
	s_and_b64 vcc, exec, s[4:5]
	s_cbranch_vccnz .LBB88_281
; %bb.280:
	buffer_load_dword v51, v55, s[0:3], 0 offen
	buffer_load_dword v52, v55, s[0:3], 0 offen offset:4
	ds_read_b64 v[56:57], v54
	s_waitcnt vmcnt(0) lgkmcnt(0)
	v_mul_f64 v[51:52], v[51:52], v[56:57]
	s_cbranch_execz .LBB88_282
	s_branch .LBB88_283
.LBB88_281:
                                        ; implicit-def: $vgpr51_vgpr52
.LBB88_282:
	ds_read_b64 v[51:52], v54
.LBB88_283:
	v_cmp_ne_u32_e32 vcc, 5, v0
	s_and_saveexec_b64 s[8:9], vcc
	s_cbranch_execz .LBB88_287
; %bb.284:
	s_mov_b32 s10, 0
	v_add_u32_e32 v56, 0xd8, v53
	v_add3_u32 v57, v53, s10, 8
	s_mov_b64 s[10:11], 0
	v_mov_b32_e32 v58, v0
.LBB88_285:                             ; =>This Inner Loop Header: Depth=1
	buffer_load_dword v59, v57, s[0:3], 0 offen
	buffer_load_dword v60, v57, s[0:3], 0 offen offset:4
	ds_read_b64 v[61:62], v56
	v_add_u32_e32 v58, 1, v58
	v_cmp_lt_u32_e32 vcc, 4, v58
	v_add_u32_e32 v56, 8, v56
	s_or_b64 s[10:11], vcc, s[10:11]
	v_add_u32_e32 v57, 8, v57
	s_waitcnt vmcnt(0) lgkmcnt(0)
	v_fma_f64 v[51:52], v[59:60], v[61:62], v[51:52]
	s_andn2_b64 exec, exec, s[10:11]
	s_cbranch_execnz .LBB88_285
; %bb.286:
	s_or_b64 exec, exec, s[10:11]
.LBB88_287:
	s_or_b64 exec, exec, s[8:9]
	v_mov_b32_e32 v56, 0
	ds_read_b64 v[56:57], v56 offset:48
	s_waitcnt lgkmcnt(0)
	v_mul_f64 v[51:52], v[51:52], v[56:57]
	buffer_store_dword v52, off, s[0:3], 0 offset:52
	buffer_store_dword v51, off, s[0:3], 0 offset:48
.LBB88_288:
	s_or_b64 exec, exec, s[6:7]
	buffer_load_dword v51, off, s[0:3], 0 offset:56
	buffer_load_dword v52, off, s[0:3], 0 offset:60
	v_cmp_gt_u32_e32 vcc, 7, v0
	s_waitcnt vmcnt(0)
	ds_write_b64 v54, v[51:52]
	s_waitcnt lgkmcnt(0)
	; wave barrier
	s_and_saveexec_b64 s[6:7], vcc
	s_cbranch_execz .LBB88_298
; %bb.289:
	s_and_b64 vcc, exec, s[4:5]
	s_cbranch_vccnz .LBB88_291
; %bb.290:
	buffer_load_dword v51, v55, s[0:3], 0 offen
	buffer_load_dword v52, v55, s[0:3], 0 offen offset:4
	ds_read_b64 v[56:57], v54
	s_waitcnt vmcnt(0) lgkmcnt(0)
	v_mul_f64 v[51:52], v[51:52], v[56:57]
	s_cbranch_execz .LBB88_292
	s_branch .LBB88_293
.LBB88_291:
                                        ; implicit-def: $vgpr51_vgpr52
.LBB88_292:
	ds_read_b64 v[51:52], v54
.LBB88_293:
	v_cmp_ne_u32_e32 vcc, 6, v0
	s_and_saveexec_b64 s[8:9], vcc
	s_cbranch_execz .LBB88_297
; %bb.294:
	s_mov_b32 s10, 0
	v_add_u32_e32 v56, 0xd8, v53
	v_add3_u32 v57, v53, s10, 8
	s_mov_b64 s[10:11], 0
	v_mov_b32_e32 v58, v0
.LBB88_295:                             ; =>This Inner Loop Header: Depth=1
	buffer_load_dword v59, v57, s[0:3], 0 offen
	buffer_load_dword v60, v57, s[0:3], 0 offen offset:4
	ds_read_b64 v[61:62], v56
	v_add_u32_e32 v58, 1, v58
	v_cmp_lt_u32_e32 vcc, 5, v58
	v_add_u32_e32 v56, 8, v56
	s_or_b64 s[10:11], vcc, s[10:11]
	v_add_u32_e32 v57, 8, v57
	s_waitcnt vmcnt(0) lgkmcnt(0)
	v_fma_f64 v[51:52], v[59:60], v[61:62], v[51:52]
	s_andn2_b64 exec, exec, s[10:11]
	s_cbranch_execnz .LBB88_295
; %bb.296:
	s_or_b64 exec, exec, s[10:11]
.LBB88_297:
	s_or_b64 exec, exec, s[8:9]
	v_mov_b32_e32 v56, 0
	ds_read_b64 v[56:57], v56 offset:56
	s_waitcnt lgkmcnt(0)
	v_mul_f64 v[51:52], v[51:52], v[56:57]
	buffer_store_dword v52, off, s[0:3], 0 offset:60
	buffer_store_dword v51, off, s[0:3], 0 offset:56
.LBB88_298:
	s_or_b64 exec, exec, s[6:7]
	buffer_load_dword v51, off, s[0:3], 0 offset:64
	buffer_load_dword v52, off, s[0:3], 0 offset:68
	v_cmp_gt_u32_e32 vcc, 8, v0
	s_waitcnt vmcnt(0)
	ds_write_b64 v54, v[51:52]
	s_waitcnt lgkmcnt(0)
	; wave barrier
	s_and_saveexec_b64 s[6:7], vcc
	s_cbranch_execz .LBB88_308
; %bb.299:
	s_and_b64 vcc, exec, s[4:5]
	s_cbranch_vccnz .LBB88_301
; %bb.300:
	buffer_load_dword v51, v55, s[0:3], 0 offen
	buffer_load_dword v52, v55, s[0:3], 0 offen offset:4
	ds_read_b64 v[56:57], v54
	s_waitcnt vmcnt(0) lgkmcnt(0)
	v_mul_f64 v[51:52], v[51:52], v[56:57]
	s_cbranch_execz .LBB88_302
	s_branch .LBB88_303
.LBB88_301:
                                        ; implicit-def: $vgpr51_vgpr52
.LBB88_302:
	ds_read_b64 v[51:52], v54
.LBB88_303:
	v_cmp_ne_u32_e32 vcc, 7, v0
	s_and_saveexec_b64 s[8:9], vcc
	s_cbranch_execz .LBB88_307
; %bb.304:
	s_mov_b32 s10, 0
	v_add_u32_e32 v56, 0xd8, v53
	v_add3_u32 v57, v53, s10, 8
	s_mov_b64 s[10:11], 0
	v_mov_b32_e32 v58, v0
.LBB88_305:                             ; =>This Inner Loop Header: Depth=1
	buffer_load_dword v59, v57, s[0:3], 0 offen
	buffer_load_dword v60, v57, s[0:3], 0 offen offset:4
	ds_read_b64 v[61:62], v56
	v_add_u32_e32 v58, 1, v58
	v_cmp_lt_u32_e32 vcc, 6, v58
	v_add_u32_e32 v56, 8, v56
	s_or_b64 s[10:11], vcc, s[10:11]
	v_add_u32_e32 v57, 8, v57
	s_waitcnt vmcnt(0) lgkmcnt(0)
	v_fma_f64 v[51:52], v[59:60], v[61:62], v[51:52]
	s_andn2_b64 exec, exec, s[10:11]
	s_cbranch_execnz .LBB88_305
; %bb.306:
	s_or_b64 exec, exec, s[10:11]
.LBB88_307:
	s_or_b64 exec, exec, s[8:9]
	v_mov_b32_e32 v56, 0
	ds_read_b64 v[56:57], v56 offset:64
	s_waitcnt lgkmcnt(0)
	v_mul_f64 v[51:52], v[51:52], v[56:57]
	buffer_store_dword v52, off, s[0:3], 0 offset:68
	buffer_store_dword v51, off, s[0:3], 0 offset:64
.LBB88_308:
	s_or_b64 exec, exec, s[6:7]
	buffer_load_dword v51, off, s[0:3], 0 offset:72
	buffer_load_dword v52, off, s[0:3], 0 offset:76
	v_cmp_gt_u32_e32 vcc, 9, v0
	s_waitcnt vmcnt(0)
	ds_write_b64 v54, v[51:52]
	s_waitcnt lgkmcnt(0)
	; wave barrier
	s_and_saveexec_b64 s[6:7], vcc
	s_cbranch_execz .LBB88_318
; %bb.309:
	s_and_b64 vcc, exec, s[4:5]
	s_cbranch_vccnz .LBB88_311
; %bb.310:
	buffer_load_dword v51, v55, s[0:3], 0 offen
	buffer_load_dword v52, v55, s[0:3], 0 offen offset:4
	ds_read_b64 v[56:57], v54
	s_waitcnt vmcnt(0) lgkmcnt(0)
	v_mul_f64 v[51:52], v[51:52], v[56:57]
	s_cbranch_execz .LBB88_312
	s_branch .LBB88_313
.LBB88_311:
                                        ; implicit-def: $vgpr51_vgpr52
.LBB88_312:
	ds_read_b64 v[51:52], v54
.LBB88_313:
	v_cmp_ne_u32_e32 vcc, 8, v0
	s_and_saveexec_b64 s[8:9], vcc
	s_cbranch_execz .LBB88_317
; %bb.314:
	s_mov_b32 s10, 0
	v_add_u32_e32 v56, 0xd8, v53
	v_add3_u32 v57, v53, s10, 8
	s_mov_b64 s[10:11], 0
	v_mov_b32_e32 v58, v0
.LBB88_315:                             ; =>This Inner Loop Header: Depth=1
	buffer_load_dword v59, v57, s[0:3], 0 offen
	buffer_load_dword v60, v57, s[0:3], 0 offen offset:4
	ds_read_b64 v[61:62], v56
	v_add_u32_e32 v58, 1, v58
	v_cmp_lt_u32_e32 vcc, 7, v58
	v_add_u32_e32 v56, 8, v56
	s_or_b64 s[10:11], vcc, s[10:11]
	v_add_u32_e32 v57, 8, v57
	s_waitcnt vmcnt(0) lgkmcnt(0)
	v_fma_f64 v[51:52], v[59:60], v[61:62], v[51:52]
	s_andn2_b64 exec, exec, s[10:11]
	s_cbranch_execnz .LBB88_315
; %bb.316:
	s_or_b64 exec, exec, s[10:11]
.LBB88_317:
	s_or_b64 exec, exec, s[8:9]
	v_mov_b32_e32 v56, 0
	ds_read_b64 v[56:57], v56 offset:72
	s_waitcnt lgkmcnt(0)
	v_mul_f64 v[51:52], v[51:52], v[56:57]
	buffer_store_dword v52, off, s[0:3], 0 offset:76
	buffer_store_dword v51, off, s[0:3], 0 offset:72
.LBB88_318:
	s_or_b64 exec, exec, s[6:7]
	buffer_load_dword v51, off, s[0:3], 0 offset:80
	buffer_load_dword v52, off, s[0:3], 0 offset:84
	v_cmp_gt_u32_e32 vcc, 10, v0
	s_waitcnt vmcnt(0)
	ds_write_b64 v54, v[51:52]
	s_waitcnt lgkmcnt(0)
	; wave barrier
	s_and_saveexec_b64 s[6:7], vcc
	s_cbranch_execz .LBB88_328
; %bb.319:
	s_and_b64 vcc, exec, s[4:5]
	s_cbranch_vccnz .LBB88_321
; %bb.320:
	buffer_load_dword v51, v55, s[0:3], 0 offen
	buffer_load_dword v52, v55, s[0:3], 0 offen offset:4
	ds_read_b64 v[56:57], v54
	s_waitcnt vmcnt(0) lgkmcnt(0)
	v_mul_f64 v[51:52], v[51:52], v[56:57]
	s_cbranch_execz .LBB88_322
	s_branch .LBB88_323
.LBB88_321:
                                        ; implicit-def: $vgpr51_vgpr52
.LBB88_322:
	ds_read_b64 v[51:52], v54
.LBB88_323:
	v_cmp_ne_u32_e32 vcc, 9, v0
	s_and_saveexec_b64 s[8:9], vcc
	s_cbranch_execz .LBB88_327
; %bb.324:
	s_mov_b32 s10, 0
	v_add_u32_e32 v56, 0xd8, v53
	v_add3_u32 v57, v53, s10, 8
	s_mov_b64 s[10:11], 0
	v_mov_b32_e32 v58, v0
.LBB88_325:                             ; =>This Inner Loop Header: Depth=1
	buffer_load_dword v59, v57, s[0:3], 0 offen
	buffer_load_dword v60, v57, s[0:3], 0 offen offset:4
	ds_read_b64 v[61:62], v56
	v_add_u32_e32 v58, 1, v58
	v_cmp_lt_u32_e32 vcc, 8, v58
	v_add_u32_e32 v56, 8, v56
	s_or_b64 s[10:11], vcc, s[10:11]
	v_add_u32_e32 v57, 8, v57
	s_waitcnt vmcnt(0) lgkmcnt(0)
	v_fma_f64 v[51:52], v[59:60], v[61:62], v[51:52]
	s_andn2_b64 exec, exec, s[10:11]
	s_cbranch_execnz .LBB88_325
; %bb.326:
	s_or_b64 exec, exec, s[10:11]
.LBB88_327:
	s_or_b64 exec, exec, s[8:9]
	v_mov_b32_e32 v56, 0
	ds_read_b64 v[56:57], v56 offset:80
	s_waitcnt lgkmcnt(0)
	v_mul_f64 v[51:52], v[51:52], v[56:57]
	buffer_store_dword v52, off, s[0:3], 0 offset:84
	buffer_store_dword v51, off, s[0:3], 0 offset:80
.LBB88_328:
	s_or_b64 exec, exec, s[6:7]
	buffer_load_dword v51, off, s[0:3], 0 offset:88
	buffer_load_dword v52, off, s[0:3], 0 offset:92
	v_cmp_gt_u32_e32 vcc, 11, v0
	s_waitcnt vmcnt(0)
	ds_write_b64 v54, v[51:52]
	s_waitcnt lgkmcnt(0)
	; wave barrier
	s_and_saveexec_b64 s[6:7], vcc
	s_cbranch_execz .LBB88_338
; %bb.329:
	s_and_b64 vcc, exec, s[4:5]
	s_cbranch_vccnz .LBB88_331
; %bb.330:
	buffer_load_dword v51, v55, s[0:3], 0 offen
	buffer_load_dword v52, v55, s[0:3], 0 offen offset:4
	ds_read_b64 v[56:57], v54
	s_waitcnt vmcnt(0) lgkmcnt(0)
	v_mul_f64 v[51:52], v[51:52], v[56:57]
	s_cbranch_execz .LBB88_332
	s_branch .LBB88_333
.LBB88_331:
                                        ; implicit-def: $vgpr51_vgpr52
.LBB88_332:
	ds_read_b64 v[51:52], v54
.LBB88_333:
	v_cmp_ne_u32_e32 vcc, 10, v0
	s_and_saveexec_b64 s[8:9], vcc
	s_cbranch_execz .LBB88_337
; %bb.334:
	s_mov_b32 s10, 0
	v_add_u32_e32 v56, 0xd8, v53
	v_add3_u32 v57, v53, s10, 8
	s_mov_b64 s[10:11], 0
	v_mov_b32_e32 v58, v0
.LBB88_335:                             ; =>This Inner Loop Header: Depth=1
	buffer_load_dword v59, v57, s[0:3], 0 offen
	buffer_load_dword v60, v57, s[0:3], 0 offen offset:4
	ds_read_b64 v[61:62], v56
	v_add_u32_e32 v58, 1, v58
	v_cmp_lt_u32_e32 vcc, 9, v58
	v_add_u32_e32 v56, 8, v56
	s_or_b64 s[10:11], vcc, s[10:11]
	v_add_u32_e32 v57, 8, v57
	s_waitcnt vmcnt(0) lgkmcnt(0)
	v_fma_f64 v[51:52], v[59:60], v[61:62], v[51:52]
	s_andn2_b64 exec, exec, s[10:11]
	s_cbranch_execnz .LBB88_335
; %bb.336:
	s_or_b64 exec, exec, s[10:11]
.LBB88_337:
	s_or_b64 exec, exec, s[8:9]
	v_mov_b32_e32 v56, 0
	ds_read_b64 v[56:57], v56 offset:88
	s_waitcnt lgkmcnt(0)
	v_mul_f64 v[51:52], v[51:52], v[56:57]
	buffer_store_dword v52, off, s[0:3], 0 offset:92
	buffer_store_dword v51, off, s[0:3], 0 offset:88
.LBB88_338:
	s_or_b64 exec, exec, s[6:7]
	buffer_load_dword v51, off, s[0:3], 0 offset:96
	buffer_load_dword v52, off, s[0:3], 0 offset:100
	v_cmp_gt_u32_e32 vcc, 12, v0
	s_waitcnt vmcnt(0)
	ds_write_b64 v54, v[51:52]
	s_waitcnt lgkmcnt(0)
	; wave barrier
	s_and_saveexec_b64 s[6:7], vcc
	s_cbranch_execz .LBB88_348
; %bb.339:
	s_and_b64 vcc, exec, s[4:5]
	s_cbranch_vccnz .LBB88_341
; %bb.340:
	buffer_load_dword v51, v55, s[0:3], 0 offen
	buffer_load_dword v52, v55, s[0:3], 0 offen offset:4
	ds_read_b64 v[56:57], v54
	s_waitcnt vmcnt(0) lgkmcnt(0)
	v_mul_f64 v[51:52], v[51:52], v[56:57]
	s_cbranch_execz .LBB88_342
	s_branch .LBB88_343
.LBB88_341:
                                        ; implicit-def: $vgpr51_vgpr52
.LBB88_342:
	ds_read_b64 v[51:52], v54
.LBB88_343:
	v_cmp_ne_u32_e32 vcc, 11, v0
	s_and_saveexec_b64 s[8:9], vcc
	s_cbranch_execz .LBB88_347
; %bb.344:
	s_mov_b32 s10, 0
	v_add_u32_e32 v56, 0xd8, v53
	v_add3_u32 v57, v53, s10, 8
	s_mov_b64 s[10:11], 0
	v_mov_b32_e32 v58, v0
.LBB88_345:                             ; =>This Inner Loop Header: Depth=1
	buffer_load_dword v59, v57, s[0:3], 0 offen
	buffer_load_dword v60, v57, s[0:3], 0 offen offset:4
	ds_read_b64 v[61:62], v56
	v_add_u32_e32 v58, 1, v58
	v_cmp_lt_u32_e32 vcc, 10, v58
	v_add_u32_e32 v56, 8, v56
	s_or_b64 s[10:11], vcc, s[10:11]
	v_add_u32_e32 v57, 8, v57
	s_waitcnt vmcnt(0) lgkmcnt(0)
	v_fma_f64 v[51:52], v[59:60], v[61:62], v[51:52]
	s_andn2_b64 exec, exec, s[10:11]
	s_cbranch_execnz .LBB88_345
; %bb.346:
	s_or_b64 exec, exec, s[10:11]
.LBB88_347:
	s_or_b64 exec, exec, s[8:9]
	v_mov_b32_e32 v56, 0
	ds_read_b64 v[56:57], v56 offset:96
	s_waitcnt lgkmcnt(0)
	v_mul_f64 v[51:52], v[51:52], v[56:57]
	buffer_store_dword v52, off, s[0:3], 0 offset:100
	buffer_store_dword v51, off, s[0:3], 0 offset:96
.LBB88_348:
	s_or_b64 exec, exec, s[6:7]
	buffer_load_dword v51, off, s[0:3], 0 offset:104
	buffer_load_dword v52, off, s[0:3], 0 offset:108
	v_cmp_gt_u32_e32 vcc, 13, v0
	s_waitcnt vmcnt(0)
	ds_write_b64 v54, v[51:52]
	s_waitcnt lgkmcnt(0)
	; wave barrier
	s_and_saveexec_b64 s[6:7], vcc
	s_cbranch_execz .LBB88_358
; %bb.349:
	s_and_b64 vcc, exec, s[4:5]
	s_cbranch_vccnz .LBB88_351
; %bb.350:
	buffer_load_dword v51, v55, s[0:3], 0 offen
	buffer_load_dword v52, v55, s[0:3], 0 offen offset:4
	ds_read_b64 v[56:57], v54
	s_waitcnt vmcnt(0) lgkmcnt(0)
	v_mul_f64 v[51:52], v[51:52], v[56:57]
	s_cbranch_execz .LBB88_352
	s_branch .LBB88_353
.LBB88_351:
                                        ; implicit-def: $vgpr51_vgpr52
.LBB88_352:
	ds_read_b64 v[51:52], v54
.LBB88_353:
	v_cmp_ne_u32_e32 vcc, 12, v0
	s_and_saveexec_b64 s[8:9], vcc
	s_cbranch_execz .LBB88_357
; %bb.354:
	s_mov_b32 s10, 0
	v_add_u32_e32 v56, 0xd8, v53
	v_add3_u32 v57, v53, s10, 8
	s_mov_b64 s[10:11], 0
	v_mov_b32_e32 v58, v0
.LBB88_355:                             ; =>This Inner Loop Header: Depth=1
	buffer_load_dword v59, v57, s[0:3], 0 offen
	buffer_load_dword v60, v57, s[0:3], 0 offen offset:4
	ds_read_b64 v[61:62], v56
	v_add_u32_e32 v58, 1, v58
	v_cmp_lt_u32_e32 vcc, 11, v58
	v_add_u32_e32 v56, 8, v56
	s_or_b64 s[10:11], vcc, s[10:11]
	v_add_u32_e32 v57, 8, v57
	s_waitcnt vmcnt(0) lgkmcnt(0)
	v_fma_f64 v[51:52], v[59:60], v[61:62], v[51:52]
	s_andn2_b64 exec, exec, s[10:11]
	s_cbranch_execnz .LBB88_355
; %bb.356:
	s_or_b64 exec, exec, s[10:11]
.LBB88_357:
	s_or_b64 exec, exec, s[8:9]
	v_mov_b32_e32 v56, 0
	ds_read_b64 v[56:57], v56 offset:104
	s_waitcnt lgkmcnt(0)
	v_mul_f64 v[51:52], v[51:52], v[56:57]
	buffer_store_dword v52, off, s[0:3], 0 offset:108
	buffer_store_dword v51, off, s[0:3], 0 offset:104
.LBB88_358:
	s_or_b64 exec, exec, s[6:7]
	buffer_load_dword v51, off, s[0:3], 0 offset:112
	buffer_load_dword v52, off, s[0:3], 0 offset:116
	v_cmp_gt_u32_e32 vcc, 14, v0
	s_waitcnt vmcnt(0)
	ds_write_b64 v54, v[51:52]
	s_waitcnt lgkmcnt(0)
	; wave barrier
	s_and_saveexec_b64 s[6:7], vcc
	s_cbranch_execz .LBB88_368
; %bb.359:
	s_and_b64 vcc, exec, s[4:5]
	s_cbranch_vccnz .LBB88_361
; %bb.360:
	buffer_load_dword v51, v55, s[0:3], 0 offen
	buffer_load_dword v52, v55, s[0:3], 0 offen offset:4
	ds_read_b64 v[56:57], v54
	s_waitcnt vmcnt(0) lgkmcnt(0)
	v_mul_f64 v[51:52], v[51:52], v[56:57]
	s_cbranch_execz .LBB88_362
	s_branch .LBB88_363
.LBB88_361:
                                        ; implicit-def: $vgpr51_vgpr52
.LBB88_362:
	ds_read_b64 v[51:52], v54
.LBB88_363:
	v_cmp_ne_u32_e32 vcc, 13, v0
	s_and_saveexec_b64 s[8:9], vcc
	s_cbranch_execz .LBB88_367
; %bb.364:
	s_mov_b32 s10, 0
	v_add_u32_e32 v56, 0xd8, v53
	v_add3_u32 v57, v53, s10, 8
	s_mov_b64 s[10:11], 0
	v_mov_b32_e32 v58, v0
.LBB88_365:                             ; =>This Inner Loop Header: Depth=1
	buffer_load_dword v59, v57, s[0:3], 0 offen
	buffer_load_dword v60, v57, s[0:3], 0 offen offset:4
	ds_read_b64 v[61:62], v56
	v_add_u32_e32 v58, 1, v58
	v_cmp_lt_u32_e32 vcc, 12, v58
	v_add_u32_e32 v56, 8, v56
	s_or_b64 s[10:11], vcc, s[10:11]
	v_add_u32_e32 v57, 8, v57
	s_waitcnt vmcnt(0) lgkmcnt(0)
	v_fma_f64 v[51:52], v[59:60], v[61:62], v[51:52]
	s_andn2_b64 exec, exec, s[10:11]
	s_cbranch_execnz .LBB88_365
; %bb.366:
	s_or_b64 exec, exec, s[10:11]
.LBB88_367:
	s_or_b64 exec, exec, s[8:9]
	v_mov_b32_e32 v56, 0
	ds_read_b64 v[56:57], v56 offset:112
	s_waitcnt lgkmcnt(0)
	v_mul_f64 v[51:52], v[51:52], v[56:57]
	buffer_store_dword v52, off, s[0:3], 0 offset:116
	buffer_store_dword v51, off, s[0:3], 0 offset:112
.LBB88_368:
	s_or_b64 exec, exec, s[6:7]
	buffer_load_dword v51, off, s[0:3], 0 offset:120
	buffer_load_dword v52, off, s[0:3], 0 offset:124
	v_cmp_gt_u32_e32 vcc, 15, v0
	s_waitcnt vmcnt(0)
	ds_write_b64 v54, v[51:52]
	s_waitcnt lgkmcnt(0)
	; wave barrier
	s_and_saveexec_b64 s[6:7], vcc
	s_cbranch_execz .LBB88_378
; %bb.369:
	s_and_b64 vcc, exec, s[4:5]
	s_cbranch_vccnz .LBB88_371
; %bb.370:
	buffer_load_dword v51, v55, s[0:3], 0 offen
	buffer_load_dword v52, v55, s[0:3], 0 offen offset:4
	ds_read_b64 v[56:57], v54
	s_waitcnt vmcnt(0) lgkmcnt(0)
	v_mul_f64 v[51:52], v[51:52], v[56:57]
	s_cbranch_execz .LBB88_372
	s_branch .LBB88_373
.LBB88_371:
                                        ; implicit-def: $vgpr51_vgpr52
.LBB88_372:
	ds_read_b64 v[51:52], v54
.LBB88_373:
	v_cmp_ne_u32_e32 vcc, 14, v0
	s_and_saveexec_b64 s[8:9], vcc
	s_cbranch_execz .LBB88_377
; %bb.374:
	s_mov_b32 s10, 0
	v_add_u32_e32 v56, 0xd8, v53
	v_add3_u32 v57, v53, s10, 8
	s_mov_b64 s[10:11], 0
	v_mov_b32_e32 v58, v0
.LBB88_375:                             ; =>This Inner Loop Header: Depth=1
	buffer_load_dword v59, v57, s[0:3], 0 offen
	buffer_load_dword v60, v57, s[0:3], 0 offen offset:4
	ds_read_b64 v[61:62], v56
	v_add_u32_e32 v58, 1, v58
	v_cmp_lt_u32_e32 vcc, 13, v58
	v_add_u32_e32 v56, 8, v56
	s_or_b64 s[10:11], vcc, s[10:11]
	v_add_u32_e32 v57, 8, v57
	s_waitcnt vmcnt(0) lgkmcnt(0)
	v_fma_f64 v[51:52], v[59:60], v[61:62], v[51:52]
	s_andn2_b64 exec, exec, s[10:11]
	s_cbranch_execnz .LBB88_375
; %bb.376:
	s_or_b64 exec, exec, s[10:11]
.LBB88_377:
	s_or_b64 exec, exec, s[8:9]
	v_mov_b32_e32 v56, 0
	ds_read_b64 v[56:57], v56 offset:120
	s_waitcnt lgkmcnt(0)
	v_mul_f64 v[51:52], v[51:52], v[56:57]
	buffer_store_dword v52, off, s[0:3], 0 offset:124
	buffer_store_dword v51, off, s[0:3], 0 offset:120
.LBB88_378:
	s_or_b64 exec, exec, s[6:7]
	buffer_load_dword v51, off, s[0:3], 0 offset:128
	buffer_load_dword v52, off, s[0:3], 0 offset:132
	v_cmp_gt_u32_e32 vcc, 16, v0
	s_waitcnt vmcnt(0)
	ds_write_b64 v54, v[51:52]
	s_waitcnt lgkmcnt(0)
	; wave barrier
	s_and_saveexec_b64 s[6:7], vcc
	s_cbranch_execz .LBB88_388
; %bb.379:
	s_and_b64 vcc, exec, s[4:5]
	s_cbranch_vccnz .LBB88_381
; %bb.380:
	buffer_load_dword v51, v55, s[0:3], 0 offen
	buffer_load_dword v52, v55, s[0:3], 0 offen offset:4
	ds_read_b64 v[56:57], v54
	s_waitcnt vmcnt(0) lgkmcnt(0)
	v_mul_f64 v[51:52], v[51:52], v[56:57]
	s_cbranch_execz .LBB88_382
	s_branch .LBB88_383
.LBB88_381:
                                        ; implicit-def: $vgpr51_vgpr52
.LBB88_382:
	ds_read_b64 v[51:52], v54
.LBB88_383:
	v_cmp_ne_u32_e32 vcc, 15, v0
	s_and_saveexec_b64 s[8:9], vcc
	s_cbranch_execz .LBB88_387
; %bb.384:
	s_mov_b32 s10, 0
	v_add_u32_e32 v56, 0xd8, v53
	v_add3_u32 v57, v53, s10, 8
	s_mov_b64 s[10:11], 0
	v_mov_b32_e32 v58, v0
.LBB88_385:                             ; =>This Inner Loop Header: Depth=1
	buffer_load_dword v59, v57, s[0:3], 0 offen
	buffer_load_dword v60, v57, s[0:3], 0 offen offset:4
	ds_read_b64 v[61:62], v56
	v_add_u32_e32 v58, 1, v58
	v_cmp_lt_u32_e32 vcc, 14, v58
	v_add_u32_e32 v56, 8, v56
	s_or_b64 s[10:11], vcc, s[10:11]
	v_add_u32_e32 v57, 8, v57
	s_waitcnt vmcnt(0) lgkmcnt(0)
	v_fma_f64 v[51:52], v[59:60], v[61:62], v[51:52]
	s_andn2_b64 exec, exec, s[10:11]
	s_cbranch_execnz .LBB88_385
; %bb.386:
	s_or_b64 exec, exec, s[10:11]
.LBB88_387:
	s_or_b64 exec, exec, s[8:9]
	v_mov_b32_e32 v56, 0
	ds_read_b64 v[56:57], v56 offset:128
	s_waitcnt lgkmcnt(0)
	v_mul_f64 v[51:52], v[51:52], v[56:57]
	buffer_store_dword v52, off, s[0:3], 0 offset:132
	buffer_store_dword v51, off, s[0:3], 0 offset:128
.LBB88_388:
	s_or_b64 exec, exec, s[6:7]
	buffer_load_dword v51, off, s[0:3], 0 offset:136
	buffer_load_dword v52, off, s[0:3], 0 offset:140
	v_cmp_gt_u32_e32 vcc, 17, v0
	s_waitcnt vmcnt(0)
	ds_write_b64 v54, v[51:52]
	s_waitcnt lgkmcnt(0)
	; wave barrier
	s_and_saveexec_b64 s[6:7], vcc
	s_cbranch_execz .LBB88_398
; %bb.389:
	s_and_b64 vcc, exec, s[4:5]
	s_cbranch_vccnz .LBB88_391
; %bb.390:
	buffer_load_dword v51, v55, s[0:3], 0 offen
	buffer_load_dword v52, v55, s[0:3], 0 offen offset:4
	ds_read_b64 v[56:57], v54
	s_waitcnt vmcnt(0) lgkmcnt(0)
	v_mul_f64 v[51:52], v[51:52], v[56:57]
	s_cbranch_execz .LBB88_392
	s_branch .LBB88_393
.LBB88_391:
                                        ; implicit-def: $vgpr51_vgpr52
.LBB88_392:
	ds_read_b64 v[51:52], v54
.LBB88_393:
	v_cmp_ne_u32_e32 vcc, 16, v0
	s_and_saveexec_b64 s[8:9], vcc
	s_cbranch_execz .LBB88_397
; %bb.394:
	s_mov_b32 s10, 0
	v_add_u32_e32 v56, 0xd8, v53
	v_add3_u32 v57, v53, s10, 8
	s_mov_b64 s[10:11], 0
	v_mov_b32_e32 v58, v0
.LBB88_395:                             ; =>This Inner Loop Header: Depth=1
	buffer_load_dword v59, v57, s[0:3], 0 offen
	buffer_load_dword v60, v57, s[0:3], 0 offen offset:4
	ds_read_b64 v[61:62], v56
	v_add_u32_e32 v58, 1, v58
	v_cmp_lt_u32_e32 vcc, 15, v58
	v_add_u32_e32 v56, 8, v56
	s_or_b64 s[10:11], vcc, s[10:11]
	v_add_u32_e32 v57, 8, v57
	s_waitcnt vmcnt(0) lgkmcnt(0)
	v_fma_f64 v[51:52], v[59:60], v[61:62], v[51:52]
	s_andn2_b64 exec, exec, s[10:11]
	s_cbranch_execnz .LBB88_395
; %bb.396:
	s_or_b64 exec, exec, s[10:11]
.LBB88_397:
	s_or_b64 exec, exec, s[8:9]
	v_mov_b32_e32 v56, 0
	ds_read_b64 v[56:57], v56 offset:136
	s_waitcnt lgkmcnt(0)
	v_mul_f64 v[51:52], v[51:52], v[56:57]
	buffer_store_dword v52, off, s[0:3], 0 offset:140
	buffer_store_dword v51, off, s[0:3], 0 offset:136
.LBB88_398:
	s_or_b64 exec, exec, s[6:7]
	buffer_load_dword v51, off, s[0:3], 0 offset:144
	buffer_load_dword v52, off, s[0:3], 0 offset:148
	v_cmp_gt_u32_e32 vcc, 18, v0
	s_waitcnt vmcnt(0)
	ds_write_b64 v54, v[51:52]
	s_waitcnt lgkmcnt(0)
	; wave barrier
	s_and_saveexec_b64 s[6:7], vcc
	s_cbranch_execz .LBB88_408
; %bb.399:
	s_and_b64 vcc, exec, s[4:5]
	s_cbranch_vccnz .LBB88_401
; %bb.400:
	buffer_load_dword v51, v55, s[0:3], 0 offen
	buffer_load_dword v52, v55, s[0:3], 0 offen offset:4
	ds_read_b64 v[56:57], v54
	s_waitcnt vmcnt(0) lgkmcnt(0)
	v_mul_f64 v[51:52], v[51:52], v[56:57]
	s_cbranch_execz .LBB88_402
	s_branch .LBB88_403
.LBB88_401:
                                        ; implicit-def: $vgpr51_vgpr52
.LBB88_402:
	ds_read_b64 v[51:52], v54
.LBB88_403:
	v_cmp_ne_u32_e32 vcc, 17, v0
	s_and_saveexec_b64 s[8:9], vcc
	s_cbranch_execz .LBB88_407
; %bb.404:
	s_mov_b32 s10, 0
	v_add_u32_e32 v56, 0xd8, v53
	v_add3_u32 v57, v53, s10, 8
	s_mov_b64 s[10:11], 0
	v_mov_b32_e32 v58, v0
.LBB88_405:                             ; =>This Inner Loop Header: Depth=1
	buffer_load_dword v59, v57, s[0:3], 0 offen
	buffer_load_dword v60, v57, s[0:3], 0 offen offset:4
	ds_read_b64 v[61:62], v56
	v_add_u32_e32 v58, 1, v58
	v_cmp_lt_u32_e32 vcc, 16, v58
	v_add_u32_e32 v56, 8, v56
	s_or_b64 s[10:11], vcc, s[10:11]
	v_add_u32_e32 v57, 8, v57
	s_waitcnt vmcnt(0) lgkmcnt(0)
	v_fma_f64 v[51:52], v[59:60], v[61:62], v[51:52]
	s_andn2_b64 exec, exec, s[10:11]
	s_cbranch_execnz .LBB88_405
; %bb.406:
	s_or_b64 exec, exec, s[10:11]
.LBB88_407:
	s_or_b64 exec, exec, s[8:9]
	v_mov_b32_e32 v56, 0
	ds_read_b64 v[56:57], v56 offset:144
	s_waitcnt lgkmcnt(0)
	v_mul_f64 v[51:52], v[51:52], v[56:57]
	buffer_store_dword v52, off, s[0:3], 0 offset:148
	buffer_store_dword v51, off, s[0:3], 0 offset:144
.LBB88_408:
	s_or_b64 exec, exec, s[6:7]
	buffer_load_dword v51, off, s[0:3], 0 offset:152
	buffer_load_dword v52, off, s[0:3], 0 offset:156
	v_cmp_gt_u32_e32 vcc, 19, v0
	s_waitcnt vmcnt(0)
	ds_write_b64 v54, v[51:52]
	s_waitcnt lgkmcnt(0)
	; wave barrier
	s_and_saveexec_b64 s[6:7], vcc
	s_cbranch_execz .LBB88_418
; %bb.409:
	s_and_b64 vcc, exec, s[4:5]
	s_cbranch_vccnz .LBB88_411
; %bb.410:
	buffer_load_dword v51, v55, s[0:3], 0 offen
	buffer_load_dword v52, v55, s[0:3], 0 offen offset:4
	ds_read_b64 v[56:57], v54
	s_waitcnt vmcnt(0) lgkmcnt(0)
	v_mul_f64 v[51:52], v[51:52], v[56:57]
	s_cbranch_execz .LBB88_412
	s_branch .LBB88_413
.LBB88_411:
                                        ; implicit-def: $vgpr51_vgpr52
.LBB88_412:
	ds_read_b64 v[51:52], v54
.LBB88_413:
	v_cmp_ne_u32_e32 vcc, 18, v0
	s_and_saveexec_b64 s[8:9], vcc
	s_cbranch_execz .LBB88_417
; %bb.414:
	s_mov_b32 s10, 0
	v_add_u32_e32 v56, 0xd8, v53
	v_add3_u32 v57, v53, s10, 8
	s_mov_b64 s[10:11], 0
	v_mov_b32_e32 v58, v0
.LBB88_415:                             ; =>This Inner Loop Header: Depth=1
	buffer_load_dword v59, v57, s[0:3], 0 offen
	buffer_load_dword v60, v57, s[0:3], 0 offen offset:4
	ds_read_b64 v[61:62], v56
	v_add_u32_e32 v58, 1, v58
	v_cmp_lt_u32_e32 vcc, 17, v58
	v_add_u32_e32 v56, 8, v56
	s_or_b64 s[10:11], vcc, s[10:11]
	v_add_u32_e32 v57, 8, v57
	s_waitcnt vmcnt(0) lgkmcnt(0)
	v_fma_f64 v[51:52], v[59:60], v[61:62], v[51:52]
	s_andn2_b64 exec, exec, s[10:11]
	s_cbranch_execnz .LBB88_415
; %bb.416:
	s_or_b64 exec, exec, s[10:11]
.LBB88_417:
	s_or_b64 exec, exec, s[8:9]
	v_mov_b32_e32 v56, 0
	ds_read_b64 v[56:57], v56 offset:152
	s_waitcnt lgkmcnt(0)
	v_mul_f64 v[51:52], v[51:52], v[56:57]
	buffer_store_dword v52, off, s[0:3], 0 offset:156
	buffer_store_dword v51, off, s[0:3], 0 offset:152
.LBB88_418:
	s_or_b64 exec, exec, s[6:7]
	buffer_load_dword v51, off, s[0:3], 0 offset:160
	buffer_load_dword v52, off, s[0:3], 0 offset:164
	v_cmp_gt_u32_e32 vcc, 20, v0
	s_waitcnt vmcnt(0)
	ds_write_b64 v54, v[51:52]
	s_waitcnt lgkmcnt(0)
	; wave barrier
	s_and_saveexec_b64 s[6:7], vcc
	s_cbranch_execz .LBB88_428
; %bb.419:
	s_and_b64 vcc, exec, s[4:5]
	s_cbranch_vccnz .LBB88_421
; %bb.420:
	buffer_load_dword v51, v55, s[0:3], 0 offen
	buffer_load_dword v52, v55, s[0:3], 0 offen offset:4
	ds_read_b64 v[56:57], v54
	s_waitcnt vmcnt(0) lgkmcnt(0)
	v_mul_f64 v[51:52], v[51:52], v[56:57]
	s_cbranch_execz .LBB88_422
	s_branch .LBB88_423
.LBB88_421:
                                        ; implicit-def: $vgpr51_vgpr52
.LBB88_422:
	ds_read_b64 v[51:52], v54
.LBB88_423:
	v_cmp_ne_u32_e32 vcc, 19, v0
	s_and_saveexec_b64 s[8:9], vcc
	s_cbranch_execz .LBB88_427
; %bb.424:
	s_mov_b32 s10, 0
	v_add_u32_e32 v56, 0xd8, v53
	v_add3_u32 v57, v53, s10, 8
	s_mov_b64 s[10:11], 0
	v_mov_b32_e32 v58, v0
.LBB88_425:                             ; =>This Inner Loop Header: Depth=1
	buffer_load_dword v59, v57, s[0:3], 0 offen
	buffer_load_dword v60, v57, s[0:3], 0 offen offset:4
	ds_read_b64 v[61:62], v56
	v_add_u32_e32 v58, 1, v58
	v_cmp_lt_u32_e32 vcc, 18, v58
	v_add_u32_e32 v56, 8, v56
	s_or_b64 s[10:11], vcc, s[10:11]
	v_add_u32_e32 v57, 8, v57
	s_waitcnt vmcnt(0) lgkmcnt(0)
	v_fma_f64 v[51:52], v[59:60], v[61:62], v[51:52]
	s_andn2_b64 exec, exec, s[10:11]
	s_cbranch_execnz .LBB88_425
; %bb.426:
	s_or_b64 exec, exec, s[10:11]
.LBB88_427:
	s_or_b64 exec, exec, s[8:9]
	v_mov_b32_e32 v56, 0
	ds_read_b64 v[56:57], v56 offset:160
	s_waitcnt lgkmcnt(0)
	v_mul_f64 v[51:52], v[51:52], v[56:57]
	buffer_store_dword v52, off, s[0:3], 0 offset:164
	buffer_store_dword v51, off, s[0:3], 0 offset:160
.LBB88_428:
	s_or_b64 exec, exec, s[6:7]
	buffer_load_dword v51, off, s[0:3], 0 offset:168
	buffer_load_dword v52, off, s[0:3], 0 offset:172
	v_cmp_gt_u32_e32 vcc, 21, v0
	s_waitcnt vmcnt(0)
	ds_write_b64 v54, v[51:52]
	s_waitcnt lgkmcnt(0)
	; wave barrier
	s_and_saveexec_b64 s[6:7], vcc
	s_cbranch_execz .LBB88_438
; %bb.429:
	s_and_b64 vcc, exec, s[4:5]
	s_cbranch_vccnz .LBB88_431
; %bb.430:
	buffer_load_dword v51, v55, s[0:3], 0 offen
	buffer_load_dword v52, v55, s[0:3], 0 offen offset:4
	ds_read_b64 v[56:57], v54
	s_waitcnt vmcnt(0) lgkmcnt(0)
	v_mul_f64 v[51:52], v[51:52], v[56:57]
	s_cbranch_execz .LBB88_432
	s_branch .LBB88_433
.LBB88_431:
                                        ; implicit-def: $vgpr51_vgpr52
.LBB88_432:
	ds_read_b64 v[51:52], v54
.LBB88_433:
	v_cmp_ne_u32_e32 vcc, 20, v0
	s_and_saveexec_b64 s[8:9], vcc
	s_cbranch_execz .LBB88_437
; %bb.434:
	s_mov_b32 s10, 0
	v_add_u32_e32 v56, 0xd8, v53
	v_add3_u32 v57, v53, s10, 8
	s_mov_b64 s[10:11], 0
	v_mov_b32_e32 v58, v0
.LBB88_435:                             ; =>This Inner Loop Header: Depth=1
	buffer_load_dword v59, v57, s[0:3], 0 offen
	buffer_load_dword v60, v57, s[0:3], 0 offen offset:4
	ds_read_b64 v[61:62], v56
	v_add_u32_e32 v58, 1, v58
	v_cmp_lt_u32_e32 vcc, 19, v58
	v_add_u32_e32 v56, 8, v56
	s_or_b64 s[10:11], vcc, s[10:11]
	v_add_u32_e32 v57, 8, v57
	s_waitcnt vmcnt(0) lgkmcnt(0)
	v_fma_f64 v[51:52], v[59:60], v[61:62], v[51:52]
	s_andn2_b64 exec, exec, s[10:11]
	s_cbranch_execnz .LBB88_435
; %bb.436:
	s_or_b64 exec, exec, s[10:11]
.LBB88_437:
	s_or_b64 exec, exec, s[8:9]
	v_mov_b32_e32 v56, 0
	ds_read_b64 v[56:57], v56 offset:168
	s_waitcnt lgkmcnt(0)
	v_mul_f64 v[51:52], v[51:52], v[56:57]
	buffer_store_dword v52, off, s[0:3], 0 offset:172
	buffer_store_dword v51, off, s[0:3], 0 offset:168
.LBB88_438:
	s_or_b64 exec, exec, s[6:7]
	buffer_load_dword v51, off, s[0:3], 0 offset:176
	buffer_load_dword v52, off, s[0:3], 0 offset:180
	v_cmp_gt_u32_e32 vcc, 22, v0
	s_waitcnt vmcnt(0)
	ds_write_b64 v54, v[51:52]
	s_waitcnt lgkmcnt(0)
	; wave barrier
	s_and_saveexec_b64 s[6:7], vcc
	s_cbranch_execz .LBB88_448
; %bb.439:
	s_and_b64 vcc, exec, s[4:5]
	s_cbranch_vccnz .LBB88_441
; %bb.440:
	buffer_load_dword v51, v55, s[0:3], 0 offen
	buffer_load_dword v52, v55, s[0:3], 0 offen offset:4
	ds_read_b64 v[56:57], v54
	s_waitcnt vmcnt(0) lgkmcnt(0)
	v_mul_f64 v[51:52], v[51:52], v[56:57]
	s_cbranch_execz .LBB88_442
	s_branch .LBB88_443
.LBB88_441:
                                        ; implicit-def: $vgpr51_vgpr52
.LBB88_442:
	ds_read_b64 v[51:52], v54
.LBB88_443:
	v_cmp_ne_u32_e32 vcc, 21, v0
	s_and_saveexec_b64 s[8:9], vcc
	s_cbranch_execz .LBB88_447
; %bb.444:
	s_mov_b32 s10, 0
	v_add_u32_e32 v56, 0xd8, v53
	v_add3_u32 v57, v53, s10, 8
	s_mov_b64 s[10:11], 0
	v_mov_b32_e32 v58, v0
.LBB88_445:                             ; =>This Inner Loop Header: Depth=1
	buffer_load_dword v59, v57, s[0:3], 0 offen
	buffer_load_dword v60, v57, s[0:3], 0 offen offset:4
	ds_read_b64 v[61:62], v56
	v_add_u32_e32 v58, 1, v58
	v_cmp_lt_u32_e32 vcc, 20, v58
	v_add_u32_e32 v56, 8, v56
	s_or_b64 s[10:11], vcc, s[10:11]
	v_add_u32_e32 v57, 8, v57
	s_waitcnt vmcnt(0) lgkmcnt(0)
	v_fma_f64 v[51:52], v[59:60], v[61:62], v[51:52]
	s_andn2_b64 exec, exec, s[10:11]
	s_cbranch_execnz .LBB88_445
; %bb.446:
	s_or_b64 exec, exec, s[10:11]
.LBB88_447:
	s_or_b64 exec, exec, s[8:9]
	v_mov_b32_e32 v56, 0
	ds_read_b64 v[56:57], v56 offset:176
	s_waitcnt lgkmcnt(0)
	v_mul_f64 v[51:52], v[51:52], v[56:57]
	buffer_store_dword v52, off, s[0:3], 0 offset:180
	buffer_store_dword v51, off, s[0:3], 0 offset:176
.LBB88_448:
	s_or_b64 exec, exec, s[6:7]
	buffer_load_dword v51, off, s[0:3], 0 offset:184
	buffer_load_dword v52, off, s[0:3], 0 offset:188
	v_cmp_gt_u32_e64 s[6:7], 23, v0
	s_waitcnt vmcnt(0)
	ds_write_b64 v54, v[51:52]
	s_waitcnt lgkmcnt(0)
	; wave barrier
	s_and_saveexec_b64 s[8:9], s[6:7]
	s_cbranch_execz .LBB88_458
; %bb.449:
	s_and_b64 vcc, exec, s[4:5]
	s_cbranch_vccnz .LBB88_451
; %bb.450:
	buffer_load_dword v51, v55, s[0:3], 0 offen
	buffer_load_dword v52, v55, s[0:3], 0 offen offset:4
	ds_read_b64 v[56:57], v54
	s_waitcnt vmcnt(0) lgkmcnt(0)
	v_mul_f64 v[51:52], v[51:52], v[56:57]
	s_cbranch_execz .LBB88_452
	s_branch .LBB88_453
.LBB88_451:
                                        ; implicit-def: $vgpr51_vgpr52
.LBB88_452:
	ds_read_b64 v[51:52], v54
.LBB88_453:
	v_cmp_ne_u32_e32 vcc, 22, v0
	s_and_saveexec_b64 s[10:11], vcc
	s_cbranch_execz .LBB88_457
; %bb.454:
	s_mov_b32 s12, 0
	v_add_u32_e32 v56, 0xd8, v53
	v_add3_u32 v57, v53, s12, 8
	s_mov_b64 s[12:13], 0
	v_mov_b32_e32 v58, v0
.LBB88_455:                             ; =>This Inner Loop Header: Depth=1
	buffer_load_dword v59, v57, s[0:3], 0 offen
	buffer_load_dword v60, v57, s[0:3], 0 offen offset:4
	ds_read_b64 v[61:62], v56
	v_add_u32_e32 v58, 1, v58
	v_cmp_lt_u32_e32 vcc, 21, v58
	v_add_u32_e32 v56, 8, v56
	s_or_b64 s[12:13], vcc, s[12:13]
	v_add_u32_e32 v57, 8, v57
	s_waitcnt vmcnt(0) lgkmcnt(0)
	v_fma_f64 v[51:52], v[59:60], v[61:62], v[51:52]
	s_andn2_b64 exec, exec, s[12:13]
	s_cbranch_execnz .LBB88_455
; %bb.456:
	s_or_b64 exec, exec, s[12:13]
.LBB88_457:
	s_or_b64 exec, exec, s[10:11]
	v_mov_b32_e32 v56, 0
	ds_read_b64 v[56:57], v56 offset:184
	s_waitcnt lgkmcnt(0)
	v_mul_f64 v[51:52], v[51:52], v[56:57]
	buffer_store_dword v52, off, s[0:3], 0 offset:188
	buffer_store_dword v51, off, s[0:3], 0 offset:184
.LBB88_458:
	s_or_b64 exec, exec, s[8:9]
	buffer_load_dword v51, off, s[0:3], 0 offset:192
	buffer_load_dword v52, off, s[0:3], 0 offset:196
	v_cmp_ne_u32_e32 vcc, 24, v0
	s_waitcnt vmcnt(0)
	ds_write_b64 v54, v[51:52]
	s_waitcnt lgkmcnt(0)
	; wave barrier
	s_and_saveexec_b64 s[8:9], vcc
	s_cbranch_execz .LBB88_468
; %bb.459:
	s_and_b64 vcc, exec, s[4:5]
	s_cbranch_vccnz .LBB88_461
; %bb.460:
	buffer_load_dword v51, v55, s[0:3], 0 offen
	buffer_load_dword v52, v55, s[0:3], 0 offen offset:4
	ds_read_b64 v[55:56], v54
	s_waitcnt vmcnt(0) lgkmcnt(0)
	v_mul_f64 v[51:52], v[51:52], v[55:56]
	s_cbranch_execz .LBB88_462
	s_branch .LBB88_463
.LBB88_461:
                                        ; implicit-def: $vgpr51_vgpr52
.LBB88_462:
	ds_read_b64 v[51:52], v54
.LBB88_463:
	s_and_saveexec_b64 s[4:5], s[6:7]
	s_cbranch_execz .LBB88_467
; %bb.464:
	s_mov_b32 s6, 0
	v_add_u32_e32 v54, 0xd8, v53
	v_add3_u32 v53, v53, s6, 8
	s_mov_b64 s[6:7], 0
.LBB88_465:                             ; =>This Inner Loop Header: Depth=1
	buffer_load_dword v55, v53, s[0:3], 0 offen
	buffer_load_dword v56, v53, s[0:3], 0 offen offset:4
	ds_read_b64 v[57:58], v54
	v_add_u32_e32 v0, 1, v0
	v_cmp_lt_u32_e32 vcc, 22, v0
	v_add_u32_e32 v54, 8, v54
	s_or_b64 s[6:7], vcc, s[6:7]
	v_add_u32_e32 v53, 8, v53
	s_waitcnt vmcnt(0) lgkmcnt(0)
	v_fma_f64 v[51:52], v[55:56], v[57:58], v[51:52]
	s_andn2_b64 exec, exec, s[6:7]
	s_cbranch_execnz .LBB88_465
; %bb.466:
	s_or_b64 exec, exec, s[6:7]
.LBB88_467:
	s_or_b64 exec, exec, s[4:5]
	v_mov_b32_e32 v0, 0
	ds_read_b64 v[53:54], v0 offset:192
	s_waitcnt lgkmcnt(0)
	v_mul_f64 v[51:52], v[51:52], v[53:54]
	buffer_store_dword v52, off, s[0:3], 0 offset:196
	buffer_store_dword v51, off, s[0:3], 0 offset:192
.LBB88_468:
	s_or_b64 exec, exec, s[8:9]
.LBB88_469:
	buffer_load_dword v51, off, s[0:3], 0
	buffer_load_dword v52, off, s[0:3], 0 offset:4
	s_waitcnt vmcnt(0)
	flat_store_dwordx2 v[1:2], v[51:52]
	buffer_load_dword v0, off, s[0:3], 0 offset:8
	s_nop 0
	buffer_load_dword v1, off, s[0:3], 0 offset:12
	s_waitcnt vmcnt(0)
	flat_store_dwordx2 v[3:4], v[0:1]
	buffer_load_dword v0, off, s[0:3], 0 offset:16
	s_nop 0
	;; [unrolled: 5-line block ×24, first 2 shown]
	buffer_load_dword v1, off, s[0:3], 0 offset:196
	s_waitcnt vmcnt(0)
	flat_store_dwordx2 v[49:50], v[0:1]
.LBB88_470:
	s_endpgm
	.section	.rodata,"a",@progbits
	.p2align	6, 0x0
	.amdhsa_kernel _ZN9rocsolver6v33100L18trti2_kernel_smallILi25EdPKPdEEv13rocblas_fill_17rocblas_diagonal_T1_iil
		.amdhsa_group_segment_fixed_size 408
		.amdhsa_private_segment_fixed_size 208
		.amdhsa_kernarg_size 32
		.amdhsa_user_sgpr_count 6
		.amdhsa_user_sgpr_private_segment_buffer 1
		.amdhsa_user_sgpr_dispatch_ptr 0
		.amdhsa_user_sgpr_queue_ptr 0
		.amdhsa_user_sgpr_kernarg_segment_ptr 1
		.amdhsa_user_sgpr_dispatch_id 0
		.amdhsa_user_sgpr_flat_scratch_init 0
		.amdhsa_user_sgpr_private_segment_size 0
		.amdhsa_uses_dynamic_stack 0
		.amdhsa_system_sgpr_private_segment_wavefront_offset 1
		.amdhsa_system_sgpr_workgroup_id_x 1
		.amdhsa_system_sgpr_workgroup_id_y 0
		.amdhsa_system_sgpr_workgroup_id_z 0
		.amdhsa_system_sgpr_workgroup_info 0
		.amdhsa_system_vgpr_workitem_id 0
		.amdhsa_next_free_vgpr 64
		.amdhsa_next_free_sgpr 38
		.amdhsa_reserve_vcc 1
		.amdhsa_reserve_flat_scratch 0
		.amdhsa_float_round_mode_32 0
		.amdhsa_float_round_mode_16_64 0
		.amdhsa_float_denorm_mode_32 3
		.amdhsa_float_denorm_mode_16_64 3
		.amdhsa_dx10_clamp 1
		.amdhsa_ieee_mode 1
		.amdhsa_fp16_overflow 0
		.amdhsa_exception_fp_ieee_invalid_op 0
		.amdhsa_exception_fp_denorm_src 0
		.amdhsa_exception_fp_ieee_div_zero 0
		.amdhsa_exception_fp_ieee_overflow 0
		.amdhsa_exception_fp_ieee_underflow 0
		.amdhsa_exception_fp_ieee_inexact 0
		.amdhsa_exception_int_div_zero 0
	.end_amdhsa_kernel
	.section	.text._ZN9rocsolver6v33100L18trti2_kernel_smallILi25EdPKPdEEv13rocblas_fill_17rocblas_diagonal_T1_iil,"axG",@progbits,_ZN9rocsolver6v33100L18trti2_kernel_smallILi25EdPKPdEEv13rocblas_fill_17rocblas_diagonal_T1_iil,comdat
.Lfunc_end88:
	.size	_ZN9rocsolver6v33100L18trti2_kernel_smallILi25EdPKPdEEv13rocblas_fill_17rocblas_diagonal_T1_iil, .Lfunc_end88-_ZN9rocsolver6v33100L18trti2_kernel_smallILi25EdPKPdEEv13rocblas_fill_17rocblas_diagonal_T1_iil
                                        ; -- End function
	.set _ZN9rocsolver6v33100L18trti2_kernel_smallILi25EdPKPdEEv13rocblas_fill_17rocblas_diagonal_T1_iil.num_vgpr, 64
	.set _ZN9rocsolver6v33100L18trti2_kernel_smallILi25EdPKPdEEv13rocblas_fill_17rocblas_diagonal_T1_iil.num_agpr, 0
	.set _ZN9rocsolver6v33100L18trti2_kernel_smallILi25EdPKPdEEv13rocblas_fill_17rocblas_diagonal_T1_iil.numbered_sgpr, 38
	.set _ZN9rocsolver6v33100L18trti2_kernel_smallILi25EdPKPdEEv13rocblas_fill_17rocblas_diagonal_T1_iil.num_named_barrier, 0
	.set _ZN9rocsolver6v33100L18trti2_kernel_smallILi25EdPKPdEEv13rocblas_fill_17rocblas_diagonal_T1_iil.private_seg_size, 208
	.set _ZN9rocsolver6v33100L18trti2_kernel_smallILi25EdPKPdEEv13rocblas_fill_17rocblas_diagonal_T1_iil.uses_vcc, 1
	.set _ZN9rocsolver6v33100L18trti2_kernel_smallILi25EdPKPdEEv13rocblas_fill_17rocblas_diagonal_T1_iil.uses_flat_scratch, 0
	.set _ZN9rocsolver6v33100L18trti2_kernel_smallILi25EdPKPdEEv13rocblas_fill_17rocblas_diagonal_T1_iil.has_dyn_sized_stack, 0
	.set _ZN9rocsolver6v33100L18trti2_kernel_smallILi25EdPKPdEEv13rocblas_fill_17rocblas_diagonal_T1_iil.has_recursion, 0
	.set _ZN9rocsolver6v33100L18trti2_kernel_smallILi25EdPKPdEEv13rocblas_fill_17rocblas_diagonal_T1_iil.has_indirect_call, 0
	.section	.AMDGPU.csdata,"",@progbits
; Kernel info:
; codeLenInByte = 14536
; TotalNumSgprs: 42
; NumVgprs: 64
; ScratchSize: 208
; MemoryBound: 0
; FloatMode: 240
; IeeeMode: 1
; LDSByteSize: 408 bytes/workgroup (compile time only)
; SGPRBlocks: 5
; VGPRBlocks: 15
; NumSGPRsForWavesPerEU: 42
; NumVGPRsForWavesPerEU: 64
; Occupancy: 4
; WaveLimiterHint : 1
; COMPUTE_PGM_RSRC2:SCRATCH_EN: 1
; COMPUTE_PGM_RSRC2:USER_SGPR: 6
; COMPUTE_PGM_RSRC2:TRAP_HANDLER: 0
; COMPUTE_PGM_RSRC2:TGID_X_EN: 1
; COMPUTE_PGM_RSRC2:TGID_Y_EN: 0
; COMPUTE_PGM_RSRC2:TGID_Z_EN: 0
; COMPUTE_PGM_RSRC2:TIDIG_COMP_CNT: 0
	.section	.text._ZN9rocsolver6v33100L18trti2_kernel_smallILi26EdPKPdEEv13rocblas_fill_17rocblas_diagonal_T1_iil,"axG",@progbits,_ZN9rocsolver6v33100L18trti2_kernel_smallILi26EdPKPdEEv13rocblas_fill_17rocblas_diagonal_T1_iil,comdat
	.globl	_ZN9rocsolver6v33100L18trti2_kernel_smallILi26EdPKPdEEv13rocblas_fill_17rocblas_diagonal_T1_iil ; -- Begin function _ZN9rocsolver6v33100L18trti2_kernel_smallILi26EdPKPdEEv13rocblas_fill_17rocblas_diagonal_T1_iil
	.p2align	8
	.type	_ZN9rocsolver6v33100L18trti2_kernel_smallILi26EdPKPdEEv13rocblas_fill_17rocblas_diagonal_T1_iil,@function
_ZN9rocsolver6v33100L18trti2_kernel_smallILi26EdPKPdEEv13rocblas_fill_17rocblas_diagonal_T1_iil: ; @_ZN9rocsolver6v33100L18trti2_kernel_smallILi26EdPKPdEEv13rocblas_fill_17rocblas_diagonal_T1_iil
; %bb.0:
	s_add_u32 s0, s0, s7
	s_addc_u32 s1, s1, 0
	v_cmp_gt_u32_e32 vcc, 26, v0
	s_and_saveexec_b64 s[8:9], vcc
	s_cbranch_execz .LBB89_490
; %bb.1:
	s_load_dwordx2 s[12:13], s[4:5], 0x10
	s_load_dwordx4 s[8:11], s[4:5], 0x0
	s_ashr_i32 s7, s6, 31
	s_lshl_b64 s[6:7], s[6:7], 3
	v_lshlrev_b32_e32 v55, 3, v0
	s_waitcnt lgkmcnt(0)
	s_ashr_i32 s5, s12, 31
	s_add_u32 s6, s10, s6
	s_addc_u32 s7, s11, s7
	s_load_dwordx2 s[6:7], s[6:7], 0x0
	s_mov_b32 s4, s12
	s_lshl_b64 s[4:5], s[4:5], 3
	s_waitcnt lgkmcnt(0)
	s_add_u32 s4, s6, s4
	s_addc_u32 s5, s7, s5
	v_mov_b32_e32 v2, s5
	v_add_co_u32_e32 v1, vcc, s4, v55
	v_addc_co_u32_e32 v2, vcc, 0, v2, vcc
	flat_load_dwordx2 v[5:6], v[1:2]
	s_mov_b32 s6, s13
	s_ashr_i32 s7, s13, 31
	s_lshl_b64 s[6:7], s[6:7], 3
	v_mov_b32_e32 v4, s7
	v_add_co_u32_e32 v3, vcc, s6, v1
	v_addc_co_u32_e32 v4, vcc, v2, v4, vcc
	s_add_i32 s6, s13, s13
	v_add_u32_e32 v9, s6, v0
	v_ashrrev_i32_e32 v10, 31, v9
	v_mov_b32_e32 v11, s5
	v_add_u32_e32 v12, s13, v9
	v_ashrrev_i32_e32 v13, 31, v12
	v_mov_b32_e32 v14, s5
	v_mov_b32_e32 v15, s5
	;; [unrolled: 1-line block ×22, first 2 shown]
	s_cmpk_lg_i32 s9, 0x84
	s_cselect_b64 s[10:11], -1, 0
	s_cmpk_eq_i32 s9, 0x84
	s_waitcnt vmcnt(0) lgkmcnt(0)
	buffer_store_dword v6, off, s[0:3], 0 offset:4
	buffer_store_dword v5, off, s[0:3], 0
	flat_load_dwordx2 v[7:8], v[3:4]
	v_lshlrev_b64 v[5:6], 3, v[9:10]
	s_waitcnt vmcnt(0) lgkmcnt(0)
	buffer_store_dword v8, off, s[0:3], 0 offset:12
	buffer_store_dword v7, off, s[0:3], 0 offset:8
	v_add_co_u32_e32 v5, vcc, s4, v5
	v_addc_co_u32_e32 v6, vcc, v11, v6, vcc
	flat_load_dwordx2 v[10:11], v[5:6]
	v_lshlrev_b64 v[7:8], 3, v[12:13]
	s_waitcnt vmcnt(0) lgkmcnt(0)
	buffer_store_dword v11, off, s[0:3], 0 offset:20
	buffer_store_dword v10, off, s[0:3], 0 offset:16
	v_add_co_u32_e32 v7, vcc, s4, v7
	v_addc_co_u32_e32 v8, vcc, v14, v8, vcc
	flat_load_dwordx2 v[13:14], v[7:8]
	v_add_u32_e32 v11, s13, v12
	v_ashrrev_i32_e32 v12, 31, v11
	v_lshlrev_b64 v[9:10], 3, v[11:12]
	s_waitcnt vmcnt(0) lgkmcnt(0)
	buffer_store_dword v14, off, s[0:3], 0 offset:28
	buffer_store_dword v13, off, s[0:3], 0 offset:24
	v_add_co_u32_e32 v9, vcc, s4, v9
	v_addc_co_u32_e32 v10, vcc, v15, v10, vcc
	flat_load_dwordx2 v[13:14], v[9:10]
	v_add_u32_e32 v15, s13, v11
	v_ashrrev_i32_e32 v16, 31, v15
	v_lshlrev_b64 v[11:12], 3, v[15:16]
	v_add_u32_e32 v18, s13, v15
	v_add_co_u32_e32 v11, vcc, s4, v11
	v_addc_co_u32_e32 v12, vcc, v17, v12, vcc
	v_ashrrev_i32_e32 v19, 31, v18
	s_waitcnt vmcnt(0) lgkmcnt(0)
	buffer_store_dword v14, off, s[0:3], 0 offset:36
	buffer_store_dword v13, off, s[0:3], 0 offset:32
	flat_load_dwordx2 v[16:17], v[11:12]
	v_lshlrev_b64 v[13:14], 3, v[18:19]
	s_waitcnt vmcnt(0) lgkmcnt(0)
	buffer_store_dword v17, off, s[0:3], 0 offset:44
	buffer_store_dword v16, off, s[0:3], 0 offset:40
	v_add_co_u32_e32 v13, vcc, s4, v13
	v_addc_co_u32_e32 v14, vcc, v20, v14, vcc
	flat_load_dwordx2 v[19:20], v[13:14]
	v_add_u32_e32 v17, s13, v18
	v_ashrrev_i32_e32 v18, 31, v17
	v_lshlrev_b64 v[15:16], 3, v[17:18]
	s_waitcnt vmcnt(0) lgkmcnt(0)
	buffer_store_dword v20, off, s[0:3], 0 offset:52
	buffer_store_dword v19, off, s[0:3], 0 offset:48
	v_add_co_u32_e32 v15, vcc, s4, v15
	v_addc_co_u32_e32 v16, vcc, v21, v16, vcc
	flat_load_dwordx2 v[19:20], v[15:16]
	v_add_u32_e32 v21, s13, v17
	v_ashrrev_i32_e32 v22, 31, v21
	v_lshlrev_b64 v[17:18], 3, v[21:22]
	v_add_u32_e32 v24, s13, v21
	v_add_co_u32_e32 v17, vcc, s4, v17
	v_addc_co_u32_e32 v18, vcc, v23, v18, vcc
	v_ashrrev_i32_e32 v25, 31, v24
	s_waitcnt vmcnt(0) lgkmcnt(0)
	buffer_store_dword v20, off, s[0:3], 0 offset:60
	buffer_store_dword v19, off, s[0:3], 0 offset:56
	;; [unrolled: 27-line block ×6, first 2 shown]
	flat_load_dwordx2 v[46:47], v[41:42]
	v_lshlrev_b64 v[43:44], 3, v[48:49]
	s_waitcnt vmcnt(0) lgkmcnt(0)
	buffer_store_dword v47, off, s[0:3], 0 offset:164
	buffer_store_dword v46, off, s[0:3], 0 offset:160
	v_add_co_u32_e32 v43, vcc, s4, v43
	v_addc_co_u32_e32 v44, vcc, v50, v44, vcc
	flat_load_dwordx2 v[49:50], v[43:44]
	v_add_u32_e32 v47, s13, v48
	v_ashrrev_i32_e32 v48, 31, v47
	v_lshlrev_b64 v[45:46], 3, v[47:48]
	s_waitcnt vmcnt(0) lgkmcnt(0)
	buffer_store_dword v50, off, s[0:3], 0 offset:172
	buffer_store_dword v49, off, s[0:3], 0 offset:168
	v_add_co_u32_e32 v45, vcc, s4, v45
	v_addc_co_u32_e32 v46, vcc, v51, v46, vcc
	flat_load_dwordx2 v[49:50], v[45:46]
	v_add_u32_e32 v51, s13, v47
	v_ashrrev_i32_e32 v52, 31, v51
	v_lshlrev_b64 v[47:48], 3, v[51:52]
	v_add_u32_e32 v56, s13, v51
	v_add_co_u32_e32 v47, vcc, s4, v47
	v_addc_co_u32_e32 v48, vcc, v53, v48, vcc
	v_ashrrev_i32_e32 v57, 31, v56
	v_add_u32_e32 v51, s13, v56
	s_waitcnt vmcnt(0) lgkmcnt(0)
	buffer_store_dword v50, off, s[0:3], 0 offset:180
	buffer_store_dword v49, off, s[0:3], 0 offset:176
	flat_load_dwordx2 v[52:53], v[47:48]
	v_lshlrev_b64 v[49:50], 3, v[56:57]
	v_mov_b32_e32 v57, s5
	v_add_co_u32_e32 v49, vcc, s4, v49
	v_addc_co_u32_e32 v50, vcc, v54, v50, vcc
	s_waitcnt vmcnt(0) lgkmcnt(0)
	buffer_store_dword v53, off, s[0:3], 0 offset:188
	buffer_store_dword v52, off, s[0:3], 0 offset:184
	flat_load_dwordx2 v[53:54], v[49:50]
	v_ashrrev_i32_e32 v52, 31, v51
	v_lshlrev_b64 v[51:52], 3, v[51:52]
	s_waitcnt vmcnt(0) lgkmcnt(0)
	buffer_store_dword v54, off, s[0:3], 0 offset:196
	buffer_store_dword v53, off, s[0:3], 0 offset:192
	v_add_co_u32_e32 v51, vcc, s4, v51
	v_addc_co_u32_e32 v52, vcc, v57, v52, vcc
	flat_load_dwordx2 v[56:57], v[51:52]
	v_mov_b32_e32 v53, 0
	v_mov_b32_e32 v54, 0xbff00000
	s_waitcnt vmcnt(0) lgkmcnt(0)
	buffer_store_dword v57, off, s[0:3], 0 offset:204
	buffer_store_dword v56, off, s[0:3], 0 offset:200
	s_cbranch_scc1 .LBB89_3
; %bb.2:
	v_mov_b32_e32 v53, 0
	v_lshl_add_u32 v64, v0, 3, v53
	buffer_load_dword v53, v64, s[0:3], 0 offen
	buffer_load_dword v54, v64, s[0:3], 0 offen offset:4
	s_waitcnt vmcnt(0)
	v_div_scale_f64 v[56:57], s[4:5], v[53:54], v[53:54], 1.0
	v_rcp_f64_e32 v[58:59], v[56:57]
	v_fma_f64 v[60:61], -v[56:57], v[58:59], 1.0
	v_fma_f64 v[58:59], v[58:59], v[60:61], v[58:59]
	v_div_scale_f64 v[60:61], vcc, 1.0, v[53:54], 1.0
	v_fma_f64 v[62:63], -v[56:57], v[58:59], 1.0
	v_fma_f64 v[58:59], v[58:59], v[62:63], v[58:59]
	v_mul_f64 v[62:63], v[60:61], v[58:59]
	v_fma_f64 v[56:57], -v[56:57], v[62:63], v[60:61]
	v_div_fmas_f64 v[56:57], v[56:57], v[58:59], v[62:63]
	v_div_fixup_f64 v[53:54], v[56:57], v[53:54], 1.0
	buffer_store_dword v53, v64, s[0:3], 0 offen
	buffer_store_dword v54, v64, s[0:3], 0 offen offset:4
	v_xor_b32_e32 v54, 0x80000000, v54
.LBB89_3:
	s_cmpk_eq_i32 s8, 0x79
	v_add_u32_e32 v56, 0xd0, v55
	v_mov_b32_e32 v57, v55
	s_mov_b64 s[4:5], -1
	ds_write_b64 v55, v[53:54]
	s_cbranch_scc1 .LBB89_247
; %bb.4:
	buffer_load_dword v53, off, s[0:3], 0 offset:192
	buffer_load_dword v54, off, s[0:3], 0 offset:196
	s_movk_i32 s12, 0x48
	s_movk_i32 s13, 0x50
	;; [unrolled: 1-line block ×15, first 2 shown]
	v_cmp_eq_u32_e64 s[4:5], 25, v0
	s_waitcnt vmcnt(0)
	ds_write_b64 v56, v[53:54]
	s_waitcnt lgkmcnt(0)
	; wave barrier
	s_and_saveexec_b64 s[6:7], s[4:5]
	s_cbranch_execz .LBB89_10
; %bb.5:
	s_and_b64 vcc, exec, s[10:11]
	s_cbranch_vccz .LBB89_7
; %bb.6:
	buffer_load_dword v53, v57, s[0:3], 0 offen
	buffer_load_dword v54, v57, s[0:3], 0 offen offset:4
	ds_read_b64 v[58:59], v56
	s_waitcnt vmcnt(0) lgkmcnt(0)
	v_mul_f64 v[53:54], v[53:54], v[58:59]
	s_cbranch_execz .LBB89_8
	s_branch .LBB89_9
.LBB89_7:
                                        ; implicit-def: $vgpr53_vgpr54
.LBB89_8:
	ds_read_b64 v[53:54], v56
.LBB89_9:
	v_mov_b32_e32 v58, 0
	ds_read_b64 v[58:59], v58 offset:192
	s_waitcnt lgkmcnt(0)
	v_mul_f64 v[53:54], v[53:54], v[58:59]
	buffer_store_dword v54, off, s[0:3], 0 offset:196
	buffer_store_dword v53, off, s[0:3], 0 offset:192
.LBB89_10:
	s_or_b64 exec, exec, s[6:7]
	buffer_load_dword v53, off, s[0:3], 0 offset:184
	buffer_load_dword v54, off, s[0:3], 0 offset:188
	s_or_b32 s14, 0, 8
	s_mov_b32 s15, 16
	s_mov_b32 s16, 24
	;; [unrolled: 1-line block ×9, first 2 shown]
	v_cmp_lt_u32_e64 s[6:7], 23, v0
	s_waitcnt vmcnt(0)
	ds_write_b64 v56, v[53:54]
	s_waitcnt lgkmcnt(0)
	; wave barrier
	s_and_saveexec_b64 s[8:9], s[6:7]
	s_cbranch_execz .LBB89_16
; %bb.11:
	s_andn2_b64 vcc, exec, s[10:11]
	s_cbranch_vccnz .LBB89_13
; %bb.12:
	buffer_load_dword v53, v57, s[0:3], 0 offen
	buffer_load_dword v54, v57, s[0:3], 0 offen offset:4
	ds_read_b64 v[58:59], v56
	s_waitcnt vmcnt(0) lgkmcnt(0)
	v_mul_f64 v[53:54], v[53:54], v[58:59]
	s_cbranch_execz .LBB89_14
	s_branch .LBB89_15
.LBB89_13:
                                        ; implicit-def: $vgpr53_vgpr54
.LBB89_14:
	ds_read_b64 v[53:54], v56
.LBB89_15:
	buffer_load_dword v62, off, s[0:3], 0 offset:192
	buffer_load_dword v63, off, s[0:3], 0 offset:196
	v_mov_b32_e32 v58, 0
	ds_read2_b64 v[58:61], v58 offset0:23 offset1:50
	s_waitcnt vmcnt(0) lgkmcnt(0)
	v_fma_f64 v[60:61], v[62:63], v[60:61], v[53:54]
	v_cndmask_b32_e64 v54, v54, v61, s[4:5]
	v_cndmask_b32_e64 v53, v53, v60, s[4:5]
	v_mul_f64 v[53:54], v[53:54], v[58:59]
	buffer_store_dword v54, off, s[0:3], 0 offset:188
	buffer_store_dword v53, off, s[0:3], 0 offset:184
.LBB89_16:
	s_or_b64 exec, exec, s[8:9]
	buffer_load_dword v53, off, s[0:3], 0 offset:176
	buffer_load_dword v54, off, s[0:3], 0 offset:180
	v_cmp_lt_u32_e64 s[4:5], 22, v0
	s_waitcnt vmcnt(0)
	ds_write_b64 v56, v[53:54]
	s_waitcnt lgkmcnt(0)
	; wave barrier
	s_and_saveexec_b64 s[8:9], s[4:5]
	s_cbranch_execz .LBB89_26
; %bb.17:
	s_andn2_b64 vcc, exec, s[10:11]
	s_cbranch_vccnz .LBB89_19
; %bb.18:
	buffer_load_dword v53, v57, s[0:3], 0 offen
	buffer_load_dword v54, v57, s[0:3], 0 offen offset:4
	ds_read_b64 v[58:59], v56
	s_waitcnt vmcnt(0) lgkmcnt(0)
	v_mul_f64 v[53:54], v[53:54], v[58:59]
	s_cbranch_execz .LBB89_20
	s_branch .LBB89_21
.LBB89_19:
                                        ; implicit-def: $vgpr53_vgpr54
.LBB89_20:
	ds_read_b64 v[53:54], v56
.LBB89_21:
	s_and_saveexec_b64 s[12:13], s[6:7]
	s_cbranch_execz .LBB89_25
; %bb.22:
	v_subrev_u32_e32 v58, 23, v0
	s_movk_i32 s38, 0x188
	s_mov_b64 s[6:7], 0
.LBB89_23:                              ; =>This Inner Loop Header: Depth=1
	v_mov_b32_e32 v61, s37
	buffer_load_dword v59, v61, s[0:3], 0 offen
	buffer_load_dword v60, v61, s[0:3], 0 offen offset:4
	v_mov_b32_e32 v61, s38
	ds_read_b64 v[61:62], v61
	v_add_u32_e32 v58, -1, v58
	s_add_i32 s38, s38, 8
	s_add_i32 s37, s37, 8
	v_cmp_eq_u32_e32 vcc, 0, v58
	s_or_b64 s[6:7], vcc, s[6:7]
	s_waitcnt vmcnt(0) lgkmcnt(0)
	v_fma_f64 v[53:54], v[59:60], v[61:62], v[53:54]
	s_andn2_b64 exec, exec, s[6:7]
	s_cbranch_execnz .LBB89_23
; %bb.24:
	s_or_b64 exec, exec, s[6:7]
.LBB89_25:
	s_or_b64 exec, exec, s[12:13]
	v_mov_b32_e32 v58, 0
	ds_read_b64 v[58:59], v58 offset:176
	s_waitcnt lgkmcnt(0)
	v_mul_f64 v[53:54], v[53:54], v[58:59]
	buffer_store_dword v54, off, s[0:3], 0 offset:180
	buffer_store_dword v53, off, s[0:3], 0 offset:176
.LBB89_26:
	s_or_b64 exec, exec, s[8:9]
	buffer_load_dword v53, off, s[0:3], 0 offset:168
	buffer_load_dword v54, off, s[0:3], 0 offset:172
	v_cmp_lt_u32_e64 s[6:7], 21, v0
	s_waitcnt vmcnt(0)
	ds_write_b64 v56, v[53:54]
	s_waitcnt lgkmcnt(0)
	; wave barrier
	s_and_saveexec_b64 s[8:9], s[6:7]
	s_cbranch_execz .LBB89_36
; %bb.27:
	s_andn2_b64 vcc, exec, s[10:11]
	s_cbranch_vccnz .LBB89_29
; %bb.28:
	buffer_load_dword v53, v57, s[0:3], 0 offen
	buffer_load_dword v54, v57, s[0:3], 0 offen offset:4
	ds_read_b64 v[58:59], v56
	s_waitcnt vmcnt(0) lgkmcnt(0)
	v_mul_f64 v[53:54], v[53:54], v[58:59]
	s_cbranch_execz .LBB89_30
	s_branch .LBB89_31
.LBB89_29:
                                        ; implicit-def: $vgpr53_vgpr54
.LBB89_30:
	ds_read_b64 v[53:54], v56
.LBB89_31:
	s_and_saveexec_b64 s[12:13], s[4:5]
	s_cbranch_execz .LBB89_35
; %bb.32:
	v_subrev_u32_e32 v58, 22, v0
	s_movk_i32 s37, 0x180
	s_mov_b64 s[4:5], 0
.LBB89_33:                              ; =>This Inner Loop Header: Depth=1
	v_mov_b32_e32 v61, s36
	buffer_load_dword v59, v61, s[0:3], 0 offen
	buffer_load_dword v60, v61, s[0:3], 0 offen offset:4
	v_mov_b32_e32 v61, s37
	ds_read_b64 v[61:62], v61
	v_add_u32_e32 v58, -1, v58
	s_add_i32 s37, s37, 8
	s_add_i32 s36, s36, 8
	v_cmp_eq_u32_e32 vcc, 0, v58
	s_or_b64 s[4:5], vcc, s[4:5]
	s_waitcnt vmcnt(0) lgkmcnt(0)
	v_fma_f64 v[53:54], v[59:60], v[61:62], v[53:54]
	s_andn2_b64 exec, exec, s[4:5]
	s_cbranch_execnz .LBB89_33
; %bb.34:
	s_or_b64 exec, exec, s[4:5]
.LBB89_35:
	s_or_b64 exec, exec, s[12:13]
	v_mov_b32_e32 v58, 0
	ds_read_b64 v[58:59], v58 offset:168
	s_waitcnt lgkmcnt(0)
	v_mul_f64 v[53:54], v[53:54], v[58:59]
	buffer_store_dword v54, off, s[0:3], 0 offset:172
	buffer_store_dword v53, off, s[0:3], 0 offset:168
.LBB89_36:
	;; [unrolled: 58-line block ×7, first 2 shown]
	s_or_b64 exec, exec, s[8:9]
	buffer_load_dword v53, off, s[0:3], 0 offset:120
	buffer_load_dword v54, off, s[0:3], 0 offset:124
	v_cmp_lt_u32_e64 s[6:7], 15, v0
	s_waitcnt vmcnt(0)
	ds_write_b64 v56, v[53:54]
	s_waitcnt lgkmcnt(0)
	; wave barrier
	s_and_saveexec_b64 s[8:9], s[6:7]
	s_cbranch_execz .LBB89_96
; %bb.87:
	s_andn2_b64 vcc, exec, s[10:11]
	s_cbranch_vccnz .LBB89_89
; %bb.88:
	buffer_load_dword v53, v57, s[0:3], 0 offen
	buffer_load_dword v54, v57, s[0:3], 0 offen offset:4
	ds_read_b64 v[58:59], v56
	s_waitcnt vmcnt(0) lgkmcnt(0)
	v_mul_f64 v[53:54], v[53:54], v[58:59]
	s_cbranch_execz .LBB89_90
	s_branch .LBB89_91
.LBB89_89:
                                        ; implicit-def: $vgpr53_vgpr54
.LBB89_90:
	ds_read_b64 v[53:54], v56
.LBB89_91:
	s_and_saveexec_b64 s[12:13], s[4:5]
	s_cbranch_execz .LBB89_95
; %bb.92:
	v_add_u32_e32 v58, -16, v0
	s_movk_i32 s30, 0x150
	s_mov_b64 s[4:5], 0
.LBB89_93:                              ; =>This Inner Loop Header: Depth=1
	v_mov_b32_e32 v61, s29
	buffer_load_dword v59, v61, s[0:3], 0 offen
	buffer_load_dword v60, v61, s[0:3], 0 offen offset:4
	v_mov_b32_e32 v61, s30
	ds_read_b64 v[61:62], v61
	v_add_u32_e32 v58, -1, v58
	s_add_i32 s30, s30, 8
	s_add_i32 s29, s29, 8
	v_cmp_eq_u32_e32 vcc, 0, v58
	s_or_b64 s[4:5], vcc, s[4:5]
	s_waitcnt vmcnt(0) lgkmcnt(0)
	v_fma_f64 v[53:54], v[59:60], v[61:62], v[53:54]
	s_andn2_b64 exec, exec, s[4:5]
	s_cbranch_execnz .LBB89_93
; %bb.94:
	s_or_b64 exec, exec, s[4:5]
.LBB89_95:
	s_or_b64 exec, exec, s[12:13]
	v_mov_b32_e32 v58, 0
	ds_read_b64 v[58:59], v58 offset:120
	s_waitcnt lgkmcnt(0)
	v_mul_f64 v[53:54], v[53:54], v[58:59]
	buffer_store_dword v54, off, s[0:3], 0 offset:124
	buffer_store_dword v53, off, s[0:3], 0 offset:120
.LBB89_96:
	s_or_b64 exec, exec, s[8:9]
	buffer_load_dword v53, off, s[0:3], 0 offset:112
	buffer_load_dword v54, off, s[0:3], 0 offset:116
	v_cmp_lt_u32_e64 s[4:5], 14, v0
	s_waitcnt vmcnt(0)
	ds_write_b64 v56, v[53:54]
	s_waitcnt lgkmcnt(0)
	; wave barrier
	s_and_saveexec_b64 s[8:9], s[4:5]
	s_cbranch_execz .LBB89_106
; %bb.97:
	s_andn2_b64 vcc, exec, s[10:11]
	s_cbranch_vccnz .LBB89_99
; %bb.98:
	buffer_load_dword v53, v57, s[0:3], 0 offen
	buffer_load_dword v54, v57, s[0:3], 0 offen offset:4
	ds_read_b64 v[58:59], v56
	s_waitcnt vmcnt(0) lgkmcnt(0)
	v_mul_f64 v[53:54], v[53:54], v[58:59]
	s_cbranch_execz .LBB89_100
	s_branch .LBB89_101
.LBB89_99:
                                        ; implicit-def: $vgpr53_vgpr54
.LBB89_100:
	ds_read_b64 v[53:54], v56
.LBB89_101:
	s_and_saveexec_b64 s[12:13], s[6:7]
	s_cbranch_execz .LBB89_105
; %bb.102:
	v_add_u32_e32 v58, -15, v0
	s_movk_i32 s29, 0x148
	s_mov_b64 s[6:7], 0
.LBB89_103:                             ; =>This Inner Loop Header: Depth=1
	v_mov_b32_e32 v61, s28
	buffer_load_dword v59, v61, s[0:3], 0 offen
	buffer_load_dword v60, v61, s[0:3], 0 offen offset:4
	v_mov_b32_e32 v61, s29
	ds_read_b64 v[61:62], v61
	v_add_u32_e32 v58, -1, v58
	s_add_i32 s29, s29, 8
	s_add_i32 s28, s28, 8
	v_cmp_eq_u32_e32 vcc, 0, v58
	s_or_b64 s[6:7], vcc, s[6:7]
	s_waitcnt vmcnt(0) lgkmcnt(0)
	v_fma_f64 v[53:54], v[59:60], v[61:62], v[53:54]
	s_andn2_b64 exec, exec, s[6:7]
	s_cbranch_execnz .LBB89_103
; %bb.104:
	s_or_b64 exec, exec, s[6:7]
.LBB89_105:
	s_or_b64 exec, exec, s[12:13]
	v_mov_b32_e32 v58, 0
	ds_read_b64 v[58:59], v58 offset:112
	s_waitcnt lgkmcnt(0)
	v_mul_f64 v[53:54], v[53:54], v[58:59]
	buffer_store_dword v54, off, s[0:3], 0 offset:116
	buffer_store_dword v53, off, s[0:3], 0 offset:112
.LBB89_106:
	s_or_b64 exec, exec, s[8:9]
	buffer_load_dword v53, off, s[0:3], 0 offset:104
	buffer_load_dword v54, off, s[0:3], 0 offset:108
	v_cmp_lt_u32_e64 s[6:7], 13, v0
	s_waitcnt vmcnt(0)
	ds_write_b64 v56, v[53:54]
	s_waitcnt lgkmcnt(0)
	; wave barrier
	s_and_saveexec_b64 s[8:9], s[6:7]
	s_cbranch_execz .LBB89_116
; %bb.107:
	s_andn2_b64 vcc, exec, s[10:11]
	s_cbranch_vccnz .LBB89_109
; %bb.108:
	buffer_load_dword v53, v57, s[0:3], 0 offen
	buffer_load_dword v54, v57, s[0:3], 0 offen offset:4
	ds_read_b64 v[58:59], v56
	s_waitcnt vmcnt(0) lgkmcnt(0)
	v_mul_f64 v[53:54], v[53:54], v[58:59]
	s_cbranch_execz .LBB89_110
	s_branch .LBB89_111
.LBB89_109:
                                        ; implicit-def: $vgpr53_vgpr54
.LBB89_110:
	ds_read_b64 v[53:54], v56
.LBB89_111:
	s_and_saveexec_b64 s[12:13], s[4:5]
	s_cbranch_execz .LBB89_115
; %bb.112:
	v_add_u32_e32 v58, -14, v0
	s_movk_i32 s28, 0x140
	s_mov_b64 s[4:5], 0
.LBB89_113:                             ; =>This Inner Loop Header: Depth=1
	v_mov_b32_e32 v61, s27
	buffer_load_dword v59, v61, s[0:3], 0 offen
	buffer_load_dword v60, v61, s[0:3], 0 offen offset:4
	v_mov_b32_e32 v61, s28
	ds_read_b64 v[61:62], v61
	v_add_u32_e32 v58, -1, v58
	s_add_i32 s28, s28, 8
	s_add_i32 s27, s27, 8
	v_cmp_eq_u32_e32 vcc, 0, v58
	s_or_b64 s[4:5], vcc, s[4:5]
	s_waitcnt vmcnt(0) lgkmcnt(0)
	v_fma_f64 v[53:54], v[59:60], v[61:62], v[53:54]
	s_andn2_b64 exec, exec, s[4:5]
	s_cbranch_execnz .LBB89_113
; %bb.114:
	s_or_b64 exec, exec, s[4:5]
.LBB89_115:
	s_or_b64 exec, exec, s[12:13]
	v_mov_b32_e32 v58, 0
	ds_read_b64 v[58:59], v58 offset:104
	s_waitcnt lgkmcnt(0)
	v_mul_f64 v[53:54], v[53:54], v[58:59]
	buffer_store_dword v54, off, s[0:3], 0 offset:108
	buffer_store_dword v53, off, s[0:3], 0 offset:104
.LBB89_116:
	;; [unrolled: 58-line block ×14, first 2 shown]
	s_or_b64 exec, exec, s[8:9]
	buffer_load_dword v53, off, s[0:3], 0
	buffer_load_dword v54, off, s[0:3], 0 offset:4
	v_cmp_ne_u32_e32 vcc, 0, v0
	s_waitcnt vmcnt(0)
	ds_write_b64 v56, v[53:54]
	s_waitcnt lgkmcnt(0)
	; wave barrier
	s_and_saveexec_b64 s[4:5], vcc
	s_cbranch_execz .LBB89_246
; %bb.237:
	s_andn2_b64 vcc, exec, s[10:11]
	s_cbranch_vccnz .LBB89_239
; %bb.238:
	buffer_load_dword v53, v57, s[0:3], 0 offen
	buffer_load_dword v54, v57, s[0:3], 0 offen offset:4
	ds_read_b64 v[58:59], v56
	s_waitcnt vmcnt(0) lgkmcnt(0)
	v_mul_f64 v[53:54], v[53:54], v[58:59]
	s_cbranch_execz .LBB89_240
	s_branch .LBB89_241
.LBB89_239:
                                        ; implicit-def: $vgpr53_vgpr54
.LBB89_240:
	ds_read_b64 v[53:54], v56
.LBB89_241:
	s_and_saveexec_b64 s[8:9], s[6:7]
	s_cbranch_execz .LBB89_245
; %bb.242:
	v_add_u32_e32 v58, -1, v0
	s_movk_i32 s12, 0xd8
	s_mov_b64 s[6:7], 0
.LBB89_243:                             ; =>This Inner Loop Header: Depth=1
	v_mov_b32_e32 v61, s14
	buffer_load_dword v59, v61, s[0:3], 0 offen
	buffer_load_dword v60, v61, s[0:3], 0 offen offset:4
	v_mov_b32_e32 v61, s12
	ds_read_b64 v[61:62], v61
	v_add_u32_e32 v58, -1, v58
	s_add_i32 s12, s12, 8
	s_add_i32 s14, s14, 8
	v_cmp_eq_u32_e32 vcc, 0, v58
	s_or_b64 s[6:7], vcc, s[6:7]
	s_waitcnt vmcnt(0) lgkmcnt(0)
	v_fma_f64 v[53:54], v[59:60], v[61:62], v[53:54]
	s_andn2_b64 exec, exec, s[6:7]
	s_cbranch_execnz .LBB89_243
; %bb.244:
	s_or_b64 exec, exec, s[6:7]
.LBB89_245:
	s_or_b64 exec, exec, s[8:9]
	v_mov_b32_e32 v58, 0
	ds_read_b64 v[58:59], v58
	s_waitcnt lgkmcnt(0)
	v_mul_f64 v[53:54], v[53:54], v[58:59]
	buffer_store_dword v54, off, s[0:3], 0 offset:4
	buffer_store_dword v53, off, s[0:3], 0
.LBB89_246:
	s_or_b64 exec, exec, s[4:5]
	s_mov_b64 s[4:5], 0
.LBB89_247:
	s_and_b64 vcc, exec, s[4:5]
	s_cbranch_vccz .LBB89_489
; %bb.248:
	buffer_load_dword v53, off, s[0:3], 0 offset:8
	buffer_load_dword v54, off, s[0:3], 0 offset:12
	v_cmp_eq_u32_e64 s[6:7], 0, v0
	s_waitcnt vmcnt(0)
	ds_write_b64 v56, v[53:54]
	s_waitcnt lgkmcnt(0)
	; wave barrier
	s_and_saveexec_b64 s[4:5], s[6:7]
	s_cbranch_execz .LBB89_254
; %bb.249:
	s_and_b64 vcc, exec, s[10:11]
	s_cbranch_vccz .LBB89_251
; %bb.250:
	buffer_load_dword v53, v57, s[0:3], 0 offen
	buffer_load_dword v54, v57, s[0:3], 0 offen offset:4
	ds_read_b64 v[58:59], v56
	s_waitcnt vmcnt(0) lgkmcnt(0)
	v_mul_f64 v[53:54], v[53:54], v[58:59]
	s_cbranch_execz .LBB89_252
	s_branch .LBB89_253
.LBB89_251:
                                        ; implicit-def: $vgpr53_vgpr54
.LBB89_252:
	ds_read_b64 v[53:54], v56
.LBB89_253:
	v_mov_b32_e32 v58, 0
	ds_read_b64 v[58:59], v58 offset:8
	s_waitcnt lgkmcnt(0)
	v_mul_f64 v[53:54], v[53:54], v[58:59]
	buffer_store_dword v54, off, s[0:3], 0 offset:12
	buffer_store_dword v53, off, s[0:3], 0 offset:8
.LBB89_254:
	s_or_b64 exec, exec, s[4:5]
	buffer_load_dword v53, off, s[0:3], 0 offset:16
	buffer_load_dword v54, off, s[0:3], 0 offset:20
	v_cndmask_b32_e64 v58, 0, 1, s[10:11]
	v_cmp_gt_u32_e32 vcc, 2, v0
	v_cmp_ne_u32_e64 s[4:5], 1, v58
	s_waitcnt vmcnt(0)
	ds_write_b64 v56, v[53:54]
	s_waitcnt lgkmcnt(0)
	; wave barrier
	s_and_saveexec_b64 s[8:9], vcc
	s_cbranch_execz .LBB89_260
; %bb.255:
	s_and_b64 vcc, exec, s[4:5]
	s_cbranch_vccnz .LBB89_257
; %bb.256:
	buffer_load_dword v53, v57, s[0:3], 0 offen
	buffer_load_dword v54, v57, s[0:3], 0 offen offset:4
	ds_read_b64 v[58:59], v56
	s_waitcnt vmcnt(0) lgkmcnt(0)
	v_mul_f64 v[53:54], v[53:54], v[58:59]
	s_cbranch_execz .LBB89_258
	s_branch .LBB89_259
.LBB89_257:
                                        ; implicit-def: $vgpr53_vgpr54
.LBB89_258:
	ds_read_b64 v[53:54], v56
.LBB89_259:
	buffer_load_dword v62, off, s[0:3], 0 offset:8
	buffer_load_dword v63, off, s[0:3], 0 offset:12
	v_mov_b32_e32 v58, 0
	ds_read2_b64 v[58:61], v58 offset0:2 offset1:27
	s_waitcnt vmcnt(0) lgkmcnt(0)
	v_fma_f64 v[60:61], v[62:63], v[60:61], v[53:54]
	v_cndmask_b32_e64 v54, v54, v61, s[6:7]
	v_cndmask_b32_e64 v53, v53, v60, s[6:7]
	v_mul_f64 v[53:54], v[53:54], v[58:59]
	buffer_store_dword v54, off, s[0:3], 0 offset:20
	buffer_store_dword v53, off, s[0:3], 0 offset:16
.LBB89_260:
	s_or_b64 exec, exec, s[8:9]
	buffer_load_dword v53, off, s[0:3], 0 offset:24
	buffer_load_dword v54, off, s[0:3], 0 offset:28
	v_cmp_gt_u32_e32 vcc, 3, v0
	s_waitcnt vmcnt(0)
	ds_write_b64 v56, v[53:54]
	s_waitcnt lgkmcnt(0)
	; wave barrier
	s_and_saveexec_b64 s[8:9], vcc
	s_cbranch_execz .LBB89_268
; %bb.261:
	s_and_b64 vcc, exec, s[4:5]
	s_cbranch_vccnz .LBB89_263
; %bb.262:
	buffer_load_dword v53, v57, s[0:3], 0 offen
	buffer_load_dword v54, v57, s[0:3], 0 offen offset:4
	ds_read_b64 v[58:59], v56
	s_waitcnt vmcnt(0) lgkmcnt(0)
	v_mul_f64 v[53:54], v[53:54], v[58:59]
	s_cbranch_execz .LBB89_264
	s_branch .LBB89_265
.LBB89_263:
                                        ; implicit-def: $vgpr53_vgpr54
.LBB89_264:
	ds_read_b64 v[53:54], v56
.LBB89_265:
	v_cmp_ne_u32_e32 vcc, 2, v0
	s_and_saveexec_b64 s[10:11], vcc
	s_cbranch_execz .LBB89_267
; %bb.266:
	buffer_load_dword v58, v57, s[0:3], 0 offen offset:8
	buffer_load_dword v59, v57, s[0:3], 0 offen offset:12
	buffer_load_dword v60, off, s[0:3], 0 offset:16
	buffer_load_dword v61, off, s[0:3], 0 offset:20
	ds_read_b64 v[62:63], v56 offset:8
	v_mov_b32_e32 v64, 0
	ds_read_b64 v[64:65], v64 offset:224
	s_waitcnt vmcnt(2) lgkmcnt(1)
	v_fma_f64 v[53:54], v[58:59], v[62:63], v[53:54]
	s_waitcnt vmcnt(0) lgkmcnt(0)
	v_fma_f64 v[58:59], v[60:61], v[64:65], v[53:54]
	v_cndmask_b32_e64 v54, v54, v59, s[6:7]
	v_cndmask_b32_e64 v53, v53, v58, s[6:7]
.LBB89_267:
	s_or_b64 exec, exec, s[10:11]
	v_mov_b32_e32 v58, 0
	ds_read_b64 v[58:59], v58 offset:24
	s_waitcnt lgkmcnt(0)
	v_mul_f64 v[53:54], v[53:54], v[58:59]
	buffer_store_dword v54, off, s[0:3], 0 offset:28
	buffer_store_dword v53, off, s[0:3], 0 offset:24
.LBB89_268:
	s_or_b64 exec, exec, s[8:9]
	buffer_load_dword v53, off, s[0:3], 0 offset:32
	buffer_load_dword v54, off, s[0:3], 0 offset:36
	v_cmp_gt_u32_e32 vcc, 4, v0
	s_waitcnt vmcnt(0)
	ds_write_b64 v56, v[53:54]
	s_waitcnt lgkmcnt(0)
	; wave barrier
	s_and_saveexec_b64 s[6:7], vcc
	s_cbranch_execz .LBB89_278
; %bb.269:
	s_and_b64 vcc, exec, s[4:5]
	s_cbranch_vccnz .LBB89_271
; %bb.270:
	buffer_load_dword v53, v57, s[0:3], 0 offen
	buffer_load_dword v54, v57, s[0:3], 0 offen offset:4
	ds_read_b64 v[58:59], v56
	s_waitcnt vmcnt(0) lgkmcnt(0)
	v_mul_f64 v[53:54], v[53:54], v[58:59]
	s_cbranch_execz .LBB89_272
	s_branch .LBB89_273
.LBB89_271:
                                        ; implicit-def: $vgpr53_vgpr54
.LBB89_272:
	ds_read_b64 v[53:54], v56
.LBB89_273:
	v_cmp_ne_u32_e32 vcc, 3, v0
	s_and_saveexec_b64 s[8:9], vcc
	s_cbranch_execz .LBB89_277
; %bb.274:
	s_mov_b32 s10, 0
	v_add_u32_e32 v58, 0xd8, v55
	v_add3_u32 v59, v55, s10, 8
	s_mov_b64 s[10:11], 0
	v_mov_b32_e32 v60, v0
.LBB89_275:                             ; =>This Inner Loop Header: Depth=1
	buffer_load_dword v61, v59, s[0:3], 0 offen
	buffer_load_dword v62, v59, s[0:3], 0 offen offset:4
	ds_read_b64 v[63:64], v58
	v_add_u32_e32 v60, 1, v60
	v_cmp_lt_u32_e32 vcc, 2, v60
	v_add_u32_e32 v58, 8, v58
	s_or_b64 s[10:11], vcc, s[10:11]
	v_add_u32_e32 v59, 8, v59
	s_waitcnt vmcnt(0) lgkmcnt(0)
	v_fma_f64 v[53:54], v[61:62], v[63:64], v[53:54]
	s_andn2_b64 exec, exec, s[10:11]
	s_cbranch_execnz .LBB89_275
; %bb.276:
	s_or_b64 exec, exec, s[10:11]
.LBB89_277:
	s_or_b64 exec, exec, s[8:9]
	v_mov_b32_e32 v58, 0
	ds_read_b64 v[58:59], v58 offset:32
	s_waitcnt lgkmcnt(0)
	v_mul_f64 v[53:54], v[53:54], v[58:59]
	buffer_store_dword v54, off, s[0:3], 0 offset:36
	buffer_store_dword v53, off, s[0:3], 0 offset:32
.LBB89_278:
	s_or_b64 exec, exec, s[6:7]
	buffer_load_dword v53, off, s[0:3], 0 offset:40
	buffer_load_dword v54, off, s[0:3], 0 offset:44
	v_cmp_gt_u32_e32 vcc, 5, v0
	s_waitcnt vmcnt(0)
	ds_write_b64 v56, v[53:54]
	s_waitcnt lgkmcnt(0)
	; wave barrier
	s_and_saveexec_b64 s[6:7], vcc
	s_cbranch_execz .LBB89_288
; %bb.279:
	s_and_b64 vcc, exec, s[4:5]
	s_cbranch_vccnz .LBB89_281
; %bb.280:
	buffer_load_dword v53, v57, s[0:3], 0 offen
	buffer_load_dword v54, v57, s[0:3], 0 offen offset:4
	ds_read_b64 v[58:59], v56
	s_waitcnt vmcnt(0) lgkmcnt(0)
	v_mul_f64 v[53:54], v[53:54], v[58:59]
	s_cbranch_execz .LBB89_282
	s_branch .LBB89_283
.LBB89_281:
                                        ; implicit-def: $vgpr53_vgpr54
.LBB89_282:
	ds_read_b64 v[53:54], v56
.LBB89_283:
	v_cmp_ne_u32_e32 vcc, 4, v0
	s_and_saveexec_b64 s[8:9], vcc
	s_cbranch_execz .LBB89_287
; %bb.284:
	s_mov_b32 s10, 0
	v_add_u32_e32 v58, 0xd8, v55
	v_add3_u32 v59, v55, s10, 8
	s_mov_b64 s[10:11], 0
	v_mov_b32_e32 v60, v0
.LBB89_285:                             ; =>This Inner Loop Header: Depth=1
	buffer_load_dword v61, v59, s[0:3], 0 offen
	buffer_load_dword v62, v59, s[0:3], 0 offen offset:4
	ds_read_b64 v[63:64], v58
	v_add_u32_e32 v60, 1, v60
	v_cmp_lt_u32_e32 vcc, 3, v60
	v_add_u32_e32 v58, 8, v58
	s_or_b64 s[10:11], vcc, s[10:11]
	v_add_u32_e32 v59, 8, v59
	s_waitcnt vmcnt(0) lgkmcnt(0)
	v_fma_f64 v[53:54], v[61:62], v[63:64], v[53:54]
	s_andn2_b64 exec, exec, s[10:11]
	s_cbranch_execnz .LBB89_285
; %bb.286:
	s_or_b64 exec, exec, s[10:11]
.LBB89_287:
	s_or_b64 exec, exec, s[8:9]
	v_mov_b32_e32 v58, 0
	ds_read_b64 v[58:59], v58 offset:40
	s_waitcnt lgkmcnt(0)
	v_mul_f64 v[53:54], v[53:54], v[58:59]
	buffer_store_dword v54, off, s[0:3], 0 offset:44
	buffer_store_dword v53, off, s[0:3], 0 offset:40
.LBB89_288:
	;; [unrolled: 59-line block ×20, first 2 shown]
	s_or_b64 exec, exec, s[6:7]
	buffer_load_dword v53, off, s[0:3], 0 offset:192
	buffer_load_dword v54, off, s[0:3], 0 offset:196
	v_cmp_gt_u32_e64 s[6:7], 24, v0
	s_waitcnt vmcnt(0)
	ds_write_b64 v56, v[53:54]
	s_waitcnt lgkmcnt(0)
	; wave barrier
	s_and_saveexec_b64 s[8:9], s[6:7]
	s_cbranch_execz .LBB89_478
; %bb.469:
	s_and_b64 vcc, exec, s[4:5]
	s_cbranch_vccnz .LBB89_471
; %bb.470:
	buffer_load_dword v53, v57, s[0:3], 0 offen
	buffer_load_dword v54, v57, s[0:3], 0 offen offset:4
	ds_read_b64 v[58:59], v56
	s_waitcnt vmcnt(0) lgkmcnt(0)
	v_mul_f64 v[53:54], v[53:54], v[58:59]
	s_cbranch_execz .LBB89_472
	s_branch .LBB89_473
.LBB89_471:
                                        ; implicit-def: $vgpr53_vgpr54
.LBB89_472:
	ds_read_b64 v[53:54], v56
.LBB89_473:
	v_cmp_ne_u32_e32 vcc, 23, v0
	s_and_saveexec_b64 s[10:11], vcc
	s_cbranch_execz .LBB89_477
; %bb.474:
	s_mov_b32 s12, 0
	v_add_u32_e32 v58, 0xd8, v55
	v_add3_u32 v59, v55, s12, 8
	s_mov_b64 s[12:13], 0
	v_mov_b32_e32 v60, v0
.LBB89_475:                             ; =>This Inner Loop Header: Depth=1
	buffer_load_dword v61, v59, s[0:3], 0 offen
	buffer_load_dword v62, v59, s[0:3], 0 offen offset:4
	ds_read_b64 v[63:64], v58
	v_add_u32_e32 v60, 1, v60
	v_cmp_lt_u32_e32 vcc, 22, v60
	v_add_u32_e32 v58, 8, v58
	s_or_b64 s[12:13], vcc, s[12:13]
	v_add_u32_e32 v59, 8, v59
	s_waitcnt vmcnt(0) lgkmcnt(0)
	v_fma_f64 v[53:54], v[61:62], v[63:64], v[53:54]
	s_andn2_b64 exec, exec, s[12:13]
	s_cbranch_execnz .LBB89_475
; %bb.476:
	s_or_b64 exec, exec, s[12:13]
.LBB89_477:
	s_or_b64 exec, exec, s[10:11]
	v_mov_b32_e32 v58, 0
	ds_read_b64 v[58:59], v58 offset:192
	s_waitcnt lgkmcnt(0)
	v_mul_f64 v[53:54], v[53:54], v[58:59]
	buffer_store_dword v54, off, s[0:3], 0 offset:196
	buffer_store_dword v53, off, s[0:3], 0 offset:192
.LBB89_478:
	s_or_b64 exec, exec, s[8:9]
	buffer_load_dword v53, off, s[0:3], 0 offset:200
	buffer_load_dword v54, off, s[0:3], 0 offset:204
	v_cmp_ne_u32_e32 vcc, 25, v0
	s_waitcnt vmcnt(0)
	ds_write_b64 v56, v[53:54]
	s_waitcnt lgkmcnt(0)
	; wave barrier
	s_and_saveexec_b64 s[8:9], vcc
	s_cbranch_execz .LBB89_488
; %bb.479:
	s_and_b64 vcc, exec, s[4:5]
	s_cbranch_vccnz .LBB89_481
; %bb.480:
	buffer_load_dword v53, v57, s[0:3], 0 offen
	buffer_load_dword v54, v57, s[0:3], 0 offen offset:4
	ds_read_b64 v[57:58], v56
	s_waitcnt vmcnt(0) lgkmcnt(0)
	v_mul_f64 v[53:54], v[53:54], v[57:58]
	s_cbranch_execz .LBB89_482
	s_branch .LBB89_483
.LBB89_481:
                                        ; implicit-def: $vgpr53_vgpr54
.LBB89_482:
	ds_read_b64 v[53:54], v56
.LBB89_483:
	s_and_saveexec_b64 s[4:5], s[6:7]
	s_cbranch_execz .LBB89_487
; %bb.484:
	s_mov_b32 s6, 0
	v_add_u32_e32 v56, 0xd8, v55
	v_add3_u32 v55, v55, s6, 8
	s_mov_b64 s[6:7], 0
.LBB89_485:                             ; =>This Inner Loop Header: Depth=1
	buffer_load_dword v57, v55, s[0:3], 0 offen
	buffer_load_dword v58, v55, s[0:3], 0 offen offset:4
	ds_read_b64 v[59:60], v56
	v_add_u32_e32 v0, 1, v0
	v_cmp_lt_u32_e32 vcc, 23, v0
	v_add_u32_e32 v56, 8, v56
	s_or_b64 s[6:7], vcc, s[6:7]
	v_add_u32_e32 v55, 8, v55
	s_waitcnt vmcnt(0) lgkmcnt(0)
	v_fma_f64 v[53:54], v[57:58], v[59:60], v[53:54]
	s_andn2_b64 exec, exec, s[6:7]
	s_cbranch_execnz .LBB89_485
; %bb.486:
	s_or_b64 exec, exec, s[6:7]
.LBB89_487:
	s_or_b64 exec, exec, s[4:5]
	v_mov_b32_e32 v0, 0
	ds_read_b64 v[55:56], v0 offset:200
	s_waitcnt lgkmcnt(0)
	v_mul_f64 v[53:54], v[53:54], v[55:56]
	buffer_store_dword v54, off, s[0:3], 0 offset:204
	buffer_store_dword v53, off, s[0:3], 0 offset:200
.LBB89_488:
	s_or_b64 exec, exec, s[8:9]
.LBB89_489:
	buffer_load_dword v53, off, s[0:3], 0
	buffer_load_dword v54, off, s[0:3], 0 offset:4
	s_waitcnt vmcnt(0)
	flat_store_dwordx2 v[1:2], v[53:54]
	buffer_load_dword v0, off, s[0:3], 0 offset:8
	s_nop 0
	buffer_load_dword v1, off, s[0:3], 0 offset:12
	s_waitcnt vmcnt(0)
	flat_store_dwordx2 v[3:4], v[0:1]
	buffer_load_dword v0, off, s[0:3], 0 offset:16
	s_nop 0
	;; [unrolled: 5-line block ×25, first 2 shown]
	buffer_load_dword v1, off, s[0:3], 0 offset:204
	s_waitcnt vmcnt(0)
	flat_store_dwordx2 v[51:52], v[0:1]
.LBB89_490:
	s_endpgm
	.section	.rodata,"a",@progbits
	.p2align	6, 0x0
	.amdhsa_kernel _ZN9rocsolver6v33100L18trti2_kernel_smallILi26EdPKPdEEv13rocblas_fill_17rocblas_diagonal_T1_iil
		.amdhsa_group_segment_fixed_size 416
		.amdhsa_private_segment_fixed_size 224
		.amdhsa_kernarg_size 32
		.amdhsa_user_sgpr_count 6
		.amdhsa_user_sgpr_private_segment_buffer 1
		.amdhsa_user_sgpr_dispatch_ptr 0
		.amdhsa_user_sgpr_queue_ptr 0
		.amdhsa_user_sgpr_kernarg_segment_ptr 1
		.amdhsa_user_sgpr_dispatch_id 0
		.amdhsa_user_sgpr_flat_scratch_init 0
		.amdhsa_user_sgpr_private_segment_size 0
		.amdhsa_uses_dynamic_stack 0
		.amdhsa_system_sgpr_private_segment_wavefront_offset 1
		.amdhsa_system_sgpr_workgroup_id_x 1
		.amdhsa_system_sgpr_workgroup_id_y 0
		.amdhsa_system_sgpr_workgroup_id_z 0
		.amdhsa_system_sgpr_workgroup_info 0
		.amdhsa_system_vgpr_workitem_id 0
		.amdhsa_next_free_vgpr 66
		.amdhsa_next_free_sgpr 39
		.amdhsa_reserve_vcc 1
		.amdhsa_reserve_flat_scratch 0
		.amdhsa_float_round_mode_32 0
		.amdhsa_float_round_mode_16_64 0
		.amdhsa_float_denorm_mode_32 3
		.amdhsa_float_denorm_mode_16_64 3
		.amdhsa_dx10_clamp 1
		.amdhsa_ieee_mode 1
		.amdhsa_fp16_overflow 0
		.amdhsa_exception_fp_ieee_invalid_op 0
		.amdhsa_exception_fp_denorm_src 0
		.amdhsa_exception_fp_ieee_div_zero 0
		.amdhsa_exception_fp_ieee_overflow 0
		.amdhsa_exception_fp_ieee_underflow 0
		.amdhsa_exception_fp_ieee_inexact 0
		.amdhsa_exception_int_div_zero 0
	.end_amdhsa_kernel
	.section	.text._ZN9rocsolver6v33100L18trti2_kernel_smallILi26EdPKPdEEv13rocblas_fill_17rocblas_diagonal_T1_iil,"axG",@progbits,_ZN9rocsolver6v33100L18trti2_kernel_smallILi26EdPKPdEEv13rocblas_fill_17rocblas_diagonal_T1_iil,comdat
.Lfunc_end89:
	.size	_ZN9rocsolver6v33100L18trti2_kernel_smallILi26EdPKPdEEv13rocblas_fill_17rocblas_diagonal_T1_iil, .Lfunc_end89-_ZN9rocsolver6v33100L18trti2_kernel_smallILi26EdPKPdEEv13rocblas_fill_17rocblas_diagonal_T1_iil
                                        ; -- End function
	.set _ZN9rocsolver6v33100L18trti2_kernel_smallILi26EdPKPdEEv13rocblas_fill_17rocblas_diagonal_T1_iil.num_vgpr, 66
	.set _ZN9rocsolver6v33100L18trti2_kernel_smallILi26EdPKPdEEv13rocblas_fill_17rocblas_diagonal_T1_iil.num_agpr, 0
	.set _ZN9rocsolver6v33100L18trti2_kernel_smallILi26EdPKPdEEv13rocblas_fill_17rocblas_diagonal_T1_iil.numbered_sgpr, 39
	.set _ZN9rocsolver6v33100L18trti2_kernel_smallILi26EdPKPdEEv13rocblas_fill_17rocblas_diagonal_T1_iil.num_named_barrier, 0
	.set _ZN9rocsolver6v33100L18trti2_kernel_smallILi26EdPKPdEEv13rocblas_fill_17rocblas_diagonal_T1_iil.private_seg_size, 224
	.set _ZN9rocsolver6v33100L18trti2_kernel_smallILi26EdPKPdEEv13rocblas_fill_17rocblas_diagonal_T1_iil.uses_vcc, 1
	.set _ZN9rocsolver6v33100L18trti2_kernel_smallILi26EdPKPdEEv13rocblas_fill_17rocblas_diagonal_T1_iil.uses_flat_scratch, 0
	.set _ZN9rocsolver6v33100L18trti2_kernel_smallILi26EdPKPdEEv13rocblas_fill_17rocblas_diagonal_T1_iil.has_dyn_sized_stack, 0
	.set _ZN9rocsolver6v33100L18trti2_kernel_smallILi26EdPKPdEEv13rocblas_fill_17rocblas_diagonal_T1_iil.has_recursion, 0
	.set _ZN9rocsolver6v33100L18trti2_kernel_smallILi26EdPKPdEEv13rocblas_fill_17rocblas_diagonal_T1_iil.has_indirect_call, 0
	.section	.AMDGPU.csdata,"",@progbits
; Kernel info:
; codeLenInByte = 15140
; TotalNumSgprs: 43
; NumVgprs: 66
; ScratchSize: 224
; MemoryBound: 0
; FloatMode: 240
; IeeeMode: 1
; LDSByteSize: 416 bytes/workgroup (compile time only)
; SGPRBlocks: 5
; VGPRBlocks: 16
; NumSGPRsForWavesPerEU: 43
; NumVGPRsForWavesPerEU: 66
; Occupancy: 3
; WaveLimiterHint : 1
; COMPUTE_PGM_RSRC2:SCRATCH_EN: 1
; COMPUTE_PGM_RSRC2:USER_SGPR: 6
; COMPUTE_PGM_RSRC2:TRAP_HANDLER: 0
; COMPUTE_PGM_RSRC2:TGID_X_EN: 1
; COMPUTE_PGM_RSRC2:TGID_Y_EN: 0
; COMPUTE_PGM_RSRC2:TGID_Z_EN: 0
; COMPUTE_PGM_RSRC2:TIDIG_COMP_CNT: 0
	.section	.text._ZN9rocsolver6v33100L18trti2_kernel_smallILi27EdPKPdEEv13rocblas_fill_17rocblas_diagonal_T1_iil,"axG",@progbits,_ZN9rocsolver6v33100L18trti2_kernel_smallILi27EdPKPdEEv13rocblas_fill_17rocblas_diagonal_T1_iil,comdat
	.globl	_ZN9rocsolver6v33100L18trti2_kernel_smallILi27EdPKPdEEv13rocblas_fill_17rocblas_diagonal_T1_iil ; -- Begin function _ZN9rocsolver6v33100L18trti2_kernel_smallILi27EdPKPdEEv13rocblas_fill_17rocblas_diagonal_T1_iil
	.p2align	8
	.type	_ZN9rocsolver6v33100L18trti2_kernel_smallILi27EdPKPdEEv13rocblas_fill_17rocblas_diagonal_T1_iil,@function
_ZN9rocsolver6v33100L18trti2_kernel_smallILi27EdPKPdEEv13rocblas_fill_17rocblas_diagonal_T1_iil: ; @_ZN9rocsolver6v33100L18trti2_kernel_smallILi27EdPKPdEEv13rocblas_fill_17rocblas_diagonal_T1_iil
; %bb.0:
	s_add_u32 s0, s0, s7
	s_addc_u32 s1, s1, 0
	v_cmp_gt_u32_e32 vcc, 27, v0
	s_and_saveexec_b64 s[8:9], vcc
	s_cbranch_execz .LBB90_510
; %bb.1:
	s_load_dwordx2 s[12:13], s[4:5], 0x10
	s_load_dwordx4 s[8:11], s[4:5], 0x0
	s_ashr_i32 s7, s6, 31
	s_lshl_b64 s[6:7], s[6:7], 3
	v_lshlrev_b32_e32 v57, 3, v0
	s_waitcnt lgkmcnt(0)
	s_ashr_i32 s5, s12, 31
	s_add_u32 s6, s10, s6
	s_addc_u32 s7, s11, s7
	s_load_dwordx2 s[6:7], s[6:7], 0x0
	s_mov_b32 s4, s12
	s_lshl_b64 s[4:5], s[4:5], 3
	s_waitcnt lgkmcnt(0)
	s_add_u32 s4, s6, s4
	s_addc_u32 s5, s7, s5
	v_mov_b32_e32 v2, s5
	v_add_co_u32_e32 v1, vcc, s4, v57
	v_addc_co_u32_e32 v2, vcc, 0, v2, vcc
	flat_load_dwordx2 v[5:6], v[1:2]
	s_mov_b32 s6, s13
	s_ashr_i32 s7, s13, 31
	s_lshl_b64 s[6:7], s[6:7], 3
	v_mov_b32_e32 v4, s7
	v_add_co_u32_e32 v3, vcc, s6, v1
	v_addc_co_u32_e32 v4, vcc, v2, v4, vcc
	s_add_i32 s6, s13, s13
	v_add_u32_e32 v9, s6, v0
	v_ashrrev_i32_e32 v10, 31, v9
	v_mov_b32_e32 v11, s5
	v_add_u32_e32 v12, s13, v9
	v_ashrrev_i32_e32 v13, 31, v12
	v_mov_b32_e32 v14, s5
	v_mov_b32_e32 v15, s5
	;; [unrolled: 1-line block ×23, first 2 shown]
	s_cmpk_lg_i32 s9, 0x84
	s_cselect_b64 s[10:11], -1, 0
	s_cmpk_eq_i32 s9, 0x84
	s_waitcnt vmcnt(0) lgkmcnt(0)
	buffer_store_dword v6, off, s[0:3], 0 offset:4
	buffer_store_dword v5, off, s[0:3], 0
	flat_load_dwordx2 v[7:8], v[3:4]
	v_lshlrev_b64 v[5:6], 3, v[9:10]
	s_waitcnt vmcnt(0) lgkmcnt(0)
	buffer_store_dword v8, off, s[0:3], 0 offset:12
	buffer_store_dword v7, off, s[0:3], 0 offset:8
	v_add_co_u32_e32 v5, vcc, s4, v5
	v_addc_co_u32_e32 v6, vcc, v11, v6, vcc
	flat_load_dwordx2 v[10:11], v[5:6]
	v_lshlrev_b64 v[7:8], 3, v[12:13]
	s_waitcnt vmcnt(0) lgkmcnt(0)
	buffer_store_dword v11, off, s[0:3], 0 offset:20
	buffer_store_dword v10, off, s[0:3], 0 offset:16
	v_add_co_u32_e32 v7, vcc, s4, v7
	v_addc_co_u32_e32 v8, vcc, v14, v8, vcc
	flat_load_dwordx2 v[13:14], v[7:8]
	v_add_u32_e32 v11, s13, v12
	v_ashrrev_i32_e32 v12, 31, v11
	v_lshlrev_b64 v[9:10], 3, v[11:12]
	s_waitcnt vmcnt(0) lgkmcnt(0)
	buffer_store_dword v14, off, s[0:3], 0 offset:28
	buffer_store_dword v13, off, s[0:3], 0 offset:24
	v_add_co_u32_e32 v9, vcc, s4, v9
	v_addc_co_u32_e32 v10, vcc, v15, v10, vcc
	flat_load_dwordx2 v[13:14], v[9:10]
	v_add_u32_e32 v15, s13, v11
	v_ashrrev_i32_e32 v16, 31, v15
	v_lshlrev_b64 v[11:12], 3, v[15:16]
	v_add_u32_e32 v18, s13, v15
	v_add_co_u32_e32 v11, vcc, s4, v11
	v_addc_co_u32_e32 v12, vcc, v17, v12, vcc
	v_ashrrev_i32_e32 v19, 31, v18
	s_waitcnt vmcnt(0) lgkmcnt(0)
	buffer_store_dword v14, off, s[0:3], 0 offset:36
	buffer_store_dword v13, off, s[0:3], 0 offset:32
	flat_load_dwordx2 v[16:17], v[11:12]
	v_lshlrev_b64 v[13:14], 3, v[18:19]
	s_waitcnt vmcnt(0) lgkmcnt(0)
	buffer_store_dword v17, off, s[0:3], 0 offset:44
	buffer_store_dword v16, off, s[0:3], 0 offset:40
	v_add_co_u32_e32 v13, vcc, s4, v13
	v_addc_co_u32_e32 v14, vcc, v20, v14, vcc
	flat_load_dwordx2 v[19:20], v[13:14]
	v_add_u32_e32 v17, s13, v18
	v_ashrrev_i32_e32 v18, 31, v17
	v_lshlrev_b64 v[15:16], 3, v[17:18]
	s_waitcnt vmcnt(0) lgkmcnt(0)
	buffer_store_dword v20, off, s[0:3], 0 offset:52
	buffer_store_dword v19, off, s[0:3], 0 offset:48
	v_add_co_u32_e32 v15, vcc, s4, v15
	v_addc_co_u32_e32 v16, vcc, v21, v16, vcc
	flat_load_dwordx2 v[19:20], v[15:16]
	v_add_u32_e32 v21, s13, v17
	v_ashrrev_i32_e32 v22, 31, v21
	v_lshlrev_b64 v[17:18], 3, v[21:22]
	v_add_u32_e32 v24, s13, v21
	v_add_co_u32_e32 v17, vcc, s4, v17
	v_addc_co_u32_e32 v18, vcc, v23, v18, vcc
	v_ashrrev_i32_e32 v25, 31, v24
	s_waitcnt vmcnt(0) lgkmcnt(0)
	buffer_store_dword v20, off, s[0:3], 0 offset:60
	buffer_store_dword v19, off, s[0:3], 0 offset:56
	;; [unrolled: 27-line block ×7, first 2 shown]
	flat_load_dwordx2 v[52:53], v[47:48]
	v_lshlrev_b64 v[49:50], 3, v[54:55]
	s_waitcnt vmcnt(0) lgkmcnt(0)
	buffer_store_dword v53, off, s[0:3], 0 offset:188
	buffer_store_dword v52, off, s[0:3], 0 offset:184
	v_add_co_u32_e32 v49, vcc, s4, v49
	v_addc_co_u32_e32 v50, vcc, v56, v50, vcc
	flat_load_dwordx2 v[55:56], v[49:50]
	v_add_u32_e32 v53, s13, v54
	v_ashrrev_i32_e32 v54, 31, v53
	v_lshlrev_b64 v[51:52], 3, v[53:54]
	v_add_u32_e32 v53, s13, v53
	v_add_co_u32_e32 v51, vcc, s4, v51
	v_addc_co_u32_e32 v52, vcc, v58, v52, vcc
	v_ashrrev_i32_e32 v54, 31, v53
	v_lshlrev_b64 v[53:54], 3, v[53:54]
	s_waitcnt vmcnt(0) lgkmcnt(0)
	buffer_store_dword v56, off, s[0:3], 0 offset:196
	buffer_store_dword v55, off, s[0:3], 0 offset:192
	flat_load_dwordx2 v[55:56], v[51:52]
	v_add_co_u32_e32 v53, vcc, s4, v53
	v_addc_co_u32_e32 v54, vcc, v58, v54, vcc
	s_waitcnt vmcnt(0) lgkmcnt(0)
	buffer_store_dword v56, off, s[0:3], 0 offset:204
	buffer_store_dword v55, off, s[0:3], 0 offset:200
	flat_load_dwordx2 v[58:59], v[53:54]
	v_mov_b32_e32 v55, 0
	v_mov_b32_e32 v56, 0xbff00000
	s_waitcnt vmcnt(0) lgkmcnt(0)
	buffer_store_dword v59, off, s[0:3], 0 offset:212
	buffer_store_dword v58, off, s[0:3], 0 offset:208
	s_cbranch_scc1 .LBB90_3
; %bb.2:
	v_mov_b32_e32 v55, 0
	v_lshl_add_u32 v66, v0, 3, v55
	buffer_load_dword v55, v66, s[0:3], 0 offen
	buffer_load_dword v56, v66, s[0:3], 0 offen offset:4
	s_waitcnt vmcnt(0)
	v_div_scale_f64 v[58:59], s[4:5], v[55:56], v[55:56], 1.0
	v_rcp_f64_e32 v[60:61], v[58:59]
	v_fma_f64 v[62:63], -v[58:59], v[60:61], 1.0
	v_fma_f64 v[60:61], v[60:61], v[62:63], v[60:61]
	v_div_scale_f64 v[62:63], vcc, 1.0, v[55:56], 1.0
	v_fma_f64 v[64:65], -v[58:59], v[60:61], 1.0
	v_fma_f64 v[60:61], v[60:61], v[64:65], v[60:61]
	v_mul_f64 v[64:65], v[62:63], v[60:61]
	v_fma_f64 v[58:59], -v[58:59], v[64:65], v[62:63]
	v_div_fmas_f64 v[58:59], v[58:59], v[60:61], v[64:65]
	v_div_fixup_f64 v[55:56], v[58:59], v[55:56], 1.0
	buffer_store_dword v55, v66, s[0:3], 0 offen
	buffer_store_dword v56, v66, s[0:3], 0 offen offset:4
	v_xor_b32_e32 v56, 0x80000000, v56
.LBB90_3:
	s_cmpk_eq_i32 s8, 0x79
	v_add_u32_e32 v58, 0xe0, v57
	v_mov_b32_e32 v59, v57
	s_mov_b64 s[4:5], -1
	ds_write_b64 v57, v[55:56]
	s_cbranch_scc1 .LBB90_257
; %bb.4:
	buffer_load_dword v55, off, s[0:3], 0 offset:200
	buffer_load_dword v56, off, s[0:3], 0 offset:204
	s_movk_i32 s12, 0x48
	s_movk_i32 s13, 0x50
	;; [unrolled: 1-line block ×16, first 2 shown]
	v_cmp_eq_u32_e64 s[4:5], 26, v0
	s_waitcnt vmcnt(0)
	ds_write_b64 v58, v[55:56]
	s_waitcnt lgkmcnt(0)
	; wave barrier
	s_and_saveexec_b64 s[6:7], s[4:5]
	s_cbranch_execz .LBB90_10
; %bb.5:
	s_and_b64 vcc, exec, s[10:11]
	s_cbranch_vccz .LBB90_7
; %bb.6:
	buffer_load_dword v55, v59, s[0:3], 0 offen
	buffer_load_dword v56, v59, s[0:3], 0 offen offset:4
	ds_read_b64 v[60:61], v58
	s_waitcnt vmcnt(0) lgkmcnt(0)
	v_mul_f64 v[55:56], v[55:56], v[60:61]
	s_cbranch_execz .LBB90_8
	s_branch .LBB90_9
.LBB90_7:
                                        ; implicit-def: $vgpr55_vgpr56
.LBB90_8:
	ds_read_b64 v[55:56], v58
.LBB90_9:
	v_mov_b32_e32 v60, 0
	ds_read_b64 v[60:61], v60 offset:200
	s_waitcnt lgkmcnt(0)
	v_mul_f64 v[55:56], v[55:56], v[60:61]
	buffer_store_dword v56, off, s[0:3], 0 offset:204
	buffer_store_dword v55, off, s[0:3], 0 offset:200
.LBB90_10:
	s_or_b64 exec, exec, s[6:7]
	buffer_load_dword v55, off, s[0:3], 0 offset:192
	buffer_load_dword v56, off, s[0:3], 0 offset:196
	s_or_b32 s14, 0, 8
	s_mov_b32 s15, 16
	s_mov_b32 s16, 24
	;; [unrolled: 1-line block ×9, first 2 shown]
	v_cmp_lt_u32_e64 s[6:7], 24, v0
	s_waitcnt vmcnt(0)
	ds_write_b64 v58, v[55:56]
	s_waitcnt lgkmcnt(0)
	; wave barrier
	s_and_saveexec_b64 s[8:9], s[6:7]
	s_cbranch_execz .LBB90_16
; %bb.11:
	s_andn2_b64 vcc, exec, s[10:11]
	s_cbranch_vccnz .LBB90_13
; %bb.12:
	buffer_load_dword v55, v59, s[0:3], 0 offen
	buffer_load_dword v56, v59, s[0:3], 0 offen offset:4
	ds_read_b64 v[60:61], v58
	s_waitcnt vmcnt(0) lgkmcnt(0)
	v_mul_f64 v[55:56], v[55:56], v[60:61]
	s_cbranch_execz .LBB90_14
	s_branch .LBB90_15
.LBB90_13:
                                        ; implicit-def: $vgpr55_vgpr56
.LBB90_14:
	ds_read_b64 v[55:56], v58
.LBB90_15:
	buffer_load_dword v64, off, s[0:3], 0 offset:200
	buffer_load_dword v65, off, s[0:3], 0 offset:204
	v_mov_b32_e32 v60, 0
	ds_read2_b64 v[60:63], v60 offset0:24 offset1:53
	s_waitcnt vmcnt(0) lgkmcnt(0)
	v_fma_f64 v[62:63], v[64:65], v[62:63], v[55:56]
	v_cndmask_b32_e64 v56, v56, v63, s[4:5]
	v_cndmask_b32_e64 v55, v55, v62, s[4:5]
	v_mul_f64 v[55:56], v[55:56], v[60:61]
	buffer_store_dword v56, off, s[0:3], 0 offset:196
	buffer_store_dword v55, off, s[0:3], 0 offset:192
.LBB90_16:
	s_or_b64 exec, exec, s[8:9]
	buffer_load_dword v55, off, s[0:3], 0 offset:184
	buffer_load_dword v56, off, s[0:3], 0 offset:188
	v_cmp_lt_u32_e64 s[4:5], 23, v0
	s_waitcnt vmcnt(0)
	ds_write_b64 v58, v[55:56]
	s_waitcnt lgkmcnt(0)
	; wave barrier
	s_and_saveexec_b64 s[8:9], s[4:5]
	s_cbranch_execz .LBB90_26
; %bb.17:
	s_andn2_b64 vcc, exec, s[10:11]
	s_cbranch_vccnz .LBB90_19
; %bb.18:
	buffer_load_dword v55, v59, s[0:3], 0 offen
	buffer_load_dword v56, v59, s[0:3], 0 offen offset:4
	ds_read_b64 v[60:61], v58
	s_waitcnt vmcnt(0) lgkmcnt(0)
	v_mul_f64 v[55:56], v[55:56], v[60:61]
	s_cbranch_execz .LBB90_20
	s_branch .LBB90_21
.LBB90_19:
                                        ; implicit-def: $vgpr55_vgpr56
.LBB90_20:
	ds_read_b64 v[55:56], v58
.LBB90_21:
	s_and_saveexec_b64 s[12:13], s[6:7]
	s_cbranch_execz .LBB90_25
; %bb.22:
	v_subrev_u32_e32 v60, 24, v0
	s_movk_i32 s39, 0x1a0
	s_mov_b64 s[6:7], 0
.LBB90_23:                              ; =>This Inner Loop Header: Depth=1
	v_mov_b32_e32 v63, s38
	buffer_load_dword v61, v63, s[0:3], 0 offen
	buffer_load_dword v62, v63, s[0:3], 0 offen offset:4
	v_mov_b32_e32 v63, s39
	ds_read_b64 v[63:64], v63
	v_add_u32_e32 v60, -1, v60
	s_add_i32 s39, s39, 8
	s_add_i32 s38, s38, 8
	v_cmp_eq_u32_e32 vcc, 0, v60
	s_or_b64 s[6:7], vcc, s[6:7]
	s_waitcnt vmcnt(0) lgkmcnt(0)
	v_fma_f64 v[55:56], v[61:62], v[63:64], v[55:56]
	s_andn2_b64 exec, exec, s[6:7]
	s_cbranch_execnz .LBB90_23
; %bb.24:
	s_or_b64 exec, exec, s[6:7]
.LBB90_25:
	s_or_b64 exec, exec, s[12:13]
	v_mov_b32_e32 v60, 0
	ds_read_b64 v[60:61], v60 offset:184
	s_waitcnt lgkmcnt(0)
	v_mul_f64 v[55:56], v[55:56], v[60:61]
	buffer_store_dword v56, off, s[0:3], 0 offset:188
	buffer_store_dword v55, off, s[0:3], 0 offset:184
.LBB90_26:
	s_or_b64 exec, exec, s[8:9]
	buffer_load_dword v55, off, s[0:3], 0 offset:176
	buffer_load_dword v56, off, s[0:3], 0 offset:180
	v_cmp_lt_u32_e64 s[6:7], 22, v0
	s_waitcnt vmcnt(0)
	ds_write_b64 v58, v[55:56]
	s_waitcnt lgkmcnt(0)
	; wave barrier
	s_and_saveexec_b64 s[8:9], s[6:7]
	s_cbranch_execz .LBB90_36
; %bb.27:
	s_andn2_b64 vcc, exec, s[10:11]
	s_cbranch_vccnz .LBB90_29
; %bb.28:
	buffer_load_dword v55, v59, s[0:3], 0 offen
	buffer_load_dword v56, v59, s[0:3], 0 offen offset:4
	ds_read_b64 v[60:61], v58
	s_waitcnt vmcnt(0) lgkmcnt(0)
	v_mul_f64 v[55:56], v[55:56], v[60:61]
	s_cbranch_execz .LBB90_30
	s_branch .LBB90_31
.LBB90_29:
                                        ; implicit-def: $vgpr55_vgpr56
.LBB90_30:
	ds_read_b64 v[55:56], v58
.LBB90_31:
	s_and_saveexec_b64 s[12:13], s[4:5]
	s_cbranch_execz .LBB90_35
; %bb.32:
	v_subrev_u32_e32 v60, 23, v0
	s_movk_i32 s38, 0x198
	s_mov_b64 s[4:5], 0
.LBB90_33:                              ; =>This Inner Loop Header: Depth=1
	v_mov_b32_e32 v63, s37
	buffer_load_dword v61, v63, s[0:3], 0 offen
	buffer_load_dword v62, v63, s[0:3], 0 offen offset:4
	v_mov_b32_e32 v63, s38
	ds_read_b64 v[63:64], v63
	v_add_u32_e32 v60, -1, v60
	s_add_i32 s38, s38, 8
	s_add_i32 s37, s37, 8
	v_cmp_eq_u32_e32 vcc, 0, v60
	s_or_b64 s[4:5], vcc, s[4:5]
	s_waitcnt vmcnt(0) lgkmcnt(0)
	v_fma_f64 v[55:56], v[61:62], v[63:64], v[55:56]
	s_andn2_b64 exec, exec, s[4:5]
	s_cbranch_execnz .LBB90_33
; %bb.34:
	s_or_b64 exec, exec, s[4:5]
.LBB90_35:
	s_or_b64 exec, exec, s[12:13]
	v_mov_b32_e32 v60, 0
	ds_read_b64 v[60:61], v60 offset:176
	s_waitcnt lgkmcnt(0)
	v_mul_f64 v[55:56], v[55:56], v[60:61]
	buffer_store_dword v56, off, s[0:3], 0 offset:180
	buffer_store_dword v55, off, s[0:3], 0 offset:176
.LBB90_36:
	s_or_b64 exec, exec, s[8:9]
	buffer_load_dword v55, off, s[0:3], 0 offset:168
	buffer_load_dword v56, off, s[0:3], 0 offset:172
	v_cmp_lt_u32_e64 s[4:5], 21, v0
	s_waitcnt vmcnt(0)
	ds_write_b64 v58, v[55:56]
	s_waitcnt lgkmcnt(0)
	; wave barrier
	s_and_saveexec_b64 s[8:9], s[4:5]
	s_cbranch_execz .LBB90_46
; %bb.37:
	s_andn2_b64 vcc, exec, s[10:11]
	s_cbranch_vccnz .LBB90_39
; %bb.38:
	buffer_load_dword v55, v59, s[0:3], 0 offen
	buffer_load_dword v56, v59, s[0:3], 0 offen offset:4
	ds_read_b64 v[60:61], v58
	s_waitcnt vmcnt(0) lgkmcnt(0)
	v_mul_f64 v[55:56], v[55:56], v[60:61]
	s_cbranch_execz .LBB90_40
	s_branch .LBB90_41
.LBB90_39:
                                        ; implicit-def: $vgpr55_vgpr56
.LBB90_40:
	ds_read_b64 v[55:56], v58
.LBB90_41:
	s_and_saveexec_b64 s[12:13], s[6:7]
	s_cbranch_execz .LBB90_45
; %bb.42:
	v_subrev_u32_e32 v60, 22, v0
	s_movk_i32 s37, 0x190
	s_mov_b64 s[6:7], 0
.LBB90_43:                              ; =>This Inner Loop Header: Depth=1
	v_mov_b32_e32 v63, s36
	buffer_load_dword v61, v63, s[0:3], 0 offen
	buffer_load_dword v62, v63, s[0:3], 0 offen offset:4
	v_mov_b32_e32 v63, s37
	ds_read_b64 v[63:64], v63
	v_add_u32_e32 v60, -1, v60
	s_add_i32 s37, s37, 8
	s_add_i32 s36, s36, 8
	v_cmp_eq_u32_e32 vcc, 0, v60
	s_or_b64 s[6:7], vcc, s[6:7]
	s_waitcnt vmcnt(0) lgkmcnt(0)
	v_fma_f64 v[55:56], v[61:62], v[63:64], v[55:56]
	s_andn2_b64 exec, exec, s[6:7]
	s_cbranch_execnz .LBB90_43
; %bb.44:
	s_or_b64 exec, exec, s[6:7]
.LBB90_45:
	s_or_b64 exec, exec, s[12:13]
	v_mov_b32_e32 v60, 0
	ds_read_b64 v[60:61], v60 offset:168
	s_waitcnt lgkmcnt(0)
	v_mul_f64 v[55:56], v[55:56], v[60:61]
	buffer_store_dword v56, off, s[0:3], 0 offset:172
	buffer_store_dword v55, off, s[0:3], 0 offset:168
.LBB90_46:
	s_or_b64 exec, exec, s[8:9]
	buffer_load_dword v55, off, s[0:3], 0 offset:160
	buffer_load_dword v56, off, s[0:3], 0 offset:164
	v_cmp_lt_u32_e64 s[6:7], 20, v0
	s_waitcnt vmcnt(0)
	ds_write_b64 v58, v[55:56]
	s_waitcnt lgkmcnt(0)
	; wave barrier
	s_and_saveexec_b64 s[8:9], s[6:7]
	s_cbranch_execz .LBB90_56
; %bb.47:
	s_andn2_b64 vcc, exec, s[10:11]
	s_cbranch_vccnz .LBB90_49
; %bb.48:
	buffer_load_dword v55, v59, s[0:3], 0 offen
	buffer_load_dword v56, v59, s[0:3], 0 offen offset:4
	ds_read_b64 v[60:61], v58
	s_waitcnt vmcnt(0) lgkmcnt(0)
	v_mul_f64 v[55:56], v[55:56], v[60:61]
	s_cbranch_execz .LBB90_50
	s_branch .LBB90_51
.LBB90_49:
                                        ; implicit-def: $vgpr55_vgpr56
.LBB90_50:
	ds_read_b64 v[55:56], v58
.LBB90_51:
	s_and_saveexec_b64 s[12:13], s[4:5]
	s_cbranch_execz .LBB90_55
; %bb.52:
	v_subrev_u32_e32 v60, 21, v0
	s_movk_i32 s36, 0x188
	s_mov_b64 s[4:5], 0
.LBB90_53:                              ; =>This Inner Loop Header: Depth=1
	v_mov_b32_e32 v63, s35
	buffer_load_dword v61, v63, s[0:3], 0 offen
	buffer_load_dword v62, v63, s[0:3], 0 offen offset:4
	v_mov_b32_e32 v63, s36
	ds_read_b64 v[63:64], v63
	v_add_u32_e32 v60, -1, v60
	s_add_i32 s36, s36, 8
	s_add_i32 s35, s35, 8
	v_cmp_eq_u32_e32 vcc, 0, v60
	s_or_b64 s[4:5], vcc, s[4:5]
	s_waitcnt vmcnt(0) lgkmcnt(0)
	v_fma_f64 v[55:56], v[61:62], v[63:64], v[55:56]
	s_andn2_b64 exec, exec, s[4:5]
	s_cbranch_execnz .LBB90_53
; %bb.54:
	s_or_b64 exec, exec, s[4:5]
.LBB90_55:
	s_or_b64 exec, exec, s[12:13]
	v_mov_b32_e32 v60, 0
	ds_read_b64 v[60:61], v60 offset:160
	s_waitcnt lgkmcnt(0)
	v_mul_f64 v[55:56], v[55:56], v[60:61]
	buffer_store_dword v56, off, s[0:3], 0 offset:164
	buffer_store_dword v55, off, s[0:3], 0 offset:160
.LBB90_56:
	s_or_b64 exec, exec, s[8:9]
	buffer_load_dword v55, off, s[0:3], 0 offset:152
	buffer_load_dword v56, off, s[0:3], 0 offset:156
	v_cmp_lt_u32_e64 s[4:5], 19, v0
	s_waitcnt vmcnt(0)
	ds_write_b64 v58, v[55:56]
	s_waitcnt lgkmcnt(0)
	; wave barrier
	s_and_saveexec_b64 s[8:9], s[4:5]
	s_cbranch_execz .LBB90_66
; %bb.57:
	s_andn2_b64 vcc, exec, s[10:11]
	s_cbranch_vccnz .LBB90_59
; %bb.58:
	buffer_load_dword v55, v59, s[0:3], 0 offen
	buffer_load_dword v56, v59, s[0:3], 0 offen offset:4
	ds_read_b64 v[60:61], v58
	s_waitcnt vmcnt(0) lgkmcnt(0)
	v_mul_f64 v[55:56], v[55:56], v[60:61]
	s_cbranch_execz .LBB90_60
	s_branch .LBB90_61
.LBB90_59:
                                        ; implicit-def: $vgpr55_vgpr56
.LBB90_60:
	ds_read_b64 v[55:56], v58
.LBB90_61:
	s_and_saveexec_b64 s[12:13], s[6:7]
	s_cbranch_execz .LBB90_65
; %bb.62:
	v_subrev_u32_e32 v60, 20, v0
	s_movk_i32 s35, 0x180
	s_mov_b64 s[6:7], 0
.LBB90_63:                              ; =>This Inner Loop Header: Depth=1
	v_mov_b32_e32 v63, s34
	buffer_load_dword v61, v63, s[0:3], 0 offen
	buffer_load_dword v62, v63, s[0:3], 0 offen offset:4
	v_mov_b32_e32 v63, s35
	ds_read_b64 v[63:64], v63
	v_add_u32_e32 v60, -1, v60
	s_add_i32 s35, s35, 8
	s_add_i32 s34, s34, 8
	v_cmp_eq_u32_e32 vcc, 0, v60
	s_or_b64 s[6:7], vcc, s[6:7]
	s_waitcnt vmcnt(0) lgkmcnt(0)
	v_fma_f64 v[55:56], v[61:62], v[63:64], v[55:56]
	s_andn2_b64 exec, exec, s[6:7]
	s_cbranch_execnz .LBB90_63
; %bb.64:
	s_or_b64 exec, exec, s[6:7]
.LBB90_65:
	s_or_b64 exec, exec, s[12:13]
	v_mov_b32_e32 v60, 0
	ds_read_b64 v[60:61], v60 offset:152
	s_waitcnt lgkmcnt(0)
	v_mul_f64 v[55:56], v[55:56], v[60:61]
	buffer_store_dword v56, off, s[0:3], 0 offset:156
	buffer_store_dword v55, off, s[0:3], 0 offset:152
.LBB90_66:
	s_or_b64 exec, exec, s[8:9]
	buffer_load_dword v55, off, s[0:3], 0 offset:144
	buffer_load_dword v56, off, s[0:3], 0 offset:148
	v_cmp_lt_u32_e64 s[6:7], 18, v0
	s_waitcnt vmcnt(0)
	ds_write_b64 v58, v[55:56]
	s_waitcnt lgkmcnt(0)
	; wave barrier
	s_and_saveexec_b64 s[8:9], s[6:7]
	s_cbranch_execz .LBB90_76
; %bb.67:
	s_andn2_b64 vcc, exec, s[10:11]
	s_cbranch_vccnz .LBB90_69
; %bb.68:
	buffer_load_dword v55, v59, s[0:3], 0 offen
	buffer_load_dword v56, v59, s[0:3], 0 offen offset:4
	ds_read_b64 v[60:61], v58
	s_waitcnt vmcnt(0) lgkmcnt(0)
	v_mul_f64 v[55:56], v[55:56], v[60:61]
	s_cbranch_execz .LBB90_70
	s_branch .LBB90_71
.LBB90_69:
                                        ; implicit-def: $vgpr55_vgpr56
.LBB90_70:
	ds_read_b64 v[55:56], v58
.LBB90_71:
	s_and_saveexec_b64 s[12:13], s[4:5]
	s_cbranch_execz .LBB90_75
; %bb.72:
	v_subrev_u32_e32 v60, 19, v0
	s_movk_i32 s34, 0x178
	s_mov_b64 s[4:5], 0
.LBB90_73:                              ; =>This Inner Loop Header: Depth=1
	v_mov_b32_e32 v63, s33
	buffer_load_dword v61, v63, s[0:3], 0 offen
	buffer_load_dword v62, v63, s[0:3], 0 offen offset:4
	v_mov_b32_e32 v63, s34
	ds_read_b64 v[63:64], v63
	v_add_u32_e32 v60, -1, v60
	s_add_i32 s34, s34, 8
	s_add_i32 s33, s33, 8
	v_cmp_eq_u32_e32 vcc, 0, v60
	s_or_b64 s[4:5], vcc, s[4:5]
	s_waitcnt vmcnt(0) lgkmcnt(0)
	v_fma_f64 v[55:56], v[61:62], v[63:64], v[55:56]
	s_andn2_b64 exec, exec, s[4:5]
	s_cbranch_execnz .LBB90_73
; %bb.74:
	s_or_b64 exec, exec, s[4:5]
.LBB90_75:
	s_or_b64 exec, exec, s[12:13]
	v_mov_b32_e32 v60, 0
	ds_read_b64 v[60:61], v60 offset:144
	s_waitcnt lgkmcnt(0)
	v_mul_f64 v[55:56], v[55:56], v[60:61]
	buffer_store_dword v56, off, s[0:3], 0 offset:148
	buffer_store_dword v55, off, s[0:3], 0 offset:144
.LBB90_76:
	s_or_b64 exec, exec, s[8:9]
	buffer_load_dword v55, off, s[0:3], 0 offset:136
	buffer_load_dword v56, off, s[0:3], 0 offset:140
	v_cmp_lt_u32_e64 s[4:5], 17, v0
	s_waitcnt vmcnt(0)
	ds_write_b64 v58, v[55:56]
	s_waitcnt lgkmcnt(0)
	; wave barrier
	s_and_saveexec_b64 s[8:9], s[4:5]
	s_cbranch_execz .LBB90_86
; %bb.77:
	s_andn2_b64 vcc, exec, s[10:11]
	s_cbranch_vccnz .LBB90_79
; %bb.78:
	buffer_load_dword v55, v59, s[0:3], 0 offen
	buffer_load_dword v56, v59, s[0:3], 0 offen offset:4
	ds_read_b64 v[60:61], v58
	s_waitcnt vmcnt(0) lgkmcnt(0)
	v_mul_f64 v[55:56], v[55:56], v[60:61]
	s_cbranch_execz .LBB90_80
	s_branch .LBB90_81
.LBB90_79:
                                        ; implicit-def: $vgpr55_vgpr56
.LBB90_80:
	ds_read_b64 v[55:56], v58
.LBB90_81:
	s_and_saveexec_b64 s[12:13], s[6:7]
	s_cbranch_execz .LBB90_85
; %bb.82:
	v_subrev_u32_e32 v60, 18, v0
	s_movk_i32 s33, 0x170
	s_mov_b64 s[6:7], 0
.LBB90_83:                              ; =>This Inner Loop Header: Depth=1
	v_mov_b32_e32 v63, s31
	buffer_load_dword v61, v63, s[0:3], 0 offen
	buffer_load_dword v62, v63, s[0:3], 0 offen offset:4
	v_mov_b32_e32 v63, s33
	ds_read_b64 v[63:64], v63
	v_add_u32_e32 v60, -1, v60
	s_add_i32 s33, s33, 8
	s_add_i32 s31, s31, 8
	v_cmp_eq_u32_e32 vcc, 0, v60
	s_or_b64 s[6:7], vcc, s[6:7]
	s_waitcnt vmcnt(0) lgkmcnt(0)
	v_fma_f64 v[55:56], v[61:62], v[63:64], v[55:56]
	s_andn2_b64 exec, exec, s[6:7]
	s_cbranch_execnz .LBB90_83
; %bb.84:
	s_or_b64 exec, exec, s[6:7]
.LBB90_85:
	s_or_b64 exec, exec, s[12:13]
	v_mov_b32_e32 v60, 0
	ds_read_b64 v[60:61], v60 offset:136
	s_waitcnt lgkmcnt(0)
	v_mul_f64 v[55:56], v[55:56], v[60:61]
	buffer_store_dword v56, off, s[0:3], 0 offset:140
	buffer_store_dword v55, off, s[0:3], 0 offset:136
.LBB90_86:
	s_or_b64 exec, exec, s[8:9]
	buffer_load_dword v55, off, s[0:3], 0 offset:128
	buffer_load_dword v56, off, s[0:3], 0 offset:132
	v_cmp_lt_u32_e64 s[6:7], 16, v0
	s_waitcnt vmcnt(0)
	ds_write_b64 v58, v[55:56]
	s_waitcnt lgkmcnt(0)
	; wave barrier
	s_and_saveexec_b64 s[8:9], s[6:7]
	s_cbranch_execz .LBB90_96
; %bb.87:
	s_andn2_b64 vcc, exec, s[10:11]
	s_cbranch_vccnz .LBB90_89
; %bb.88:
	buffer_load_dword v55, v59, s[0:3], 0 offen
	buffer_load_dword v56, v59, s[0:3], 0 offen offset:4
	ds_read_b64 v[60:61], v58
	s_waitcnt vmcnt(0) lgkmcnt(0)
	v_mul_f64 v[55:56], v[55:56], v[60:61]
	s_cbranch_execz .LBB90_90
	s_branch .LBB90_91
.LBB90_89:
                                        ; implicit-def: $vgpr55_vgpr56
.LBB90_90:
	ds_read_b64 v[55:56], v58
.LBB90_91:
	s_and_saveexec_b64 s[12:13], s[4:5]
	s_cbranch_execz .LBB90_95
; %bb.92:
	v_subrev_u32_e32 v60, 17, v0
	s_movk_i32 s31, 0x168
	s_mov_b64 s[4:5], 0
.LBB90_93:                              ; =>This Inner Loop Header: Depth=1
	v_mov_b32_e32 v63, s30
	buffer_load_dword v61, v63, s[0:3], 0 offen
	buffer_load_dword v62, v63, s[0:3], 0 offen offset:4
	v_mov_b32_e32 v63, s31
	ds_read_b64 v[63:64], v63
	v_add_u32_e32 v60, -1, v60
	s_add_i32 s31, s31, 8
	s_add_i32 s30, s30, 8
	v_cmp_eq_u32_e32 vcc, 0, v60
	s_or_b64 s[4:5], vcc, s[4:5]
	s_waitcnt vmcnt(0) lgkmcnt(0)
	v_fma_f64 v[55:56], v[61:62], v[63:64], v[55:56]
	s_andn2_b64 exec, exec, s[4:5]
	s_cbranch_execnz .LBB90_93
; %bb.94:
	s_or_b64 exec, exec, s[4:5]
.LBB90_95:
	s_or_b64 exec, exec, s[12:13]
	v_mov_b32_e32 v60, 0
	ds_read_b64 v[60:61], v60 offset:128
	s_waitcnt lgkmcnt(0)
	v_mul_f64 v[55:56], v[55:56], v[60:61]
	buffer_store_dword v56, off, s[0:3], 0 offset:132
	buffer_store_dword v55, off, s[0:3], 0 offset:128
.LBB90_96:
	s_or_b64 exec, exec, s[8:9]
	buffer_load_dword v55, off, s[0:3], 0 offset:120
	buffer_load_dword v56, off, s[0:3], 0 offset:124
	v_cmp_lt_u32_e64 s[4:5], 15, v0
	s_waitcnt vmcnt(0)
	ds_write_b64 v58, v[55:56]
	s_waitcnt lgkmcnt(0)
	; wave barrier
	s_and_saveexec_b64 s[8:9], s[4:5]
	s_cbranch_execz .LBB90_106
; %bb.97:
	s_andn2_b64 vcc, exec, s[10:11]
	s_cbranch_vccnz .LBB90_99
; %bb.98:
	buffer_load_dword v55, v59, s[0:3], 0 offen
	buffer_load_dword v56, v59, s[0:3], 0 offen offset:4
	ds_read_b64 v[60:61], v58
	s_waitcnt vmcnt(0) lgkmcnt(0)
	v_mul_f64 v[55:56], v[55:56], v[60:61]
	s_cbranch_execz .LBB90_100
	s_branch .LBB90_101
.LBB90_99:
                                        ; implicit-def: $vgpr55_vgpr56
.LBB90_100:
	ds_read_b64 v[55:56], v58
.LBB90_101:
	s_and_saveexec_b64 s[12:13], s[6:7]
	s_cbranch_execz .LBB90_105
; %bb.102:
	v_add_u32_e32 v60, -16, v0
	s_movk_i32 s30, 0x160
	s_mov_b64 s[6:7], 0
.LBB90_103:                             ; =>This Inner Loop Header: Depth=1
	v_mov_b32_e32 v63, s29
	buffer_load_dword v61, v63, s[0:3], 0 offen
	buffer_load_dword v62, v63, s[0:3], 0 offen offset:4
	v_mov_b32_e32 v63, s30
	ds_read_b64 v[63:64], v63
	v_add_u32_e32 v60, -1, v60
	s_add_i32 s30, s30, 8
	s_add_i32 s29, s29, 8
	v_cmp_eq_u32_e32 vcc, 0, v60
	s_or_b64 s[6:7], vcc, s[6:7]
	s_waitcnt vmcnt(0) lgkmcnt(0)
	v_fma_f64 v[55:56], v[61:62], v[63:64], v[55:56]
	s_andn2_b64 exec, exec, s[6:7]
	s_cbranch_execnz .LBB90_103
; %bb.104:
	s_or_b64 exec, exec, s[6:7]
.LBB90_105:
	s_or_b64 exec, exec, s[12:13]
	v_mov_b32_e32 v60, 0
	ds_read_b64 v[60:61], v60 offset:120
	s_waitcnt lgkmcnt(0)
	v_mul_f64 v[55:56], v[55:56], v[60:61]
	buffer_store_dword v56, off, s[0:3], 0 offset:124
	buffer_store_dword v55, off, s[0:3], 0 offset:120
.LBB90_106:
	s_or_b64 exec, exec, s[8:9]
	buffer_load_dword v55, off, s[0:3], 0 offset:112
	buffer_load_dword v56, off, s[0:3], 0 offset:116
	v_cmp_lt_u32_e64 s[6:7], 14, v0
	s_waitcnt vmcnt(0)
	ds_write_b64 v58, v[55:56]
	s_waitcnt lgkmcnt(0)
	; wave barrier
	s_and_saveexec_b64 s[8:9], s[6:7]
	s_cbranch_execz .LBB90_116
; %bb.107:
	s_andn2_b64 vcc, exec, s[10:11]
	s_cbranch_vccnz .LBB90_109
; %bb.108:
	buffer_load_dword v55, v59, s[0:3], 0 offen
	buffer_load_dword v56, v59, s[0:3], 0 offen offset:4
	ds_read_b64 v[60:61], v58
	s_waitcnt vmcnt(0) lgkmcnt(0)
	v_mul_f64 v[55:56], v[55:56], v[60:61]
	s_cbranch_execz .LBB90_110
	s_branch .LBB90_111
.LBB90_109:
                                        ; implicit-def: $vgpr55_vgpr56
.LBB90_110:
	ds_read_b64 v[55:56], v58
.LBB90_111:
	s_and_saveexec_b64 s[12:13], s[4:5]
	s_cbranch_execz .LBB90_115
; %bb.112:
	v_add_u32_e32 v60, -15, v0
	s_movk_i32 s29, 0x158
	s_mov_b64 s[4:5], 0
.LBB90_113:                             ; =>This Inner Loop Header: Depth=1
	v_mov_b32_e32 v63, s28
	buffer_load_dword v61, v63, s[0:3], 0 offen
	buffer_load_dword v62, v63, s[0:3], 0 offen offset:4
	v_mov_b32_e32 v63, s29
	ds_read_b64 v[63:64], v63
	v_add_u32_e32 v60, -1, v60
	s_add_i32 s29, s29, 8
	s_add_i32 s28, s28, 8
	v_cmp_eq_u32_e32 vcc, 0, v60
	s_or_b64 s[4:5], vcc, s[4:5]
	s_waitcnt vmcnt(0) lgkmcnt(0)
	v_fma_f64 v[55:56], v[61:62], v[63:64], v[55:56]
	s_andn2_b64 exec, exec, s[4:5]
	s_cbranch_execnz .LBB90_113
; %bb.114:
	s_or_b64 exec, exec, s[4:5]
.LBB90_115:
	s_or_b64 exec, exec, s[12:13]
	v_mov_b32_e32 v60, 0
	ds_read_b64 v[60:61], v60 offset:112
	s_waitcnt lgkmcnt(0)
	v_mul_f64 v[55:56], v[55:56], v[60:61]
	buffer_store_dword v56, off, s[0:3], 0 offset:116
	buffer_store_dword v55, off, s[0:3], 0 offset:112
.LBB90_116:
	s_or_b64 exec, exec, s[8:9]
	buffer_load_dword v55, off, s[0:3], 0 offset:104
	buffer_load_dword v56, off, s[0:3], 0 offset:108
	v_cmp_lt_u32_e64 s[4:5], 13, v0
	s_waitcnt vmcnt(0)
	ds_write_b64 v58, v[55:56]
	s_waitcnt lgkmcnt(0)
	; wave barrier
	s_and_saveexec_b64 s[8:9], s[4:5]
	s_cbranch_execz .LBB90_126
; %bb.117:
	s_andn2_b64 vcc, exec, s[10:11]
	s_cbranch_vccnz .LBB90_119
; %bb.118:
	buffer_load_dword v55, v59, s[0:3], 0 offen
	buffer_load_dword v56, v59, s[0:3], 0 offen offset:4
	ds_read_b64 v[60:61], v58
	s_waitcnt vmcnt(0) lgkmcnt(0)
	v_mul_f64 v[55:56], v[55:56], v[60:61]
	s_cbranch_execz .LBB90_120
	s_branch .LBB90_121
.LBB90_119:
                                        ; implicit-def: $vgpr55_vgpr56
.LBB90_120:
	ds_read_b64 v[55:56], v58
.LBB90_121:
	s_and_saveexec_b64 s[12:13], s[6:7]
	s_cbranch_execz .LBB90_125
; %bb.122:
	v_add_u32_e32 v60, -14, v0
	s_movk_i32 s28, 0x150
	s_mov_b64 s[6:7], 0
.LBB90_123:                             ; =>This Inner Loop Header: Depth=1
	v_mov_b32_e32 v63, s27
	buffer_load_dword v61, v63, s[0:3], 0 offen
	buffer_load_dword v62, v63, s[0:3], 0 offen offset:4
	v_mov_b32_e32 v63, s28
	ds_read_b64 v[63:64], v63
	v_add_u32_e32 v60, -1, v60
	s_add_i32 s28, s28, 8
	s_add_i32 s27, s27, 8
	v_cmp_eq_u32_e32 vcc, 0, v60
	s_or_b64 s[6:7], vcc, s[6:7]
	s_waitcnt vmcnt(0) lgkmcnt(0)
	v_fma_f64 v[55:56], v[61:62], v[63:64], v[55:56]
	s_andn2_b64 exec, exec, s[6:7]
	s_cbranch_execnz .LBB90_123
; %bb.124:
	s_or_b64 exec, exec, s[6:7]
.LBB90_125:
	s_or_b64 exec, exec, s[12:13]
	v_mov_b32_e32 v60, 0
	ds_read_b64 v[60:61], v60 offset:104
	s_waitcnt lgkmcnt(0)
	v_mul_f64 v[55:56], v[55:56], v[60:61]
	buffer_store_dword v56, off, s[0:3], 0 offset:108
	buffer_store_dword v55, off, s[0:3], 0 offset:104
.LBB90_126:
	s_or_b64 exec, exec, s[8:9]
	buffer_load_dword v55, off, s[0:3], 0 offset:96
	buffer_load_dword v56, off, s[0:3], 0 offset:100
	v_cmp_lt_u32_e64 s[6:7], 12, v0
	s_waitcnt vmcnt(0)
	ds_write_b64 v58, v[55:56]
	s_waitcnt lgkmcnt(0)
	; wave barrier
	s_and_saveexec_b64 s[8:9], s[6:7]
	s_cbranch_execz .LBB90_136
; %bb.127:
	s_andn2_b64 vcc, exec, s[10:11]
	s_cbranch_vccnz .LBB90_129
; %bb.128:
	buffer_load_dword v55, v59, s[0:3], 0 offen
	buffer_load_dword v56, v59, s[0:3], 0 offen offset:4
	ds_read_b64 v[60:61], v58
	s_waitcnt vmcnt(0) lgkmcnt(0)
	v_mul_f64 v[55:56], v[55:56], v[60:61]
	s_cbranch_execz .LBB90_130
	s_branch .LBB90_131
.LBB90_129:
                                        ; implicit-def: $vgpr55_vgpr56
.LBB90_130:
	ds_read_b64 v[55:56], v58
.LBB90_131:
	s_and_saveexec_b64 s[12:13], s[4:5]
	s_cbranch_execz .LBB90_135
; %bb.132:
	v_add_u32_e32 v60, -13, v0
	s_movk_i32 s27, 0x148
	s_mov_b64 s[4:5], 0
.LBB90_133:                             ; =>This Inner Loop Header: Depth=1
	v_mov_b32_e32 v63, s26
	buffer_load_dword v61, v63, s[0:3], 0 offen
	buffer_load_dword v62, v63, s[0:3], 0 offen offset:4
	v_mov_b32_e32 v63, s27
	ds_read_b64 v[63:64], v63
	v_add_u32_e32 v60, -1, v60
	s_add_i32 s27, s27, 8
	s_add_i32 s26, s26, 8
	v_cmp_eq_u32_e32 vcc, 0, v60
	s_or_b64 s[4:5], vcc, s[4:5]
	s_waitcnt vmcnt(0) lgkmcnt(0)
	v_fma_f64 v[55:56], v[61:62], v[63:64], v[55:56]
	s_andn2_b64 exec, exec, s[4:5]
	s_cbranch_execnz .LBB90_133
; %bb.134:
	s_or_b64 exec, exec, s[4:5]
.LBB90_135:
	s_or_b64 exec, exec, s[12:13]
	v_mov_b32_e32 v60, 0
	ds_read_b64 v[60:61], v60 offset:96
	s_waitcnt lgkmcnt(0)
	v_mul_f64 v[55:56], v[55:56], v[60:61]
	buffer_store_dword v56, off, s[0:3], 0 offset:100
	buffer_store_dword v55, off, s[0:3], 0 offset:96
.LBB90_136:
	s_or_b64 exec, exec, s[8:9]
	buffer_load_dword v55, off, s[0:3], 0 offset:88
	buffer_load_dword v56, off, s[0:3], 0 offset:92
	v_cmp_lt_u32_e64 s[4:5], 11, v0
	s_waitcnt vmcnt(0)
	ds_write_b64 v58, v[55:56]
	s_waitcnt lgkmcnt(0)
	; wave barrier
	s_and_saveexec_b64 s[8:9], s[4:5]
	s_cbranch_execz .LBB90_146
; %bb.137:
	s_andn2_b64 vcc, exec, s[10:11]
	s_cbranch_vccnz .LBB90_139
; %bb.138:
	buffer_load_dword v55, v59, s[0:3], 0 offen
	buffer_load_dword v56, v59, s[0:3], 0 offen offset:4
	ds_read_b64 v[60:61], v58
	s_waitcnt vmcnt(0) lgkmcnt(0)
	v_mul_f64 v[55:56], v[55:56], v[60:61]
	s_cbranch_execz .LBB90_140
	s_branch .LBB90_141
.LBB90_139:
                                        ; implicit-def: $vgpr55_vgpr56
.LBB90_140:
	ds_read_b64 v[55:56], v58
.LBB90_141:
	s_and_saveexec_b64 s[12:13], s[6:7]
	s_cbranch_execz .LBB90_145
; %bb.142:
	v_add_u32_e32 v60, -12, v0
	s_movk_i32 s26, 0x140
	s_mov_b64 s[6:7], 0
.LBB90_143:                             ; =>This Inner Loop Header: Depth=1
	v_mov_b32_e32 v63, s25
	buffer_load_dword v61, v63, s[0:3], 0 offen
	buffer_load_dword v62, v63, s[0:3], 0 offen offset:4
	v_mov_b32_e32 v63, s26
	ds_read_b64 v[63:64], v63
	v_add_u32_e32 v60, -1, v60
	s_add_i32 s26, s26, 8
	s_add_i32 s25, s25, 8
	v_cmp_eq_u32_e32 vcc, 0, v60
	s_or_b64 s[6:7], vcc, s[6:7]
	s_waitcnt vmcnt(0) lgkmcnt(0)
	v_fma_f64 v[55:56], v[61:62], v[63:64], v[55:56]
	s_andn2_b64 exec, exec, s[6:7]
	s_cbranch_execnz .LBB90_143
; %bb.144:
	s_or_b64 exec, exec, s[6:7]
.LBB90_145:
	s_or_b64 exec, exec, s[12:13]
	v_mov_b32_e32 v60, 0
	ds_read_b64 v[60:61], v60 offset:88
	s_waitcnt lgkmcnt(0)
	v_mul_f64 v[55:56], v[55:56], v[60:61]
	buffer_store_dword v56, off, s[0:3], 0 offset:92
	buffer_store_dword v55, off, s[0:3], 0 offset:88
.LBB90_146:
	s_or_b64 exec, exec, s[8:9]
	buffer_load_dword v55, off, s[0:3], 0 offset:80
	buffer_load_dword v56, off, s[0:3], 0 offset:84
	v_cmp_lt_u32_e64 s[6:7], 10, v0
	s_waitcnt vmcnt(0)
	ds_write_b64 v58, v[55:56]
	s_waitcnt lgkmcnt(0)
	; wave barrier
	s_and_saveexec_b64 s[8:9], s[6:7]
	s_cbranch_execz .LBB90_156
; %bb.147:
	s_andn2_b64 vcc, exec, s[10:11]
	s_cbranch_vccnz .LBB90_149
; %bb.148:
	buffer_load_dword v55, v59, s[0:3], 0 offen
	buffer_load_dword v56, v59, s[0:3], 0 offen offset:4
	ds_read_b64 v[60:61], v58
	s_waitcnt vmcnt(0) lgkmcnt(0)
	v_mul_f64 v[55:56], v[55:56], v[60:61]
	s_cbranch_execz .LBB90_150
	s_branch .LBB90_151
.LBB90_149:
                                        ; implicit-def: $vgpr55_vgpr56
.LBB90_150:
	ds_read_b64 v[55:56], v58
.LBB90_151:
	s_and_saveexec_b64 s[12:13], s[4:5]
	s_cbranch_execz .LBB90_155
; %bb.152:
	v_add_u32_e32 v60, -11, v0
	s_movk_i32 s25, 0x138
	s_mov_b64 s[4:5], 0
.LBB90_153:                             ; =>This Inner Loop Header: Depth=1
	v_mov_b32_e32 v63, s24
	buffer_load_dword v61, v63, s[0:3], 0 offen
	buffer_load_dword v62, v63, s[0:3], 0 offen offset:4
	v_mov_b32_e32 v63, s25
	ds_read_b64 v[63:64], v63
	v_add_u32_e32 v60, -1, v60
	s_add_i32 s25, s25, 8
	s_add_i32 s24, s24, 8
	v_cmp_eq_u32_e32 vcc, 0, v60
	s_or_b64 s[4:5], vcc, s[4:5]
	s_waitcnt vmcnt(0) lgkmcnt(0)
	v_fma_f64 v[55:56], v[61:62], v[63:64], v[55:56]
	s_andn2_b64 exec, exec, s[4:5]
	s_cbranch_execnz .LBB90_153
; %bb.154:
	s_or_b64 exec, exec, s[4:5]
.LBB90_155:
	s_or_b64 exec, exec, s[12:13]
	v_mov_b32_e32 v60, 0
	ds_read_b64 v[60:61], v60 offset:80
	s_waitcnt lgkmcnt(0)
	v_mul_f64 v[55:56], v[55:56], v[60:61]
	buffer_store_dword v56, off, s[0:3], 0 offset:84
	buffer_store_dword v55, off, s[0:3], 0 offset:80
.LBB90_156:
	s_or_b64 exec, exec, s[8:9]
	buffer_load_dword v55, off, s[0:3], 0 offset:72
	buffer_load_dword v56, off, s[0:3], 0 offset:76
	v_cmp_lt_u32_e64 s[4:5], 9, v0
	s_waitcnt vmcnt(0)
	ds_write_b64 v58, v[55:56]
	s_waitcnt lgkmcnt(0)
	; wave barrier
	s_and_saveexec_b64 s[8:9], s[4:5]
	s_cbranch_execz .LBB90_166
; %bb.157:
	s_andn2_b64 vcc, exec, s[10:11]
	s_cbranch_vccnz .LBB90_159
; %bb.158:
	buffer_load_dword v55, v59, s[0:3], 0 offen
	buffer_load_dword v56, v59, s[0:3], 0 offen offset:4
	ds_read_b64 v[60:61], v58
	s_waitcnt vmcnt(0) lgkmcnt(0)
	v_mul_f64 v[55:56], v[55:56], v[60:61]
	s_cbranch_execz .LBB90_160
	s_branch .LBB90_161
.LBB90_159:
                                        ; implicit-def: $vgpr55_vgpr56
.LBB90_160:
	ds_read_b64 v[55:56], v58
.LBB90_161:
	s_and_saveexec_b64 s[12:13], s[6:7]
	s_cbranch_execz .LBB90_165
; %bb.162:
	v_add_u32_e32 v60, -10, v0
	s_movk_i32 s24, 0x130
	s_mov_b64 s[6:7], 0
.LBB90_163:                             ; =>This Inner Loop Header: Depth=1
	v_mov_b32_e32 v63, s23
	buffer_load_dword v61, v63, s[0:3], 0 offen
	buffer_load_dword v62, v63, s[0:3], 0 offen offset:4
	v_mov_b32_e32 v63, s24
	ds_read_b64 v[63:64], v63
	v_add_u32_e32 v60, -1, v60
	s_add_i32 s24, s24, 8
	s_add_i32 s23, s23, 8
	v_cmp_eq_u32_e32 vcc, 0, v60
	s_or_b64 s[6:7], vcc, s[6:7]
	s_waitcnt vmcnt(0) lgkmcnt(0)
	v_fma_f64 v[55:56], v[61:62], v[63:64], v[55:56]
	s_andn2_b64 exec, exec, s[6:7]
	s_cbranch_execnz .LBB90_163
; %bb.164:
	s_or_b64 exec, exec, s[6:7]
.LBB90_165:
	s_or_b64 exec, exec, s[12:13]
	v_mov_b32_e32 v60, 0
	ds_read_b64 v[60:61], v60 offset:72
	s_waitcnt lgkmcnt(0)
	v_mul_f64 v[55:56], v[55:56], v[60:61]
	buffer_store_dword v56, off, s[0:3], 0 offset:76
	buffer_store_dword v55, off, s[0:3], 0 offset:72
.LBB90_166:
	s_or_b64 exec, exec, s[8:9]
	buffer_load_dword v55, off, s[0:3], 0 offset:64
	buffer_load_dword v56, off, s[0:3], 0 offset:68
	v_cmp_lt_u32_e64 s[6:7], 8, v0
	s_waitcnt vmcnt(0)
	ds_write_b64 v58, v[55:56]
	s_waitcnt lgkmcnt(0)
	; wave barrier
	s_and_saveexec_b64 s[8:9], s[6:7]
	s_cbranch_execz .LBB90_176
; %bb.167:
	s_andn2_b64 vcc, exec, s[10:11]
	s_cbranch_vccnz .LBB90_169
; %bb.168:
	buffer_load_dword v55, v59, s[0:3], 0 offen
	buffer_load_dword v56, v59, s[0:3], 0 offen offset:4
	ds_read_b64 v[60:61], v58
	s_waitcnt vmcnt(0) lgkmcnt(0)
	v_mul_f64 v[55:56], v[55:56], v[60:61]
	s_cbranch_execz .LBB90_170
	s_branch .LBB90_171
.LBB90_169:
                                        ; implicit-def: $vgpr55_vgpr56
.LBB90_170:
	ds_read_b64 v[55:56], v58
.LBB90_171:
	s_and_saveexec_b64 s[12:13], s[4:5]
	s_cbranch_execz .LBB90_175
; %bb.172:
	v_add_u32_e32 v60, -9, v0
	s_movk_i32 s23, 0x128
	s_mov_b64 s[4:5], 0
.LBB90_173:                             ; =>This Inner Loop Header: Depth=1
	v_mov_b32_e32 v63, s22
	buffer_load_dword v61, v63, s[0:3], 0 offen
	buffer_load_dword v62, v63, s[0:3], 0 offen offset:4
	v_mov_b32_e32 v63, s23
	ds_read_b64 v[63:64], v63
	v_add_u32_e32 v60, -1, v60
	s_add_i32 s23, s23, 8
	s_add_i32 s22, s22, 8
	v_cmp_eq_u32_e32 vcc, 0, v60
	s_or_b64 s[4:5], vcc, s[4:5]
	s_waitcnt vmcnt(0) lgkmcnt(0)
	v_fma_f64 v[55:56], v[61:62], v[63:64], v[55:56]
	s_andn2_b64 exec, exec, s[4:5]
	s_cbranch_execnz .LBB90_173
; %bb.174:
	s_or_b64 exec, exec, s[4:5]
.LBB90_175:
	s_or_b64 exec, exec, s[12:13]
	v_mov_b32_e32 v60, 0
	ds_read_b64 v[60:61], v60 offset:64
	s_waitcnt lgkmcnt(0)
	v_mul_f64 v[55:56], v[55:56], v[60:61]
	buffer_store_dword v56, off, s[0:3], 0 offset:68
	buffer_store_dword v55, off, s[0:3], 0 offset:64
.LBB90_176:
	s_or_b64 exec, exec, s[8:9]
	buffer_load_dword v55, off, s[0:3], 0 offset:56
	buffer_load_dword v56, off, s[0:3], 0 offset:60
	v_cmp_lt_u32_e64 s[4:5], 7, v0
	s_waitcnt vmcnt(0)
	ds_write_b64 v58, v[55:56]
	s_waitcnt lgkmcnt(0)
	; wave barrier
	s_and_saveexec_b64 s[8:9], s[4:5]
	s_cbranch_execz .LBB90_186
; %bb.177:
	s_andn2_b64 vcc, exec, s[10:11]
	s_cbranch_vccnz .LBB90_179
; %bb.178:
	buffer_load_dword v55, v59, s[0:3], 0 offen
	buffer_load_dword v56, v59, s[0:3], 0 offen offset:4
	ds_read_b64 v[60:61], v58
	s_waitcnt vmcnt(0) lgkmcnt(0)
	v_mul_f64 v[55:56], v[55:56], v[60:61]
	s_cbranch_execz .LBB90_180
	s_branch .LBB90_181
.LBB90_179:
                                        ; implicit-def: $vgpr55_vgpr56
.LBB90_180:
	ds_read_b64 v[55:56], v58
.LBB90_181:
	s_and_saveexec_b64 s[12:13], s[6:7]
	s_cbranch_execz .LBB90_185
; %bb.182:
	v_add_u32_e32 v60, -8, v0
	s_movk_i32 s22, 0x120
	s_mov_b64 s[6:7], 0
.LBB90_183:                             ; =>This Inner Loop Header: Depth=1
	v_mov_b32_e32 v63, s21
	buffer_load_dword v61, v63, s[0:3], 0 offen
	buffer_load_dword v62, v63, s[0:3], 0 offen offset:4
	v_mov_b32_e32 v63, s22
	ds_read_b64 v[63:64], v63
	v_add_u32_e32 v60, -1, v60
	s_add_i32 s22, s22, 8
	s_add_i32 s21, s21, 8
	v_cmp_eq_u32_e32 vcc, 0, v60
	s_or_b64 s[6:7], vcc, s[6:7]
	s_waitcnt vmcnt(0) lgkmcnt(0)
	v_fma_f64 v[55:56], v[61:62], v[63:64], v[55:56]
	s_andn2_b64 exec, exec, s[6:7]
	s_cbranch_execnz .LBB90_183
; %bb.184:
	s_or_b64 exec, exec, s[6:7]
.LBB90_185:
	s_or_b64 exec, exec, s[12:13]
	v_mov_b32_e32 v60, 0
	ds_read_b64 v[60:61], v60 offset:56
	s_waitcnt lgkmcnt(0)
	v_mul_f64 v[55:56], v[55:56], v[60:61]
	buffer_store_dword v56, off, s[0:3], 0 offset:60
	buffer_store_dword v55, off, s[0:3], 0 offset:56
.LBB90_186:
	s_or_b64 exec, exec, s[8:9]
	buffer_load_dword v55, off, s[0:3], 0 offset:48
	buffer_load_dword v56, off, s[0:3], 0 offset:52
	v_cmp_lt_u32_e64 s[6:7], 6, v0
	s_waitcnt vmcnt(0)
	ds_write_b64 v58, v[55:56]
	s_waitcnt lgkmcnt(0)
	; wave barrier
	s_and_saveexec_b64 s[8:9], s[6:7]
	s_cbranch_execz .LBB90_196
; %bb.187:
	s_andn2_b64 vcc, exec, s[10:11]
	s_cbranch_vccnz .LBB90_189
; %bb.188:
	buffer_load_dword v55, v59, s[0:3], 0 offen
	buffer_load_dword v56, v59, s[0:3], 0 offen offset:4
	ds_read_b64 v[60:61], v58
	s_waitcnt vmcnt(0) lgkmcnt(0)
	v_mul_f64 v[55:56], v[55:56], v[60:61]
	s_cbranch_execz .LBB90_190
	s_branch .LBB90_191
.LBB90_189:
                                        ; implicit-def: $vgpr55_vgpr56
.LBB90_190:
	ds_read_b64 v[55:56], v58
.LBB90_191:
	s_and_saveexec_b64 s[12:13], s[4:5]
	s_cbranch_execz .LBB90_195
; %bb.192:
	v_add_u32_e32 v60, -7, v0
	s_movk_i32 s21, 0x118
	s_mov_b64 s[4:5], 0
.LBB90_193:                             ; =>This Inner Loop Header: Depth=1
	v_mov_b32_e32 v63, s20
	buffer_load_dword v61, v63, s[0:3], 0 offen
	buffer_load_dword v62, v63, s[0:3], 0 offen offset:4
	v_mov_b32_e32 v63, s21
	ds_read_b64 v[63:64], v63
	v_add_u32_e32 v60, -1, v60
	s_add_i32 s21, s21, 8
	s_add_i32 s20, s20, 8
	v_cmp_eq_u32_e32 vcc, 0, v60
	s_or_b64 s[4:5], vcc, s[4:5]
	s_waitcnt vmcnt(0) lgkmcnt(0)
	v_fma_f64 v[55:56], v[61:62], v[63:64], v[55:56]
	s_andn2_b64 exec, exec, s[4:5]
	s_cbranch_execnz .LBB90_193
; %bb.194:
	s_or_b64 exec, exec, s[4:5]
.LBB90_195:
	s_or_b64 exec, exec, s[12:13]
	v_mov_b32_e32 v60, 0
	ds_read_b64 v[60:61], v60 offset:48
	s_waitcnt lgkmcnt(0)
	v_mul_f64 v[55:56], v[55:56], v[60:61]
	buffer_store_dword v56, off, s[0:3], 0 offset:52
	buffer_store_dword v55, off, s[0:3], 0 offset:48
.LBB90_196:
	s_or_b64 exec, exec, s[8:9]
	buffer_load_dword v55, off, s[0:3], 0 offset:40
	buffer_load_dword v56, off, s[0:3], 0 offset:44
	v_cmp_lt_u32_e64 s[4:5], 5, v0
	s_waitcnt vmcnt(0)
	ds_write_b64 v58, v[55:56]
	s_waitcnt lgkmcnt(0)
	; wave barrier
	s_and_saveexec_b64 s[8:9], s[4:5]
	s_cbranch_execz .LBB90_206
; %bb.197:
	s_andn2_b64 vcc, exec, s[10:11]
	s_cbranch_vccnz .LBB90_199
; %bb.198:
	buffer_load_dword v55, v59, s[0:3], 0 offen
	buffer_load_dword v56, v59, s[0:3], 0 offen offset:4
	ds_read_b64 v[60:61], v58
	s_waitcnt vmcnt(0) lgkmcnt(0)
	v_mul_f64 v[55:56], v[55:56], v[60:61]
	s_cbranch_execz .LBB90_200
	s_branch .LBB90_201
.LBB90_199:
                                        ; implicit-def: $vgpr55_vgpr56
.LBB90_200:
	ds_read_b64 v[55:56], v58
.LBB90_201:
	s_and_saveexec_b64 s[12:13], s[6:7]
	s_cbranch_execz .LBB90_205
; %bb.202:
	v_add_u32_e32 v60, -6, v0
	s_movk_i32 s20, 0x110
	s_mov_b64 s[6:7], 0
.LBB90_203:                             ; =>This Inner Loop Header: Depth=1
	v_mov_b32_e32 v63, s19
	buffer_load_dword v61, v63, s[0:3], 0 offen
	buffer_load_dword v62, v63, s[0:3], 0 offen offset:4
	v_mov_b32_e32 v63, s20
	ds_read_b64 v[63:64], v63
	v_add_u32_e32 v60, -1, v60
	s_add_i32 s20, s20, 8
	s_add_i32 s19, s19, 8
	v_cmp_eq_u32_e32 vcc, 0, v60
	s_or_b64 s[6:7], vcc, s[6:7]
	s_waitcnt vmcnt(0) lgkmcnt(0)
	v_fma_f64 v[55:56], v[61:62], v[63:64], v[55:56]
	s_andn2_b64 exec, exec, s[6:7]
	s_cbranch_execnz .LBB90_203
; %bb.204:
	s_or_b64 exec, exec, s[6:7]
.LBB90_205:
	s_or_b64 exec, exec, s[12:13]
	v_mov_b32_e32 v60, 0
	ds_read_b64 v[60:61], v60 offset:40
	s_waitcnt lgkmcnt(0)
	v_mul_f64 v[55:56], v[55:56], v[60:61]
	buffer_store_dword v56, off, s[0:3], 0 offset:44
	buffer_store_dword v55, off, s[0:3], 0 offset:40
.LBB90_206:
	s_or_b64 exec, exec, s[8:9]
	buffer_load_dword v55, off, s[0:3], 0 offset:32
	buffer_load_dword v56, off, s[0:3], 0 offset:36
	v_cmp_lt_u32_e64 s[6:7], 4, v0
	s_waitcnt vmcnt(0)
	ds_write_b64 v58, v[55:56]
	s_waitcnt lgkmcnt(0)
	; wave barrier
	s_and_saveexec_b64 s[8:9], s[6:7]
	s_cbranch_execz .LBB90_216
; %bb.207:
	s_andn2_b64 vcc, exec, s[10:11]
	s_cbranch_vccnz .LBB90_209
; %bb.208:
	buffer_load_dword v55, v59, s[0:3], 0 offen
	buffer_load_dword v56, v59, s[0:3], 0 offen offset:4
	ds_read_b64 v[60:61], v58
	s_waitcnt vmcnt(0) lgkmcnt(0)
	v_mul_f64 v[55:56], v[55:56], v[60:61]
	s_cbranch_execz .LBB90_210
	s_branch .LBB90_211
.LBB90_209:
                                        ; implicit-def: $vgpr55_vgpr56
.LBB90_210:
	ds_read_b64 v[55:56], v58
.LBB90_211:
	s_and_saveexec_b64 s[12:13], s[4:5]
	s_cbranch_execz .LBB90_215
; %bb.212:
	v_add_u32_e32 v60, -5, v0
	s_movk_i32 s19, 0x108
	s_mov_b64 s[4:5], 0
.LBB90_213:                             ; =>This Inner Loop Header: Depth=1
	v_mov_b32_e32 v63, s18
	buffer_load_dword v61, v63, s[0:3], 0 offen
	buffer_load_dword v62, v63, s[0:3], 0 offen offset:4
	v_mov_b32_e32 v63, s19
	ds_read_b64 v[63:64], v63
	v_add_u32_e32 v60, -1, v60
	s_add_i32 s19, s19, 8
	s_add_i32 s18, s18, 8
	v_cmp_eq_u32_e32 vcc, 0, v60
	s_or_b64 s[4:5], vcc, s[4:5]
	s_waitcnt vmcnt(0) lgkmcnt(0)
	v_fma_f64 v[55:56], v[61:62], v[63:64], v[55:56]
	s_andn2_b64 exec, exec, s[4:5]
	s_cbranch_execnz .LBB90_213
; %bb.214:
	s_or_b64 exec, exec, s[4:5]
.LBB90_215:
	s_or_b64 exec, exec, s[12:13]
	v_mov_b32_e32 v60, 0
	ds_read_b64 v[60:61], v60 offset:32
	s_waitcnt lgkmcnt(0)
	v_mul_f64 v[55:56], v[55:56], v[60:61]
	buffer_store_dword v56, off, s[0:3], 0 offset:36
	buffer_store_dword v55, off, s[0:3], 0 offset:32
.LBB90_216:
	s_or_b64 exec, exec, s[8:9]
	buffer_load_dword v55, off, s[0:3], 0 offset:24
	buffer_load_dword v56, off, s[0:3], 0 offset:28
	v_cmp_lt_u32_e64 s[4:5], 3, v0
	s_waitcnt vmcnt(0)
	ds_write_b64 v58, v[55:56]
	s_waitcnt lgkmcnt(0)
	; wave barrier
	s_and_saveexec_b64 s[8:9], s[4:5]
	s_cbranch_execz .LBB90_226
; %bb.217:
	s_andn2_b64 vcc, exec, s[10:11]
	s_cbranch_vccnz .LBB90_219
; %bb.218:
	buffer_load_dword v55, v59, s[0:3], 0 offen
	buffer_load_dword v56, v59, s[0:3], 0 offen offset:4
	ds_read_b64 v[60:61], v58
	s_waitcnt vmcnt(0) lgkmcnt(0)
	v_mul_f64 v[55:56], v[55:56], v[60:61]
	s_cbranch_execz .LBB90_220
	s_branch .LBB90_221
.LBB90_219:
                                        ; implicit-def: $vgpr55_vgpr56
.LBB90_220:
	ds_read_b64 v[55:56], v58
.LBB90_221:
	s_and_saveexec_b64 s[12:13], s[6:7]
	s_cbranch_execz .LBB90_225
; %bb.222:
	v_add_u32_e32 v60, -4, v0
	s_movk_i32 s18, 0x100
	s_mov_b64 s[6:7], 0
.LBB90_223:                             ; =>This Inner Loop Header: Depth=1
	v_mov_b32_e32 v63, s17
	buffer_load_dword v61, v63, s[0:3], 0 offen
	buffer_load_dword v62, v63, s[0:3], 0 offen offset:4
	v_mov_b32_e32 v63, s18
	ds_read_b64 v[63:64], v63
	v_add_u32_e32 v60, -1, v60
	s_add_i32 s18, s18, 8
	s_add_i32 s17, s17, 8
	v_cmp_eq_u32_e32 vcc, 0, v60
	s_or_b64 s[6:7], vcc, s[6:7]
	s_waitcnt vmcnt(0) lgkmcnt(0)
	v_fma_f64 v[55:56], v[61:62], v[63:64], v[55:56]
	s_andn2_b64 exec, exec, s[6:7]
	s_cbranch_execnz .LBB90_223
; %bb.224:
	s_or_b64 exec, exec, s[6:7]
.LBB90_225:
	s_or_b64 exec, exec, s[12:13]
	v_mov_b32_e32 v60, 0
	ds_read_b64 v[60:61], v60 offset:24
	s_waitcnt lgkmcnt(0)
	v_mul_f64 v[55:56], v[55:56], v[60:61]
	buffer_store_dword v56, off, s[0:3], 0 offset:28
	buffer_store_dword v55, off, s[0:3], 0 offset:24
.LBB90_226:
	s_or_b64 exec, exec, s[8:9]
	buffer_load_dword v55, off, s[0:3], 0 offset:16
	buffer_load_dword v56, off, s[0:3], 0 offset:20
	v_cmp_lt_u32_e64 s[6:7], 2, v0
	s_waitcnt vmcnt(0)
	ds_write_b64 v58, v[55:56]
	s_waitcnt lgkmcnt(0)
	; wave barrier
	s_and_saveexec_b64 s[8:9], s[6:7]
	s_cbranch_execz .LBB90_236
; %bb.227:
	s_andn2_b64 vcc, exec, s[10:11]
	s_cbranch_vccnz .LBB90_229
; %bb.228:
	buffer_load_dword v55, v59, s[0:3], 0 offen
	buffer_load_dword v56, v59, s[0:3], 0 offen offset:4
	ds_read_b64 v[60:61], v58
	s_waitcnt vmcnt(0) lgkmcnt(0)
	v_mul_f64 v[55:56], v[55:56], v[60:61]
	s_cbranch_execz .LBB90_230
	s_branch .LBB90_231
.LBB90_229:
                                        ; implicit-def: $vgpr55_vgpr56
.LBB90_230:
	ds_read_b64 v[55:56], v58
.LBB90_231:
	s_and_saveexec_b64 s[12:13], s[4:5]
	s_cbranch_execz .LBB90_235
; %bb.232:
	v_add_u32_e32 v60, -3, v0
	s_movk_i32 s17, 0xf8
	s_mov_b64 s[4:5], 0
.LBB90_233:                             ; =>This Inner Loop Header: Depth=1
	v_mov_b32_e32 v63, s16
	buffer_load_dword v61, v63, s[0:3], 0 offen
	buffer_load_dword v62, v63, s[0:3], 0 offen offset:4
	v_mov_b32_e32 v63, s17
	ds_read_b64 v[63:64], v63
	v_add_u32_e32 v60, -1, v60
	s_add_i32 s17, s17, 8
	s_add_i32 s16, s16, 8
	v_cmp_eq_u32_e32 vcc, 0, v60
	s_or_b64 s[4:5], vcc, s[4:5]
	s_waitcnt vmcnt(0) lgkmcnt(0)
	v_fma_f64 v[55:56], v[61:62], v[63:64], v[55:56]
	s_andn2_b64 exec, exec, s[4:5]
	s_cbranch_execnz .LBB90_233
; %bb.234:
	s_or_b64 exec, exec, s[4:5]
.LBB90_235:
	s_or_b64 exec, exec, s[12:13]
	v_mov_b32_e32 v60, 0
	ds_read_b64 v[60:61], v60 offset:16
	s_waitcnt lgkmcnt(0)
	v_mul_f64 v[55:56], v[55:56], v[60:61]
	buffer_store_dword v56, off, s[0:3], 0 offset:20
	buffer_store_dword v55, off, s[0:3], 0 offset:16
.LBB90_236:
	s_or_b64 exec, exec, s[8:9]
	buffer_load_dword v55, off, s[0:3], 0 offset:8
	buffer_load_dword v56, off, s[0:3], 0 offset:12
	v_cmp_lt_u32_e64 s[4:5], 1, v0
	s_waitcnt vmcnt(0)
	ds_write_b64 v58, v[55:56]
	s_waitcnt lgkmcnt(0)
	; wave barrier
	s_and_saveexec_b64 s[8:9], s[4:5]
	s_cbranch_execz .LBB90_246
; %bb.237:
	s_andn2_b64 vcc, exec, s[10:11]
	s_cbranch_vccnz .LBB90_239
; %bb.238:
	buffer_load_dword v55, v59, s[0:3], 0 offen
	buffer_load_dword v56, v59, s[0:3], 0 offen offset:4
	ds_read_b64 v[60:61], v58
	s_waitcnt vmcnt(0) lgkmcnt(0)
	v_mul_f64 v[55:56], v[55:56], v[60:61]
	s_cbranch_execz .LBB90_240
	s_branch .LBB90_241
.LBB90_239:
                                        ; implicit-def: $vgpr55_vgpr56
.LBB90_240:
	ds_read_b64 v[55:56], v58
.LBB90_241:
	s_and_saveexec_b64 s[12:13], s[6:7]
	s_cbranch_execz .LBB90_245
; %bb.242:
	v_add_u32_e32 v60, -2, v0
	s_movk_i32 s16, 0xf0
	s_mov_b64 s[6:7], 0
.LBB90_243:                             ; =>This Inner Loop Header: Depth=1
	v_mov_b32_e32 v63, s15
	buffer_load_dword v61, v63, s[0:3], 0 offen
	buffer_load_dword v62, v63, s[0:3], 0 offen offset:4
	v_mov_b32_e32 v63, s16
	ds_read_b64 v[63:64], v63
	v_add_u32_e32 v60, -1, v60
	s_add_i32 s16, s16, 8
	s_add_i32 s15, s15, 8
	v_cmp_eq_u32_e32 vcc, 0, v60
	s_or_b64 s[6:7], vcc, s[6:7]
	s_waitcnt vmcnt(0) lgkmcnt(0)
	v_fma_f64 v[55:56], v[61:62], v[63:64], v[55:56]
	s_andn2_b64 exec, exec, s[6:7]
	s_cbranch_execnz .LBB90_243
; %bb.244:
	s_or_b64 exec, exec, s[6:7]
.LBB90_245:
	s_or_b64 exec, exec, s[12:13]
	v_mov_b32_e32 v60, 0
	ds_read_b64 v[60:61], v60 offset:8
	s_waitcnt lgkmcnt(0)
	v_mul_f64 v[55:56], v[55:56], v[60:61]
	buffer_store_dword v56, off, s[0:3], 0 offset:12
	buffer_store_dword v55, off, s[0:3], 0 offset:8
.LBB90_246:
	s_or_b64 exec, exec, s[8:9]
	buffer_load_dword v55, off, s[0:3], 0
	buffer_load_dword v56, off, s[0:3], 0 offset:4
	v_cmp_ne_u32_e32 vcc, 0, v0
	s_waitcnt vmcnt(0)
	ds_write_b64 v58, v[55:56]
	s_waitcnt lgkmcnt(0)
	; wave barrier
	s_and_saveexec_b64 s[6:7], vcc
	s_cbranch_execz .LBB90_256
; %bb.247:
	s_andn2_b64 vcc, exec, s[10:11]
	s_cbranch_vccnz .LBB90_249
; %bb.248:
	buffer_load_dword v55, v59, s[0:3], 0 offen
	buffer_load_dword v56, v59, s[0:3], 0 offen offset:4
	ds_read_b64 v[60:61], v58
	s_waitcnt vmcnt(0) lgkmcnt(0)
	v_mul_f64 v[55:56], v[55:56], v[60:61]
	s_cbranch_execz .LBB90_250
	s_branch .LBB90_251
.LBB90_249:
                                        ; implicit-def: $vgpr55_vgpr56
.LBB90_250:
	ds_read_b64 v[55:56], v58
.LBB90_251:
	s_and_saveexec_b64 s[8:9], s[4:5]
	s_cbranch_execz .LBB90_255
; %bb.252:
	v_add_u32_e32 v60, -1, v0
	s_movk_i32 s12, 0xe8
	s_mov_b64 s[4:5], 0
.LBB90_253:                             ; =>This Inner Loop Header: Depth=1
	v_mov_b32_e32 v63, s14
	buffer_load_dword v61, v63, s[0:3], 0 offen
	buffer_load_dword v62, v63, s[0:3], 0 offen offset:4
	v_mov_b32_e32 v63, s12
	ds_read_b64 v[63:64], v63
	v_add_u32_e32 v60, -1, v60
	s_add_i32 s12, s12, 8
	s_add_i32 s14, s14, 8
	v_cmp_eq_u32_e32 vcc, 0, v60
	s_or_b64 s[4:5], vcc, s[4:5]
	s_waitcnt vmcnt(0) lgkmcnt(0)
	v_fma_f64 v[55:56], v[61:62], v[63:64], v[55:56]
	s_andn2_b64 exec, exec, s[4:5]
	s_cbranch_execnz .LBB90_253
; %bb.254:
	s_or_b64 exec, exec, s[4:5]
.LBB90_255:
	s_or_b64 exec, exec, s[8:9]
	v_mov_b32_e32 v60, 0
	ds_read_b64 v[60:61], v60
	s_waitcnt lgkmcnt(0)
	v_mul_f64 v[55:56], v[55:56], v[60:61]
	buffer_store_dword v56, off, s[0:3], 0 offset:4
	buffer_store_dword v55, off, s[0:3], 0
.LBB90_256:
	s_or_b64 exec, exec, s[6:7]
	s_mov_b64 s[4:5], 0
.LBB90_257:
	s_and_b64 vcc, exec, s[4:5]
	s_cbranch_vccz .LBB90_509
; %bb.258:
	buffer_load_dword v55, off, s[0:3], 0 offset:8
	buffer_load_dword v56, off, s[0:3], 0 offset:12
	v_cmp_eq_u32_e64 s[6:7], 0, v0
	s_waitcnt vmcnt(0)
	ds_write_b64 v58, v[55:56]
	s_waitcnt lgkmcnt(0)
	; wave barrier
	s_and_saveexec_b64 s[4:5], s[6:7]
	s_cbranch_execz .LBB90_264
; %bb.259:
	s_and_b64 vcc, exec, s[10:11]
	s_cbranch_vccz .LBB90_261
; %bb.260:
	buffer_load_dword v55, v59, s[0:3], 0 offen
	buffer_load_dword v56, v59, s[0:3], 0 offen offset:4
	ds_read_b64 v[60:61], v58
	s_waitcnt vmcnt(0) lgkmcnt(0)
	v_mul_f64 v[55:56], v[55:56], v[60:61]
	s_cbranch_execz .LBB90_262
	s_branch .LBB90_263
.LBB90_261:
                                        ; implicit-def: $vgpr55_vgpr56
.LBB90_262:
	ds_read_b64 v[55:56], v58
.LBB90_263:
	v_mov_b32_e32 v60, 0
	ds_read_b64 v[60:61], v60 offset:8
	s_waitcnt lgkmcnt(0)
	v_mul_f64 v[55:56], v[55:56], v[60:61]
	buffer_store_dword v56, off, s[0:3], 0 offset:12
	buffer_store_dword v55, off, s[0:3], 0 offset:8
.LBB90_264:
	s_or_b64 exec, exec, s[4:5]
	buffer_load_dword v55, off, s[0:3], 0 offset:16
	buffer_load_dword v56, off, s[0:3], 0 offset:20
	v_cndmask_b32_e64 v60, 0, 1, s[10:11]
	v_cmp_gt_u32_e32 vcc, 2, v0
	v_cmp_ne_u32_e64 s[4:5], 1, v60
	s_waitcnt vmcnt(0)
	ds_write_b64 v58, v[55:56]
	s_waitcnt lgkmcnt(0)
	; wave barrier
	s_and_saveexec_b64 s[8:9], vcc
	s_cbranch_execz .LBB90_270
; %bb.265:
	s_and_b64 vcc, exec, s[4:5]
	s_cbranch_vccnz .LBB90_267
; %bb.266:
	buffer_load_dword v55, v59, s[0:3], 0 offen
	buffer_load_dword v56, v59, s[0:3], 0 offen offset:4
	ds_read_b64 v[60:61], v58
	s_waitcnt vmcnt(0) lgkmcnt(0)
	v_mul_f64 v[55:56], v[55:56], v[60:61]
	s_cbranch_execz .LBB90_268
	s_branch .LBB90_269
.LBB90_267:
                                        ; implicit-def: $vgpr55_vgpr56
.LBB90_268:
	ds_read_b64 v[55:56], v58
.LBB90_269:
	buffer_load_dword v64, off, s[0:3], 0 offset:8
	buffer_load_dword v65, off, s[0:3], 0 offset:12
	v_mov_b32_e32 v60, 0
	ds_read2_b64 v[60:63], v60 offset0:2 offset1:29
	s_waitcnt vmcnt(0) lgkmcnt(0)
	v_fma_f64 v[62:63], v[64:65], v[62:63], v[55:56]
	v_cndmask_b32_e64 v56, v56, v63, s[6:7]
	v_cndmask_b32_e64 v55, v55, v62, s[6:7]
	v_mul_f64 v[55:56], v[55:56], v[60:61]
	buffer_store_dword v56, off, s[0:3], 0 offset:20
	buffer_store_dword v55, off, s[0:3], 0 offset:16
.LBB90_270:
	s_or_b64 exec, exec, s[8:9]
	buffer_load_dword v55, off, s[0:3], 0 offset:24
	buffer_load_dword v56, off, s[0:3], 0 offset:28
	v_cmp_gt_u32_e32 vcc, 3, v0
	s_waitcnt vmcnt(0)
	ds_write_b64 v58, v[55:56]
	s_waitcnt lgkmcnt(0)
	; wave barrier
	s_and_saveexec_b64 s[8:9], vcc
	s_cbranch_execz .LBB90_278
; %bb.271:
	s_and_b64 vcc, exec, s[4:5]
	s_cbranch_vccnz .LBB90_273
; %bb.272:
	buffer_load_dword v55, v59, s[0:3], 0 offen
	buffer_load_dword v56, v59, s[0:3], 0 offen offset:4
	ds_read_b64 v[60:61], v58
	s_waitcnt vmcnt(0) lgkmcnt(0)
	v_mul_f64 v[55:56], v[55:56], v[60:61]
	s_cbranch_execz .LBB90_274
	s_branch .LBB90_275
.LBB90_273:
                                        ; implicit-def: $vgpr55_vgpr56
.LBB90_274:
	ds_read_b64 v[55:56], v58
.LBB90_275:
	v_cmp_ne_u32_e32 vcc, 2, v0
	s_and_saveexec_b64 s[10:11], vcc
	s_cbranch_execz .LBB90_277
; %bb.276:
	buffer_load_dword v60, v59, s[0:3], 0 offen offset:8
	buffer_load_dword v61, v59, s[0:3], 0 offen offset:12
	buffer_load_dword v62, off, s[0:3], 0 offset:16
	buffer_load_dword v63, off, s[0:3], 0 offset:20
	ds_read_b64 v[64:65], v58 offset:8
	v_mov_b32_e32 v66, 0
	ds_read_b64 v[66:67], v66 offset:240
	s_waitcnt vmcnt(2) lgkmcnt(1)
	v_fma_f64 v[55:56], v[60:61], v[64:65], v[55:56]
	s_waitcnt vmcnt(0) lgkmcnt(0)
	v_fma_f64 v[60:61], v[62:63], v[66:67], v[55:56]
	v_cndmask_b32_e64 v56, v56, v61, s[6:7]
	v_cndmask_b32_e64 v55, v55, v60, s[6:7]
.LBB90_277:
	s_or_b64 exec, exec, s[10:11]
	v_mov_b32_e32 v60, 0
	ds_read_b64 v[60:61], v60 offset:24
	s_waitcnt lgkmcnt(0)
	v_mul_f64 v[55:56], v[55:56], v[60:61]
	buffer_store_dword v56, off, s[0:3], 0 offset:28
	buffer_store_dword v55, off, s[0:3], 0 offset:24
.LBB90_278:
	s_or_b64 exec, exec, s[8:9]
	buffer_load_dword v55, off, s[0:3], 0 offset:32
	buffer_load_dword v56, off, s[0:3], 0 offset:36
	v_cmp_gt_u32_e32 vcc, 4, v0
	s_waitcnt vmcnt(0)
	ds_write_b64 v58, v[55:56]
	s_waitcnt lgkmcnt(0)
	; wave barrier
	s_and_saveexec_b64 s[6:7], vcc
	s_cbranch_execz .LBB90_288
; %bb.279:
	s_and_b64 vcc, exec, s[4:5]
	s_cbranch_vccnz .LBB90_281
; %bb.280:
	buffer_load_dword v55, v59, s[0:3], 0 offen
	buffer_load_dword v56, v59, s[0:3], 0 offen offset:4
	ds_read_b64 v[60:61], v58
	s_waitcnt vmcnt(0) lgkmcnt(0)
	v_mul_f64 v[55:56], v[55:56], v[60:61]
	s_cbranch_execz .LBB90_282
	s_branch .LBB90_283
.LBB90_281:
                                        ; implicit-def: $vgpr55_vgpr56
.LBB90_282:
	ds_read_b64 v[55:56], v58
.LBB90_283:
	v_cmp_ne_u32_e32 vcc, 3, v0
	s_and_saveexec_b64 s[8:9], vcc
	s_cbranch_execz .LBB90_287
; %bb.284:
	s_mov_b32 s10, 0
	v_add_u32_e32 v60, 0xe8, v57
	v_add3_u32 v61, v57, s10, 8
	s_mov_b64 s[10:11], 0
	v_mov_b32_e32 v62, v0
.LBB90_285:                             ; =>This Inner Loop Header: Depth=1
	buffer_load_dword v63, v61, s[0:3], 0 offen
	buffer_load_dword v64, v61, s[0:3], 0 offen offset:4
	ds_read_b64 v[65:66], v60
	v_add_u32_e32 v62, 1, v62
	v_cmp_lt_u32_e32 vcc, 2, v62
	v_add_u32_e32 v60, 8, v60
	s_or_b64 s[10:11], vcc, s[10:11]
	v_add_u32_e32 v61, 8, v61
	s_waitcnt vmcnt(0) lgkmcnt(0)
	v_fma_f64 v[55:56], v[63:64], v[65:66], v[55:56]
	s_andn2_b64 exec, exec, s[10:11]
	s_cbranch_execnz .LBB90_285
; %bb.286:
	s_or_b64 exec, exec, s[10:11]
.LBB90_287:
	s_or_b64 exec, exec, s[8:9]
	v_mov_b32_e32 v60, 0
	ds_read_b64 v[60:61], v60 offset:32
	s_waitcnt lgkmcnt(0)
	v_mul_f64 v[55:56], v[55:56], v[60:61]
	buffer_store_dword v56, off, s[0:3], 0 offset:36
	buffer_store_dword v55, off, s[0:3], 0 offset:32
.LBB90_288:
	s_or_b64 exec, exec, s[6:7]
	buffer_load_dword v55, off, s[0:3], 0 offset:40
	buffer_load_dword v56, off, s[0:3], 0 offset:44
	v_cmp_gt_u32_e32 vcc, 5, v0
	s_waitcnt vmcnt(0)
	ds_write_b64 v58, v[55:56]
	s_waitcnt lgkmcnt(0)
	; wave barrier
	s_and_saveexec_b64 s[6:7], vcc
	s_cbranch_execz .LBB90_298
; %bb.289:
	s_and_b64 vcc, exec, s[4:5]
	s_cbranch_vccnz .LBB90_291
; %bb.290:
	buffer_load_dword v55, v59, s[0:3], 0 offen
	buffer_load_dword v56, v59, s[0:3], 0 offen offset:4
	ds_read_b64 v[60:61], v58
	s_waitcnt vmcnt(0) lgkmcnt(0)
	v_mul_f64 v[55:56], v[55:56], v[60:61]
	s_cbranch_execz .LBB90_292
	s_branch .LBB90_293
.LBB90_291:
                                        ; implicit-def: $vgpr55_vgpr56
.LBB90_292:
	ds_read_b64 v[55:56], v58
.LBB90_293:
	v_cmp_ne_u32_e32 vcc, 4, v0
	s_and_saveexec_b64 s[8:9], vcc
	s_cbranch_execz .LBB90_297
; %bb.294:
	s_mov_b32 s10, 0
	v_add_u32_e32 v60, 0xe8, v57
	v_add3_u32 v61, v57, s10, 8
	s_mov_b64 s[10:11], 0
	v_mov_b32_e32 v62, v0
.LBB90_295:                             ; =>This Inner Loop Header: Depth=1
	buffer_load_dword v63, v61, s[0:3], 0 offen
	buffer_load_dword v64, v61, s[0:3], 0 offen offset:4
	ds_read_b64 v[65:66], v60
	v_add_u32_e32 v62, 1, v62
	v_cmp_lt_u32_e32 vcc, 3, v62
	v_add_u32_e32 v60, 8, v60
	s_or_b64 s[10:11], vcc, s[10:11]
	v_add_u32_e32 v61, 8, v61
	s_waitcnt vmcnt(0) lgkmcnt(0)
	v_fma_f64 v[55:56], v[63:64], v[65:66], v[55:56]
	s_andn2_b64 exec, exec, s[10:11]
	s_cbranch_execnz .LBB90_295
; %bb.296:
	s_or_b64 exec, exec, s[10:11]
.LBB90_297:
	s_or_b64 exec, exec, s[8:9]
	v_mov_b32_e32 v60, 0
	ds_read_b64 v[60:61], v60 offset:40
	s_waitcnt lgkmcnt(0)
	v_mul_f64 v[55:56], v[55:56], v[60:61]
	buffer_store_dword v56, off, s[0:3], 0 offset:44
	buffer_store_dword v55, off, s[0:3], 0 offset:40
.LBB90_298:
	;; [unrolled: 59-line block ×21, first 2 shown]
	s_or_b64 exec, exec, s[6:7]
	buffer_load_dword v55, off, s[0:3], 0 offset:200
	buffer_load_dword v56, off, s[0:3], 0 offset:204
	v_cmp_gt_u32_e64 s[6:7], 25, v0
	s_waitcnt vmcnt(0)
	ds_write_b64 v58, v[55:56]
	s_waitcnt lgkmcnt(0)
	; wave barrier
	s_and_saveexec_b64 s[8:9], s[6:7]
	s_cbranch_execz .LBB90_498
; %bb.489:
	s_and_b64 vcc, exec, s[4:5]
	s_cbranch_vccnz .LBB90_491
; %bb.490:
	buffer_load_dword v55, v59, s[0:3], 0 offen
	buffer_load_dword v56, v59, s[0:3], 0 offen offset:4
	ds_read_b64 v[60:61], v58
	s_waitcnt vmcnt(0) lgkmcnt(0)
	v_mul_f64 v[55:56], v[55:56], v[60:61]
	s_cbranch_execz .LBB90_492
	s_branch .LBB90_493
.LBB90_491:
                                        ; implicit-def: $vgpr55_vgpr56
.LBB90_492:
	ds_read_b64 v[55:56], v58
.LBB90_493:
	v_cmp_ne_u32_e32 vcc, 24, v0
	s_and_saveexec_b64 s[10:11], vcc
	s_cbranch_execz .LBB90_497
; %bb.494:
	s_mov_b32 s12, 0
	v_add_u32_e32 v60, 0xe8, v57
	v_add3_u32 v61, v57, s12, 8
	s_mov_b64 s[12:13], 0
	v_mov_b32_e32 v62, v0
.LBB90_495:                             ; =>This Inner Loop Header: Depth=1
	buffer_load_dword v63, v61, s[0:3], 0 offen
	buffer_load_dword v64, v61, s[0:3], 0 offen offset:4
	ds_read_b64 v[65:66], v60
	v_add_u32_e32 v62, 1, v62
	v_cmp_lt_u32_e32 vcc, 23, v62
	v_add_u32_e32 v60, 8, v60
	s_or_b64 s[12:13], vcc, s[12:13]
	v_add_u32_e32 v61, 8, v61
	s_waitcnt vmcnt(0) lgkmcnt(0)
	v_fma_f64 v[55:56], v[63:64], v[65:66], v[55:56]
	s_andn2_b64 exec, exec, s[12:13]
	s_cbranch_execnz .LBB90_495
; %bb.496:
	s_or_b64 exec, exec, s[12:13]
.LBB90_497:
	s_or_b64 exec, exec, s[10:11]
	v_mov_b32_e32 v60, 0
	ds_read_b64 v[60:61], v60 offset:200
	s_waitcnt lgkmcnt(0)
	v_mul_f64 v[55:56], v[55:56], v[60:61]
	buffer_store_dword v56, off, s[0:3], 0 offset:204
	buffer_store_dword v55, off, s[0:3], 0 offset:200
.LBB90_498:
	s_or_b64 exec, exec, s[8:9]
	buffer_load_dword v55, off, s[0:3], 0 offset:208
	buffer_load_dword v56, off, s[0:3], 0 offset:212
	v_cmp_ne_u32_e32 vcc, 26, v0
	s_waitcnt vmcnt(0)
	ds_write_b64 v58, v[55:56]
	s_waitcnt lgkmcnt(0)
	; wave barrier
	s_and_saveexec_b64 s[8:9], vcc
	s_cbranch_execz .LBB90_508
; %bb.499:
	s_and_b64 vcc, exec, s[4:5]
	s_cbranch_vccnz .LBB90_501
; %bb.500:
	buffer_load_dword v55, v59, s[0:3], 0 offen
	buffer_load_dword v56, v59, s[0:3], 0 offen offset:4
	ds_read_b64 v[59:60], v58
	s_waitcnt vmcnt(0) lgkmcnt(0)
	v_mul_f64 v[55:56], v[55:56], v[59:60]
	s_cbranch_execz .LBB90_502
	s_branch .LBB90_503
.LBB90_501:
                                        ; implicit-def: $vgpr55_vgpr56
.LBB90_502:
	ds_read_b64 v[55:56], v58
.LBB90_503:
	s_and_saveexec_b64 s[4:5], s[6:7]
	s_cbranch_execz .LBB90_507
; %bb.504:
	s_mov_b32 s6, 0
	v_add_u32_e32 v58, 0xe8, v57
	v_add3_u32 v57, v57, s6, 8
	s_mov_b64 s[6:7], 0
.LBB90_505:                             ; =>This Inner Loop Header: Depth=1
	buffer_load_dword v59, v57, s[0:3], 0 offen
	buffer_load_dword v60, v57, s[0:3], 0 offen offset:4
	ds_read_b64 v[61:62], v58
	v_add_u32_e32 v0, 1, v0
	v_cmp_lt_u32_e32 vcc, 24, v0
	v_add_u32_e32 v58, 8, v58
	s_or_b64 s[6:7], vcc, s[6:7]
	v_add_u32_e32 v57, 8, v57
	s_waitcnt vmcnt(0) lgkmcnt(0)
	v_fma_f64 v[55:56], v[59:60], v[61:62], v[55:56]
	s_andn2_b64 exec, exec, s[6:7]
	s_cbranch_execnz .LBB90_505
; %bb.506:
	s_or_b64 exec, exec, s[6:7]
.LBB90_507:
	s_or_b64 exec, exec, s[4:5]
	v_mov_b32_e32 v0, 0
	ds_read_b64 v[57:58], v0 offset:208
	s_waitcnt lgkmcnt(0)
	v_mul_f64 v[55:56], v[55:56], v[57:58]
	buffer_store_dword v56, off, s[0:3], 0 offset:212
	buffer_store_dword v55, off, s[0:3], 0 offset:208
.LBB90_508:
	s_or_b64 exec, exec, s[8:9]
.LBB90_509:
	buffer_load_dword v55, off, s[0:3], 0
	buffer_load_dword v56, off, s[0:3], 0 offset:4
	s_waitcnt vmcnt(0)
	flat_store_dwordx2 v[1:2], v[55:56]
	buffer_load_dword v0, off, s[0:3], 0 offset:8
	s_nop 0
	buffer_load_dword v1, off, s[0:3], 0 offset:12
	s_waitcnt vmcnt(0)
	flat_store_dwordx2 v[3:4], v[0:1]
	buffer_load_dword v0, off, s[0:3], 0 offset:16
	s_nop 0
	;; [unrolled: 5-line block ×26, first 2 shown]
	buffer_load_dword v1, off, s[0:3], 0 offset:212
	s_waitcnt vmcnt(0)
	flat_store_dwordx2 v[53:54], v[0:1]
.LBB90_510:
	s_endpgm
	.section	.rodata,"a",@progbits
	.p2align	6, 0x0
	.amdhsa_kernel _ZN9rocsolver6v33100L18trti2_kernel_smallILi27EdPKPdEEv13rocblas_fill_17rocblas_diagonal_T1_iil
		.amdhsa_group_segment_fixed_size 440
		.amdhsa_private_segment_fixed_size 224
		.amdhsa_kernarg_size 32
		.amdhsa_user_sgpr_count 6
		.amdhsa_user_sgpr_private_segment_buffer 1
		.amdhsa_user_sgpr_dispatch_ptr 0
		.amdhsa_user_sgpr_queue_ptr 0
		.amdhsa_user_sgpr_kernarg_segment_ptr 1
		.amdhsa_user_sgpr_dispatch_id 0
		.amdhsa_user_sgpr_flat_scratch_init 0
		.amdhsa_user_sgpr_private_segment_size 0
		.amdhsa_uses_dynamic_stack 0
		.amdhsa_system_sgpr_private_segment_wavefront_offset 1
		.amdhsa_system_sgpr_workgroup_id_x 1
		.amdhsa_system_sgpr_workgroup_id_y 0
		.amdhsa_system_sgpr_workgroup_id_z 0
		.amdhsa_system_sgpr_workgroup_info 0
		.amdhsa_system_vgpr_workitem_id 0
		.amdhsa_next_free_vgpr 68
		.amdhsa_next_free_sgpr 40
		.amdhsa_reserve_vcc 1
		.amdhsa_reserve_flat_scratch 0
		.amdhsa_float_round_mode_32 0
		.amdhsa_float_round_mode_16_64 0
		.amdhsa_float_denorm_mode_32 3
		.amdhsa_float_denorm_mode_16_64 3
		.amdhsa_dx10_clamp 1
		.amdhsa_ieee_mode 1
		.amdhsa_fp16_overflow 0
		.amdhsa_exception_fp_ieee_invalid_op 0
		.amdhsa_exception_fp_denorm_src 0
		.amdhsa_exception_fp_ieee_div_zero 0
		.amdhsa_exception_fp_ieee_overflow 0
		.amdhsa_exception_fp_ieee_underflow 0
		.amdhsa_exception_fp_ieee_inexact 0
		.amdhsa_exception_int_div_zero 0
	.end_amdhsa_kernel
	.section	.text._ZN9rocsolver6v33100L18trti2_kernel_smallILi27EdPKPdEEv13rocblas_fill_17rocblas_diagonal_T1_iil,"axG",@progbits,_ZN9rocsolver6v33100L18trti2_kernel_smallILi27EdPKPdEEv13rocblas_fill_17rocblas_diagonal_T1_iil,comdat
.Lfunc_end90:
	.size	_ZN9rocsolver6v33100L18trti2_kernel_smallILi27EdPKPdEEv13rocblas_fill_17rocblas_diagonal_T1_iil, .Lfunc_end90-_ZN9rocsolver6v33100L18trti2_kernel_smallILi27EdPKPdEEv13rocblas_fill_17rocblas_diagonal_T1_iil
                                        ; -- End function
	.set _ZN9rocsolver6v33100L18trti2_kernel_smallILi27EdPKPdEEv13rocblas_fill_17rocblas_diagonal_T1_iil.num_vgpr, 68
	.set _ZN9rocsolver6v33100L18trti2_kernel_smallILi27EdPKPdEEv13rocblas_fill_17rocblas_diagonal_T1_iil.num_agpr, 0
	.set _ZN9rocsolver6v33100L18trti2_kernel_smallILi27EdPKPdEEv13rocblas_fill_17rocblas_diagonal_T1_iil.numbered_sgpr, 40
	.set _ZN9rocsolver6v33100L18trti2_kernel_smallILi27EdPKPdEEv13rocblas_fill_17rocblas_diagonal_T1_iil.num_named_barrier, 0
	.set _ZN9rocsolver6v33100L18trti2_kernel_smallILi27EdPKPdEEv13rocblas_fill_17rocblas_diagonal_T1_iil.private_seg_size, 224
	.set _ZN9rocsolver6v33100L18trti2_kernel_smallILi27EdPKPdEEv13rocblas_fill_17rocblas_diagonal_T1_iil.uses_vcc, 1
	.set _ZN9rocsolver6v33100L18trti2_kernel_smallILi27EdPKPdEEv13rocblas_fill_17rocblas_diagonal_T1_iil.uses_flat_scratch, 0
	.set _ZN9rocsolver6v33100L18trti2_kernel_smallILi27EdPKPdEEv13rocblas_fill_17rocblas_diagonal_T1_iil.has_dyn_sized_stack, 0
	.set _ZN9rocsolver6v33100L18trti2_kernel_smallILi27EdPKPdEEv13rocblas_fill_17rocblas_diagonal_T1_iil.has_recursion, 0
	.set _ZN9rocsolver6v33100L18trti2_kernel_smallILi27EdPKPdEEv13rocblas_fill_17rocblas_diagonal_T1_iil.has_indirect_call, 0
	.section	.AMDGPU.csdata,"",@progbits
; Kernel info:
; codeLenInByte = 15740
; TotalNumSgprs: 44
; NumVgprs: 68
; ScratchSize: 224
; MemoryBound: 0
; FloatMode: 240
; IeeeMode: 1
; LDSByteSize: 440 bytes/workgroup (compile time only)
; SGPRBlocks: 5
; VGPRBlocks: 16
; NumSGPRsForWavesPerEU: 44
; NumVGPRsForWavesPerEU: 68
; Occupancy: 3
; WaveLimiterHint : 1
; COMPUTE_PGM_RSRC2:SCRATCH_EN: 1
; COMPUTE_PGM_RSRC2:USER_SGPR: 6
; COMPUTE_PGM_RSRC2:TRAP_HANDLER: 0
; COMPUTE_PGM_RSRC2:TGID_X_EN: 1
; COMPUTE_PGM_RSRC2:TGID_Y_EN: 0
; COMPUTE_PGM_RSRC2:TGID_Z_EN: 0
; COMPUTE_PGM_RSRC2:TIDIG_COMP_CNT: 0
	.section	.text._ZN9rocsolver6v33100L18trti2_kernel_smallILi28EdPKPdEEv13rocblas_fill_17rocblas_diagonal_T1_iil,"axG",@progbits,_ZN9rocsolver6v33100L18trti2_kernel_smallILi28EdPKPdEEv13rocblas_fill_17rocblas_diagonal_T1_iil,comdat
	.globl	_ZN9rocsolver6v33100L18trti2_kernel_smallILi28EdPKPdEEv13rocblas_fill_17rocblas_diagonal_T1_iil ; -- Begin function _ZN9rocsolver6v33100L18trti2_kernel_smallILi28EdPKPdEEv13rocblas_fill_17rocblas_diagonal_T1_iil
	.p2align	8
	.type	_ZN9rocsolver6v33100L18trti2_kernel_smallILi28EdPKPdEEv13rocblas_fill_17rocblas_diagonal_T1_iil,@function
_ZN9rocsolver6v33100L18trti2_kernel_smallILi28EdPKPdEEv13rocblas_fill_17rocblas_diagonal_T1_iil: ; @_ZN9rocsolver6v33100L18trti2_kernel_smallILi28EdPKPdEEv13rocblas_fill_17rocblas_diagonal_T1_iil
; %bb.0:
	s_add_u32 s0, s0, s7
	s_addc_u32 s1, s1, 0
	v_cmp_gt_u32_e32 vcc, 28, v0
	s_and_saveexec_b64 s[8:9], vcc
	s_cbranch_execz .LBB91_530
; %bb.1:
	s_load_dwordx2 s[12:13], s[4:5], 0x10
	s_load_dwordx4 s[8:11], s[4:5], 0x0
	s_ashr_i32 s7, s6, 31
	s_lshl_b64 s[6:7], s[6:7], 3
	v_lshlrev_b32_e32 v59, 3, v0
	s_waitcnt lgkmcnt(0)
	s_ashr_i32 s5, s12, 31
	s_add_u32 s6, s10, s6
	s_addc_u32 s7, s11, s7
	s_load_dwordx2 s[6:7], s[6:7], 0x0
	s_mov_b32 s4, s12
	s_lshl_b64 s[4:5], s[4:5], 3
	s_waitcnt lgkmcnt(0)
	s_add_u32 s4, s6, s4
	s_addc_u32 s5, s7, s5
	v_mov_b32_e32 v2, s5
	v_add_co_u32_e32 v1, vcc, s4, v59
	v_addc_co_u32_e32 v2, vcc, 0, v2, vcc
	flat_load_dwordx2 v[5:6], v[1:2]
	s_mov_b32 s6, s13
	s_ashr_i32 s7, s13, 31
	s_lshl_b64 s[6:7], s[6:7], 3
	v_mov_b32_e32 v4, s7
	v_add_co_u32_e32 v3, vcc, s6, v1
	v_addc_co_u32_e32 v4, vcc, v2, v4, vcc
	s_add_i32 s6, s13, s13
	v_add_u32_e32 v9, s6, v0
	v_ashrrev_i32_e32 v10, 31, v9
	v_mov_b32_e32 v11, s5
	v_add_u32_e32 v12, s13, v9
	v_ashrrev_i32_e32 v13, 31, v12
	v_mov_b32_e32 v14, s5
	v_mov_b32_e32 v15, s5
	;; [unrolled: 1-line block ×24, first 2 shown]
	s_cmpk_lg_i32 s9, 0x84
	s_cselect_b64 s[10:11], -1, 0
	s_cmpk_eq_i32 s9, 0x84
	s_waitcnt vmcnt(0) lgkmcnt(0)
	buffer_store_dword v6, off, s[0:3], 0 offset:4
	buffer_store_dword v5, off, s[0:3], 0
	flat_load_dwordx2 v[7:8], v[3:4]
	v_lshlrev_b64 v[5:6], 3, v[9:10]
	s_waitcnt vmcnt(0) lgkmcnt(0)
	buffer_store_dword v8, off, s[0:3], 0 offset:12
	buffer_store_dword v7, off, s[0:3], 0 offset:8
	v_add_co_u32_e32 v5, vcc, s4, v5
	v_addc_co_u32_e32 v6, vcc, v11, v6, vcc
	flat_load_dwordx2 v[10:11], v[5:6]
	v_lshlrev_b64 v[7:8], 3, v[12:13]
	s_waitcnt vmcnt(0) lgkmcnt(0)
	buffer_store_dword v11, off, s[0:3], 0 offset:20
	buffer_store_dword v10, off, s[0:3], 0 offset:16
	v_add_co_u32_e32 v7, vcc, s4, v7
	v_addc_co_u32_e32 v8, vcc, v14, v8, vcc
	flat_load_dwordx2 v[13:14], v[7:8]
	v_add_u32_e32 v11, s13, v12
	v_ashrrev_i32_e32 v12, 31, v11
	v_lshlrev_b64 v[9:10], 3, v[11:12]
	s_waitcnt vmcnt(0) lgkmcnt(0)
	buffer_store_dword v14, off, s[0:3], 0 offset:28
	buffer_store_dword v13, off, s[0:3], 0 offset:24
	v_add_co_u32_e32 v9, vcc, s4, v9
	v_addc_co_u32_e32 v10, vcc, v15, v10, vcc
	flat_load_dwordx2 v[13:14], v[9:10]
	v_add_u32_e32 v15, s13, v11
	v_ashrrev_i32_e32 v16, 31, v15
	v_lshlrev_b64 v[11:12], 3, v[15:16]
	v_add_u32_e32 v18, s13, v15
	v_add_co_u32_e32 v11, vcc, s4, v11
	v_addc_co_u32_e32 v12, vcc, v17, v12, vcc
	v_ashrrev_i32_e32 v19, 31, v18
	s_waitcnt vmcnt(0) lgkmcnt(0)
	buffer_store_dword v14, off, s[0:3], 0 offset:36
	buffer_store_dword v13, off, s[0:3], 0 offset:32
	flat_load_dwordx2 v[16:17], v[11:12]
	v_lshlrev_b64 v[13:14], 3, v[18:19]
	s_waitcnt vmcnt(0) lgkmcnt(0)
	buffer_store_dword v17, off, s[0:3], 0 offset:44
	buffer_store_dword v16, off, s[0:3], 0 offset:40
	v_add_co_u32_e32 v13, vcc, s4, v13
	v_addc_co_u32_e32 v14, vcc, v20, v14, vcc
	flat_load_dwordx2 v[19:20], v[13:14]
	v_add_u32_e32 v17, s13, v18
	v_ashrrev_i32_e32 v18, 31, v17
	v_lshlrev_b64 v[15:16], 3, v[17:18]
	s_waitcnt vmcnt(0) lgkmcnt(0)
	buffer_store_dword v20, off, s[0:3], 0 offset:52
	buffer_store_dword v19, off, s[0:3], 0 offset:48
	v_add_co_u32_e32 v15, vcc, s4, v15
	v_addc_co_u32_e32 v16, vcc, v21, v16, vcc
	flat_load_dwordx2 v[19:20], v[15:16]
	v_add_u32_e32 v21, s13, v17
	v_ashrrev_i32_e32 v22, 31, v21
	v_lshlrev_b64 v[17:18], 3, v[21:22]
	v_add_u32_e32 v24, s13, v21
	v_add_co_u32_e32 v17, vcc, s4, v17
	v_addc_co_u32_e32 v18, vcc, v23, v18, vcc
	v_ashrrev_i32_e32 v25, 31, v24
	s_waitcnt vmcnt(0) lgkmcnt(0)
	buffer_store_dword v20, off, s[0:3], 0 offset:60
	buffer_store_dword v19, off, s[0:3], 0 offset:56
	;; [unrolled: 27-line block ×7, first 2 shown]
	flat_load_dwordx2 v[52:53], v[47:48]
	v_lshlrev_b64 v[49:50], 3, v[54:55]
	s_waitcnt vmcnt(0) lgkmcnt(0)
	buffer_store_dword v53, off, s[0:3], 0 offset:188
	buffer_store_dword v52, off, s[0:3], 0 offset:184
	v_add_co_u32_e32 v49, vcc, s4, v49
	v_addc_co_u32_e32 v50, vcc, v56, v50, vcc
	flat_load_dwordx2 v[55:56], v[49:50]
	v_add_u32_e32 v53, s13, v54
	v_ashrrev_i32_e32 v54, 31, v53
	v_lshlrev_b64 v[51:52], 3, v[53:54]
	s_waitcnt vmcnt(0) lgkmcnt(0)
	buffer_store_dword v56, off, s[0:3], 0 offset:196
	buffer_store_dword v55, off, s[0:3], 0 offset:192
	v_add_co_u32_e32 v51, vcc, s4, v51
	v_addc_co_u32_e32 v52, vcc, v57, v52, vcc
	flat_load_dwordx2 v[55:56], v[51:52]
	v_add_u32_e32 v57, s13, v53
	v_ashrrev_i32_e32 v58, 31, v57
	v_lshlrev_b64 v[53:54], 3, v[57:58]
	v_mov_b32_e32 v58, s5
	v_add_co_u32_e32 v53, vcc, s4, v53
	v_addc_co_u32_e32 v54, vcc, v60, v54, vcc
	s_waitcnt vmcnt(0) lgkmcnt(0)
	buffer_store_dword v56, off, s[0:3], 0 offset:204
	buffer_store_dword v55, off, s[0:3], 0 offset:200
	flat_load_dwordx2 v[60:61], v[53:54]
	v_add_u32_e32 v55, s13, v57
	v_ashrrev_i32_e32 v56, 31, v55
	v_lshlrev_b64 v[55:56], 3, v[55:56]
	s_waitcnt vmcnt(0) lgkmcnt(0)
	buffer_store_dword v61, off, s[0:3], 0 offset:212
	buffer_store_dword v60, off, s[0:3], 0 offset:208
	v_add_co_u32_e32 v55, vcc, s4, v55
	v_addc_co_u32_e32 v56, vcc, v58, v56, vcc
	flat_load_dwordx2 v[60:61], v[55:56]
	v_mov_b32_e32 v57, 0
	v_mov_b32_e32 v58, 0xbff00000
	s_waitcnt vmcnt(0) lgkmcnt(0)
	buffer_store_dword v61, off, s[0:3], 0 offset:220
	buffer_store_dword v60, off, s[0:3], 0 offset:216
	s_cbranch_scc1 .LBB91_3
; %bb.2:
	v_mov_b32_e32 v57, 0
	v_lshl_add_u32 v68, v0, 3, v57
	buffer_load_dword v57, v68, s[0:3], 0 offen
	buffer_load_dword v58, v68, s[0:3], 0 offen offset:4
	s_waitcnt vmcnt(0)
	v_div_scale_f64 v[60:61], s[4:5], v[57:58], v[57:58], 1.0
	v_rcp_f64_e32 v[62:63], v[60:61]
	v_fma_f64 v[64:65], -v[60:61], v[62:63], 1.0
	v_fma_f64 v[62:63], v[62:63], v[64:65], v[62:63]
	v_div_scale_f64 v[64:65], vcc, 1.0, v[57:58], 1.0
	v_fma_f64 v[66:67], -v[60:61], v[62:63], 1.0
	v_fma_f64 v[62:63], v[62:63], v[66:67], v[62:63]
	v_mul_f64 v[66:67], v[64:65], v[62:63]
	v_fma_f64 v[60:61], -v[60:61], v[66:67], v[64:65]
	v_div_fmas_f64 v[60:61], v[60:61], v[62:63], v[66:67]
	v_div_fixup_f64 v[57:58], v[60:61], v[57:58], 1.0
	buffer_store_dword v57, v68, s[0:3], 0 offen
	buffer_store_dword v58, v68, s[0:3], 0 offen offset:4
	v_xor_b32_e32 v58, 0x80000000, v58
.LBB91_3:
	s_cmpk_eq_i32 s8, 0x79
	v_add_u32_e32 v60, 0xe0, v59
	v_mov_b32_e32 v61, v59
	s_mov_b64 s[4:5], -1
	ds_write_b64 v59, v[57:58]
	s_cbranch_scc1 .LBB91_267
; %bb.4:
	buffer_load_dword v57, off, s[0:3], 0 offset:208
	buffer_load_dword v58, off, s[0:3], 0 offset:212
	s_movk_i32 s12, 0x48
	s_movk_i32 s13, 0x50
	;; [unrolled: 1-line block ×17, first 2 shown]
	v_cmp_eq_u32_e64 s[4:5], 27, v0
	s_waitcnt vmcnt(0)
	ds_write_b64 v60, v[57:58]
	s_waitcnt lgkmcnt(0)
	; wave barrier
	s_and_saveexec_b64 s[6:7], s[4:5]
	s_cbranch_execz .LBB91_10
; %bb.5:
	s_and_b64 vcc, exec, s[10:11]
	s_cbranch_vccz .LBB91_7
; %bb.6:
	buffer_load_dword v57, v61, s[0:3], 0 offen
	buffer_load_dword v58, v61, s[0:3], 0 offen offset:4
	ds_read_b64 v[62:63], v60
	s_waitcnt vmcnt(0) lgkmcnt(0)
	v_mul_f64 v[57:58], v[57:58], v[62:63]
	s_cbranch_execz .LBB91_8
	s_branch .LBB91_9
.LBB91_7:
                                        ; implicit-def: $vgpr57_vgpr58
.LBB91_8:
	ds_read_b64 v[57:58], v60
.LBB91_9:
	v_mov_b32_e32 v62, 0
	ds_read_b64 v[62:63], v62 offset:208
	s_waitcnt lgkmcnt(0)
	v_mul_f64 v[57:58], v[57:58], v[62:63]
	buffer_store_dword v58, off, s[0:3], 0 offset:212
	buffer_store_dword v57, off, s[0:3], 0 offset:208
.LBB91_10:
	s_or_b64 exec, exec, s[6:7]
	buffer_load_dword v57, off, s[0:3], 0 offset:200
	buffer_load_dword v58, off, s[0:3], 0 offset:204
	s_or_b32 s14, 0, 8
	s_mov_b32 s15, 16
	s_mov_b32 s16, 24
	;; [unrolled: 1-line block ×9, first 2 shown]
	v_cmp_lt_u32_e64 s[6:7], 25, v0
	s_waitcnt vmcnt(0)
	ds_write_b64 v60, v[57:58]
	s_waitcnt lgkmcnt(0)
	; wave barrier
	s_and_saveexec_b64 s[8:9], s[6:7]
	s_cbranch_execz .LBB91_16
; %bb.11:
	s_andn2_b64 vcc, exec, s[10:11]
	s_cbranch_vccnz .LBB91_13
; %bb.12:
	buffer_load_dword v57, v61, s[0:3], 0 offen
	buffer_load_dword v58, v61, s[0:3], 0 offen offset:4
	ds_read_b64 v[62:63], v60
	s_waitcnt vmcnt(0) lgkmcnt(0)
	v_mul_f64 v[57:58], v[57:58], v[62:63]
	s_cbranch_execz .LBB91_14
	s_branch .LBB91_15
.LBB91_13:
                                        ; implicit-def: $vgpr57_vgpr58
.LBB91_14:
	ds_read_b64 v[57:58], v60
.LBB91_15:
	buffer_load_dword v66, off, s[0:3], 0 offset:208
	buffer_load_dword v67, off, s[0:3], 0 offset:212
	v_mov_b32_e32 v62, 0
	ds_read2_b64 v[62:65], v62 offset0:25 offset1:54
	s_waitcnt vmcnt(0) lgkmcnt(0)
	v_fma_f64 v[64:65], v[66:67], v[64:65], v[57:58]
	v_cndmask_b32_e64 v58, v58, v65, s[4:5]
	v_cndmask_b32_e64 v57, v57, v64, s[4:5]
	v_mul_f64 v[57:58], v[57:58], v[62:63]
	buffer_store_dword v58, off, s[0:3], 0 offset:204
	buffer_store_dword v57, off, s[0:3], 0 offset:200
.LBB91_16:
	s_or_b64 exec, exec, s[8:9]
	buffer_load_dword v57, off, s[0:3], 0 offset:192
	buffer_load_dword v58, off, s[0:3], 0 offset:196
	v_cmp_lt_u32_e64 s[4:5], 24, v0
	s_waitcnt vmcnt(0)
	ds_write_b64 v60, v[57:58]
	s_waitcnt lgkmcnt(0)
	; wave barrier
	s_and_saveexec_b64 s[8:9], s[4:5]
	s_cbranch_execz .LBB91_26
; %bb.17:
	s_andn2_b64 vcc, exec, s[10:11]
	s_cbranch_vccnz .LBB91_19
; %bb.18:
	buffer_load_dword v57, v61, s[0:3], 0 offen
	buffer_load_dword v58, v61, s[0:3], 0 offen offset:4
	ds_read_b64 v[62:63], v60
	s_waitcnt vmcnt(0) lgkmcnt(0)
	v_mul_f64 v[57:58], v[57:58], v[62:63]
	s_cbranch_execz .LBB91_20
	s_branch .LBB91_21
.LBB91_19:
                                        ; implicit-def: $vgpr57_vgpr58
.LBB91_20:
	ds_read_b64 v[57:58], v60
.LBB91_21:
	s_and_saveexec_b64 s[12:13], s[6:7]
	s_cbranch_execz .LBB91_25
; %bb.22:
	v_subrev_u32_e32 v62, 25, v0
	s_movk_i32 s40, 0x1a8
	s_mov_b64 s[6:7], 0
.LBB91_23:                              ; =>This Inner Loop Header: Depth=1
	v_mov_b32_e32 v65, s39
	buffer_load_dword v63, v65, s[0:3], 0 offen
	buffer_load_dword v64, v65, s[0:3], 0 offen offset:4
	v_mov_b32_e32 v65, s40
	ds_read_b64 v[65:66], v65
	v_add_u32_e32 v62, -1, v62
	s_add_i32 s40, s40, 8
	s_add_i32 s39, s39, 8
	v_cmp_eq_u32_e32 vcc, 0, v62
	s_or_b64 s[6:7], vcc, s[6:7]
	s_waitcnt vmcnt(0) lgkmcnt(0)
	v_fma_f64 v[57:58], v[63:64], v[65:66], v[57:58]
	s_andn2_b64 exec, exec, s[6:7]
	s_cbranch_execnz .LBB91_23
; %bb.24:
	s_or_b64 exec, exec, s[6:7]
.LBB91_25:
	s_or_b64 exec, exec, s[12:13]
	v_mov_b32_e32 v62, 0
	ds_read_b64 v[62:63], v62 offset:192
	s_waitcnt lgkmcnt(0)
	v_mul_f64 v[57:58], v[57:58], v[62:63]
	buffer_store_dword v58, off, s[0:3], 0 offset:196
	buffer_store_dword v57, off, s[0:3], 0 offset:192
.LBB91_26:
	s_or_b64 exec, exec, s[8:9]
	buffer_load_dword v57, off, s[0:3], 0 offset:184
	buffer_load_dword v58, off, s[0:3], 0 offset:188
	v_cmp_lt_u32_e64 s[6:7], 23, v0
	s_waitcnt vmcnt(0)
	ds_write_b64 v60, v[57:58]
	s_waitcnt lgkmcnt(0)
	; wave barrier
	s_and_saveexec_b64 s[8:9], s[6:7]
	s_cbranch_execz .LBB91_36
; %bb.27:
	s_andn2_b64 vcc, exec, s[10:11]
	s_cbranch_vccnz .LBB91_29
; %bb.28:
	buffer_load_dword v57, v61, s[0:3], 0 offen
	buffer_load_dword v58, v61, s[0:3], 0 offen offset:4
	ds_read_b64 v[62:63], v60
	s_waitcnt vmcnt(0) lgkmcnt(0)
	v_mul_f64 v[57:58], v[57:58], v[62:63]
	s_cbranch_execz .LBB91_30
	s_branch .LBB91_31
.LBB91_29:
                                        ; implicit-def: $vgpr57_vgpr58
.LBB91_30:
	ds_read_b64 v[57:58], v60
.LBB91_31:
	s_and_saveexec_b64 s[12:13], s[4:5]
	s_cbranch_execz .LBB91_35
; %bb.32:
	v_subrev_u32_e32 v62, 24, v0
	s_movk_i32 s39, 0x1a0
	s_mov_b64 s[4:5], 0
.LBB91_33:                              ; =>This Inner Loop Header: Depth=1
	v_mov_b32_e32 v65, s38
	buffer_load_dword v63, v65, s[0:3], 0 offen
	buffer_load_dword v64, v65, s[0:3], 0 offen offset:4
	v_mov_b32_e32 v65, s39
	ds_read_b64 v[65:66], v65
	v_add_u32_e32 v62, -1, v62
	s_add_i32 s39, s39, 8
	s_add_i32 s38, s38, 8
	v_cmp_eq_u32_e32 vcc, 0, v62
	s_or_b64 s[4:5], vcc, s[4:5]
	s_waitcnt vmcnt(0) lgkmcnt(0)
	v_fma_f64 v[57:58], v[63:64], v[65:66], v[57:58]
	s_andn2_b64 exec, exec, s[4:5]
	s_cbranch_execnz .LBB91_33
; %bb.34:
	s_or_b64 exec, exec, s[4:5]
.LBB91_35:
	s_or_b64 exec, exec, s[12:13]
	v_mov_b32_e32 v62, 0
	ds_read_b64 v[62:63], v62 offset:184
	s_waitcnt lgkmcnt(0)
	v_mul_f64 v[57:58], v[57:58], v[62:63]
	buffer_store_dword v58, off, s[0:3], 0 offset:188
	buffer_store_dword v57, off, s[0:3], 0 offset:184
.LBB91_36:
	;; [unrolled: 58-line block ×8, first 2 shown]
	s_or_b64 exec, exec, s[8:9]
	buffer_load_dword v57, off, s[0:3], 0 offset:128
	buffer_load_dword v58, off, s[0:3], 0 offset:132
	v_cmp_lt_u32_e64 s[4:5], 16, v0
	s_waitcnt vmcnt(0)
	ds_write_b64 v60, v[57:58]
	s_waitcnt lgkmcnt(0)
	; wave barrier
	s_and_saveexec_b64 s[8:9], s[4:5]
	s_cbranch_execz .LBB91_106
; %bb.97:
	s_andn2_b64 vcc, exec, s[10:11]
	s_cbranch_vccnz .LBB91_99
; %bb.98:
	buffer_load_dword v57, v61, s[0:3], 0 offen
	buffer_load_dword v58, v61, s[0:3], 0 offen offset:4
	ds_read_b64 v[62:63], v60
	s_waitcnt vmcnt(0) lgkmcnt(0)
	v_mul_f64 v[57:58], v[57:58], v[62:63]
	s_cbranch_execz .LBB91_100
	s_branch .LBB91_101
.LBB91_99:
                                        ; implicit-def: $vgpr57_vgpr58
.LBB91_100:
	ds_read_b64 v[57:58], v60
.LBB91_101:
	s_and_saveexec_b64 s[12:13], s[6:7]
	s_cbranch_execz .LBB91_105
; %bb.102:
	v_subrev_u32_e32 v62, 17, v0
	s_movk_i32 s31, 0x168
	s_mov_b64 s[6:7], 0
.LBB91_103:                             ; =>This Inner Loop Header: Depth=1
	v_mov_b32_e32 v65, s30
	buffer_load_dword v63, v65, s[0:3], 0 offen
	buffer_load_dword v64, v65, s[0:3], 0 offen offset:4
	v_mov_b32_e32 v65, s31
	ds_read_b64 v[65:66], v65
	v_add_u32_e32 v62, -1, v62
	s_add_i32 s31, s31, 8
	s_add_i32 s30, s30, 8
	v_cmp_eq_u32_e32 vcc, 0, v62
	s_or_b64 s[6:7], vcc, s[6:7]
	s_waitcnt vmcnt(0) lgkmcnt(0)
	v_fma_f64 v[57:58], v[63:64], v[65:66], v[57:58]
	s_andn2_b64 exec, exec, s[6:7]
	s_cbranch_execnz .LBB91_103
; %bb.104:
	s_or_b64 exec, exec, s[6:7]
.LBB91_105:
	s_or_b64 exec, exec, s[12:13]
	v_mov_b32_e32 v62, 0
	ds_read_b64 v[62:63], v62 offset:128
	s_waitcnt lgkmcnt(0)
	v_mul_f64 v[57:58], v[57:58], v[62:63]
	buffer_store_dword v58, off, s[0:3], 0 offset:132
	buffer_store_dword v57, off, s[0:3], 0 offset:128
.LBB91_106:
	s_or_b64 exec, exec, s[8:9]
	buffer_load_dword v57, off, s[0:3], 0 offset:120
	buffer_load_dword v58, off, s[0:3], 0 offset:124
	v_cmp_lt_u32_e64 s[6:7], 15, v0
	s_waitcnt vmcnt(0)
	ds_write_b64 v60, v[57:58]
	s_waitcnt lgkmcnt(0)
	; wave barrier
	s_and_saveexec_b64 s[8:9], s[6:7]
	s_cbranch_execz .LBB91_116
; %bb.107:
	s_andn2_b64 vcc, exec, s[10:11]
	s_cbranch_vccnz .LBB91_109
; %bb.108:
	buffer_load_dword v57, v61, s[0:3], 0 offen
	buffer_load_dword v58, v61, s[0:3], 0 offen offset:4
	ds_read_b64 v[62:63], v60
	s_waitcnt vmcnt(0) lgkmcnt(0)
	v_mul_f64 v[57:58], v[57:58], v[62:63]
	s_cbranch_execz .LBB91_110
	s_branch .LBB91_111
.LBB91_109:
                                        ; implicit-def: $vgpr57_vgpr58
.LBB91_110:
	ds_read_b64 v[57:58], v60
.LBB91_111:
	s_and_saveexec_b64 s[12:13], s[4:5]
	s_cbranch_execz .LBB91_115
; %bb.112:
	v_add_u32_e32 v62, -16, v0
	s_movk_i32 s30, 0x160
	s_mov_b64 s[4:5], 0
.LBB91_113:                             ; =>This Inner Loop Header: Depth=1
	v_mov_b32_e32 v65, s29
	buffer_load_dword v63, v65, s[0:3], 0 offen
	buffer_load_dword v64, v65, s[0:3], 0 offen offset:4
	v_mov_b32_e32 v65, s30
	ds_read_b64 v[65:66], v65
	v_add_u32_e32 v62, -1, v62
	s_add_i32 s30, s30, 8
	s_add_i32 s29, s29, 8
	v_cmp_eq_u32_e32 vcc, 0, v62
	s_or_b64 s[4:5], vcc, s[4:5]
	s_waitcnt vmcnt(0) lgkmcnt(0)
	v_fma_f64 v[57:58], v[63:64], v[65:66], v[57:58]
	s_andn2_b64 exec, exec, s[4:5]
	s_cbranch_execnz .LBB91_113
; %bb.114:
	s_or_b64 exec, exec, s[4:5]
.LBB91_115:
	s_or_b64 exec, exec, s[12:13]
	v_mov_b32_e32 v62, 0
	ds_read_b64 v[62:63], v62 offset:120
	s_waitcnt lgkmcnt(0)
	v_mul_f64 v[57:58], v[57:58], v[62:63]
	buffer_store_dword v58, off, s[0:3], 0 offset:124
	buffer_store_dword v57, off, s[0:3], 0 offset:120
.LBB91_116:
	s_or_b64 exec, exec, s[8:9]
	buffer_load_dword v57, off, s[0:3], 0 offset:112
	buffer_load_dword v58, off, s[0:3], 0 offset:116
	v_cmp_lt_u32_e64 s[4:5], 14, v0
	s_waitcnt vmcnt(0)
	ds_write_b64 v60, v[57:58]
	s_waitcnt lgkmcnt(0)
	; wave barrier
	s_and_saveexec_b64 s[8:9], s[4:5]
	s_cbranch_execz .LBB91_126
; %bb.117:
	s_andn2_b64 vcc, exec, s[10:11]
	s_cbranch_vccnz .LBB91_119
; %bb.118:
	buffer_load_dword v57, v61, s[0:3], 0 offen
	buffer_load_dword v58, v61, s[0:3], 0 offen offset:4
	ds_read_b64 v[62:63], v60
	s_waitcnt vmcnt(0) lgkmcnt(0)
	v_mul_f64 v[57:58], v[57:58], v[62:63]
	s_cbranch_execz .LBB91_120
	s_branch .LBB91_121
.LBB91_119:
                                        ; implicit-def: $vgpr57_vgpr58
.LBB91_120:
	ds_read_b64 v[57:58], v60
.LBB91_121:
	s_and_saveexec_b64 s[12:13], s[6:7]
	s_cbranch_execz .LBB91_125
; %bb.122:
	v_add_u32_e32 v62, -15, v0
	s_movk_i32 s29, 0x158
	s_mov_b64 s[6:7], 0
.LBB91_123:                             ; =>This Inner Loop Header: Depth=1
	v_mov_b32_e32 v65, s28
	buffer_load_dword v63, v65, s[0:3], 0 offen
	buffer_load_dword v64, v65, s[0:3], 0 offen offset:4
	v_mov_b32_e32 v65, s29
	ds_read_b64 v[65:66], v65
	v_add_u32_e32 v62, -1, v62
	s_add_i32 s29, s29, 8
	s_add_i32 s28, s28, 8
	v_cmp_eq_u32_e32 vcc, 0, v62
	s_or_b64 s[6:7], vcc, s[6:7]
	s_waitcnt vmcnt(0) lgkmcnt(0)
	v_fma_f64 v[57:58], v[63:64], v[65:66], v[57:58]
	s_andn2_b64 exec, exec, s[6:7]
	s_cbranch_execnz .LBB91_123
; %bb.124:
	s_or_b64 exec, exec, s[6:7]
.LBB91_125:
	s_or_b64 exec, exec, s[12:13]
	v_mov_b32_e32 v62, 0
	ds_read_b64 v[62:63], v62 offset:112
	s_waitcnt lgkmcnt(0)
	v_mul_f64 v[57:58], v[57:58], v[62:63]
	buffer_store_dword v58, off, s[0:3], 0 offset:116
	buffer_store_dword v57, off, s[0:3], 0 offset:112
.LBB91_126:
	;; [unrolled: 58-line block ×15, first 2 shown]
	s_or_b64 exec, exec, s[8:9]
	buffer_load_dword v57, off, s[0:3], 0
	buffer_load_dword v58, off, s[0:3], 0 offset:4
	v_cmp_ne_u32_e32 vcc, 0, v0
	s_waitcnt vmcnt(0)
	ds_write_b64 v60, v[57:58]
	s_waitcnt lgkmcnt(0)
	; wave barrier
	s_and_saveexec_b64 s[4:5], vcc
	s_cbranch_execz .LBB91_266
; %bb.257:
	s_andn2_b64 vcc, exec, s[10:11]
	s_cbranch_vccnz .LBB91_259
; %bb.258:
	buffer_load_dword v57, v61, s[0:3], 0 offen
	buffer_load_dword v58, v61, s[0:3], 0 offen offset:4
	ds_read_b64 v[62:63], v60
	s_waitcnt vmcnt(0) lgkmcnt(0)
	v_mul_f64 v[57:58], v[57:58], v[62:63]
	s_cbranch_execz .LBB91_260
	s_branch .LBB91_261
.LBB91_259:
                                        ; implicit-def: $vgpr57_vgpr58
.LBB91_260:
	ds_read_b64 v[57:58], v60
.LBB91_261:
	s_and_saveexec_b64 s[8:9], s[6:7]
	s_cbranch_execz .LBB91_265
; %bb.262:
	v_add_u32_e32 v62, -1, v0
	s_movk_i32 s12, 0xe8
	s_mov_b64 s[6:7], 0
.LBB91_263:                             ; =>This Inner Loop Header: Depth=1
	v_mov_b32_e32 v65, s14
	buffer_load_dword v63, v65, s[0:3], 0 offen
	buffer_load_dword v64, v65, s[0:3], 0 offen offset:4
	v_mov_b32_e32 v65, s12
	ds_read_b64 v[65:66], v65
	v_add_u32_e32 v62, -1, v62
	s_add_i32 s12, s12, 8
	s_add_i32 s14, s14, 8
	v_cmp_eq_u32_e32 vcc, 0, v62
	s_or_b64 s[6:7], vcc, s[6:7]
	s_waitcnt vmcnt(0) lgkmcnt(0)
	v_fma_f64 v[57:58], v[63:64], v[65:66], v[57:58]
	s_andn2_b64 exec, exec, s[6:7]
	s_cbranch_execnz .LBB91_263
; %bb.264:
	s_or_b64 exec, exec, s[6:7]
.LBB91_265:
	s_or_b64 exec, exec, s[8:9]
	v_mov_b32_e32 v62, 0
	ds_read_b64 v[62:63], v62
	s_waitcnt lgkmcnt(0)
	v_mul_f64 v[57:58], v[57:58], v[62:63]
	buffer_store_dword v58, off, s[0:3], 0 offset:4
	buffer_store_dword v57, off, s[0:3], 0
.LBB91_266:
	s_or_b64 exec, exec, s[4:5]
	s_mov_b64 s[4:5], 0
.LBB91_267:
	s_and_b64 vcc, exec, s[4:5]
	s_cbranch_vccz .LBB91_529
; %bb.268:
	buffer_load_dword v57, off, s[0:3], 0 offset:8
	buffer_load_dword v58, off, s[0:3], 0 offset:12
	v_cmp_eq_u32_e64 s[6:7], 0, v0
	s_waitcnt vmcnt(0)
	ds_write_b64 v60, v[57:58]
	s_waitcnt lgkmcnt(0)
	; wave barrier
	s_and_saveexec_b64 s[4:5], s[6:7]
	s_cbranch_execz .LBB91_274
; %bb.269:
	s_and_b64 vcc, exec, s[10:11]
	s_cbranch_vccz .LBB91_271
; %bb.270:
	buffer_load_dword v57, v61, s[0:3], 0 offen
	buffer_load_dword v58, v61, s[0:3], 0 offen offset:4
	ds_read_b64 v[62:63], v60
	s_waitcnt vmcnt(0) lgkmcnt(0)
	v_mul_f64 v[57:58], v[57:58], v[62:63]
	s_cbranch_execz .LBB91_272
	s_branch .LBB91_273
.LBB91_271:
                                        ; implicit-def: $vgpr57_vgpr58
.LBB91_272:
	ds_read_b64 v[57:58], v60
.LBB91_273:
	v_mov_b32_e32 v62, 0
	ds_read_b64 v[62:63], v62 offset:8
	s_waitcnt lgkmcnt(0)
	v_mul_f64 v[57:58], v[57:58], v[62:63]
	buffer_store_dword v58, off, s[0:3], 0 offset:12
	buffer_store_dword v57, off, s[0:3], 0 offset:8
.LBB91_274:
	s_or_b64 exec, exec, s[4:5]
	buffer_load_dword v57, off, s[0:3], 0 offset:16
	buffer_load_dword v58, off, s[0:3], 0 offset:20
	v_cndmask_b32_e64 v62, 0, 1, s[10:11]
	v_cmp_gt_u32_e32 vcc, 2, v0
	v_cmp_ne_u32_e64 s[4:5], 1, v62
	s_waitcnt vmcnt(0)
	ds_write_b64 v60, v[57:58]
	s_waitcnt lgkmcnt(0)
	; wave barrier
	s_and_saveexec_b64 s[8:9], vcc
	s_cbranch_execz .LBB91_280
; %bb.275:
	s_and_b64 vcc, exec, s[4:5]
	s_cbranch_vccnz .LBB91_277
; %bb.276:
	buffer_load_dword v57, v61, s[0:3], 0 offen
	buffer_load_dword v58, v61, s[0:3], 0 offen offset:4
	ds_read_b64 v[62:63], v60
	s_waitcnt vmcnt(0) lgkmcnt(0)
	v_mul_f64 v[57:58], v[57:58], v[62:63]
	s_cbranch_execz .LBB91_278
	s_branch .LBB91_279
.LBB91_277:
                                        ; implicit-def: $vgpr57_vgpr58
.LBB91_278:
	ds_read_b64 v[57:58], v60
.LBB91_279:
	buffer_load_dword v66, off, s[0:3], 0 offset:8
	buffer_load_dword v67, off, s[0:3], 0 offset:12
	v_mov_b32_e32 v62, 0
	ds_read2_b64 v[62:65], v62 offset0:2 offset1:29
	s_waitcnt vmcnt(0) lgkmcnt(0)
	v_fma_f64 v[64:65], v[66:67], v[64:65], v[57:58]
	v_cndmask_b32_e64 v58, v58, v65, s[6:7]
	v_cndmask_b32_e64 v57, v57, v64, s[6:7]
	v_mul_f64 v[57:58], v[57:58], v[62:63]
	buffer_store_dword v58, off, s[0:3], 0 offset:20
	buffer_store_dword v57, off, s[0:3], 0 offset:16
.LBB91_280:
	s_or_b64 exec, exec, s[8:9]
	buffer_load_dword v57, off, s[0:3], 0 offset:24
	buffer_load_dword v58, off, s[0:3], 0 offset:28
	v_cmp_gt_u32_e32 vcc, 3, v0
	s_waitcnt vmcnt(0)
	ds_write_b64 v60, v[57:58]
	s_waitcnt lgkmcnt(0)
	; wave barrier
	s_and_saveexec_b64 s[8:9], vcc
	s_cbranch_execz .LBB91_288
; %bb.281:
	s_and_b64 vcc, exec, s[4:5]
	s_cbranch_vccnz .LBB91_283
; %bb.282:
	buffer_load_dword v57, v61, s[0:3], 0 offen
	buffer_load_dword v58, v61, s[0:3], 0 offen offset:4
	ds_read_b64 v[62:63], v60
	s_waitcnt vmcnt(0) lgkmcnt(0)
	v_mul_f64 v[57:58], v[57:58], v[62:63]
	s_cbranch_execz .LBB91_284
	s_branch .LBB91_285
.LBB91_283:
                                        ; implicit-def: $vgpr57_vgpr58
.LBB91_284:
	ds_read_b64 v[57:58], v60
.LBB91_285:
	v_cmp_ne_u32_e32 vcc, 2, v0
	s_and_saveexec_b64 s[10:11], vcc
	s_cbranch_execz .LBB91_287
; %bb.286:
	buffer_load_dword v62, v61, s[0:3], 0 offen offset:8
	buffer_load_dword v63, v61, s[0:3], 0 offen offset:12
	buffer_load_dword v64, off, s[0:3], 0 offset:16
	buffer_load_dword v65, off, s[0:3], 0 offset:20
	ds_read_b64 v[66:67], v60 offset:8
	v_mov_b32_e32 v68, 0
	ds_read_b64 v[68:69], v68 offset:240
	s_waitcnt vmcnt(2) lgkmcnt(1)
	v_fma_f64 v[57:58], v[62:63], v[66:67], v[57:58]
	s_waitcnt vmcnt(0) lgkmcnt(0)
	v_fma_f64 v[62:63], v[64:65], v[68:69], v[57:58]
	v_cndmask_b32_e64 v58, v58, v63, s[6:7]
	v_cndmask_b32_e64 v57, v57, v62, s[6:7]
.LBB91_287:
	s_or_b64 exec, exec, s[10:11]
	v_mov_b32_e32 v62, 0
	ds_read_b64 v[62:63], v62 offset:24
	s_waitcnt lgkmcnt(0)
	v_mul_f64 v[57:58], v[57:58], v[62:63]
	buffer_store_dword v58, off, s[0:3], 0 offset:28
	buffer_store_dword v57, off, s[0:3], 0 offset:24
.LBB91_288:
	s_or_b64 exec, exec, s[8:9]
	buffer_load_dword v57, off, s[0:3], 0 offset:32
	buffer_load_dword v58, off, s[0:3], 0 offset:36
	v_cmp_gt_u32_e32 vcc, 4, v0
	s_waitcnt vmcnt(0)
	ds_write_b64 v60, v[57:58]
	s_waitcnt lgkmcnt(0)
	; wave barrier
	s_and_saveexec_b64 s[6:7], vcc
	s_cbranch_execz .LBB91_298
; %bb.289:
	s_and_b64 vcc, exec, s[4:5]
	s_cbranch_vccnz .LBB91_291
; %bb.290:
	buffer_load_dword v57, v61, s[0:3], 0 offen
	buffer_load_dword v58, v61, s[0:3], 0 offen offset:4
	ds_read_b64 v[62:63], v60
	s_waitcnt vmcnt(0) lgkmcnt(0)
	v_mul_f64 v[57:58], v[57:58], v[62:63]
	s_cbranch_execz .LBB91_292
	s_branch .LBB91_293
.LBB91_291:
                                        ; implicit-def: $vgpr57_vgpr58
.LBB91_292:
	ds_read_b64 v[57:58], v60
.LBB91_293:
	v_cmp_ne_u32_e32 vcc, 3, v0
	s_and_saveexec_b64 s[8:9], vcc
	s_cbranch_execz .LBB91_297
; %bb.294:
	s_mov_b32 s10, 0
	v_add_u32_e32 v62, 0xe8, v59
	v_add3_u32 v63, v59, s10, 8
	s_mov_b64 s[10:11], 0
	v_mov_b32_e32 v64, v0
.LBB91_295:                             ; =>This Inner Loop Header: Depth=1
	buffer_load_dword v65, v63, s[0:3], 0 offen
	buffer_load_dword v66, v63, s[0:3], 0 offen offset:4
	ds_read_b64 v[67:68], v62
	v_add_u32_e32 v64, 1, v64
	v_cmp_lt_u32_e32 vcc, 2, v64
	v_add_u32_e32 v62, 8, v62
	s_or_b64 s[10:11], vcc, s[10:11]
	v_add_u32_e32 v63, 8, v63
	s_waitcnt vmcnt(0) lgkmcnt(0)
	v_fma_f64 v[57:58], v[65:66], v[67:68], v[57:58]
	s_andn2_b64 exec, exec, s[10:11]
	s_cbranch_execnz .LBB91_295
; %bb.296:
	s_or_b64 exec, exec, s[10:11]
.LBB91_297:
	s_or_b64 exec, exec, s[8:9]
	v_mov_b32_e32 v62, 0
	ds_read_b64 v[62:63], v62 offset:32
	s_waitcnt lgkmcnt(0)
	v_mul_f64 v[57:58], v[57:58], v[62:63]
	buffer_store_dword v58, off, s[0:3], 0 offset:36
	buffer_store_dword v57, off, s[0:3], 0 offset:32
.LBB91_298:
	s_or_b64 exec, exec, s[6:7]
	buffer_load_dword v57, off, s[0:3], 0 offset:40
	buffer_load_dword v58, off, s[0:3], 0 offset:44
	v_cmp_gt_u32_e32 vcc, 5, v0
	s_waitcnt vmcnt(0)
	ds_write_b64 v60, v[57:58]
	s_waitcnt lgkmcnt(0)
	; wave barrier
	s_and_saveexec_b64 s[6:7], vcc
	s_cbranch_execz .LBB91_308
; %bb.299:
	s_and_b64 vcc, exec, s[4:5]
	s_cbranch_vccnz .LBB91_301
; %bb.300:
	buffer_load_dword v57, v61, s[0:3], 0 offen
	buffer_load_dword v58, v61, s[0:3], 0 offen offset:4
	ds_read_b64 v[62:63], v60
	s_waitcnt vmcnt(0) lgkmcnt(0)
	v_mul_f64 v[57:58], v[57:58], v[62:63]
	s_cbranch_execz .LBB91_302
	s_branch .LBB91_303
.LBB91_301:
                                        ; implicit-def: $vgpr57_vgpr58
.LBB91_302:
	ds_read_b64 v[57:58], v60
.LBB91_303:
	v_cmp_ne_u32_e32 vcc, 4, v0
	s_and_saveexec_b64 s[8:9], vcc
	s_cbranch_execz .LBB91_307
; %bb.304:
	s_mov_b32 s10, 0
	v_add_u32_e32 v62, 0xe8, v59
	v_add3_u32 v63, v59, s10, 8
	s_mov_b64 s[10:11], 0
	v_mov_b32_e32 v64, v0
.LBB91_305:                             ; =>This Inner Loop Header: Depth=1
	buffer_load_dword v65, v63, s[0:3], 0 offen
	buffer_load_dword v66, v63, s[0:3], 0 offen offset:4
	ds_read_b64 v[67:68], v62
	v_add_u32_e32 v64, 1, v64
	v_cmp_lt_u32_e32 vcc, 3, v64
	v_add_u32_e32 v62, 8, v62
	s_or_b64 s[10:11], vcc, s[10:11]
	v_add_u32_e32 v63, 8, v63
	s_waitcnt vmcnt(0) lgkmcnt(0)
	v_fma_f64 v[57:58], v[65:66], v[67:68], v[57:58]
	s_andn2_b64 exec, exec, s[10:11]
	s_cbranch_execnz .LBB91_305
; %bb.306:
	s_or_b64 exec, exec, s[10:11]
.LBB91_307:
	s_or_b64 exec, exec, s[8:9]
	v_mov_b32_e32 v62, 0
	ds_read_b64 v[62:63], v62 offset:40
	s_waitcnt lgkmcnt(0)
	v_mul_f64 v[57:58], v[57:58], v[62:63]
	buffer_store_dword v58, off, s[0:3], 0 offset:44
	buffer_store_dword v57, off, s[0:3], 0 offset:40
.LBB91_308:
	;; [unrolled: 59-line block ×22, first 2 shown]
	s_or_b64 exec, exec, s[6:7]
	buffer_load_dword v57, off, s[0:3], 0 offset:208
	buffer_load_dword v58, off, s[0:3], 0 offset:212
	v_cmp_gt_u32_e64 s[6:7], 26, v0
	s_waitcnt vmcnt(0)
	ds_write_b64 v60, v[57:58]
	s_waitcnt lgkmcnt(0)
	; wave barrier
	s_and_saveexec_b64 s[8:9], s[6:7]
	s_cbranch_execz .LBB91_518
; %bb.509:
	s_and_b64 vcc, exec, s[4:5]
	s_cbranch_vccnz .LBB91_511
; %bb.510:
	buffer_load_dword v57, v61, s[0:3], 0 offen
	buffer_load_dword v58, v61, s[0:3], 0 offen offset:4
	ds_read_b64 v[62:63], v60
	s_waitcnt vmcnt(0) lgkmcnt(0)
	v_mul_f64 v[57:58], v[57:58], v[62:63]
	s_cbranch_execz .LBB91_512
	s_branch .LBB91_513
.LBB91_511:
                                        ; implicit-def: $vgpr57_vgpr58
.LBB91_512:
	ds_read_b64 v[57:58], v60
.LBB91_513:
	v_cmp_ne_u32_e32 vcc, 25, v0
	s_and_saveexec_b64 s[10:11], vcc
	s_cbranch_execz .LBB91_517
; %bb.514:
	s_mov_b32 s12, 0
	v_add_u32_e32 v62, 0xe8, v59
	v_add3_u32 v63, v59, s12, 8
	s_mov_b64 s[12:13], 0
	v_mov_b32_e32 v64, v0
.LBB91_515:                             ; =>This Inner Loop Header: Depth=1
	buffer_load_dword v65, v63, s[0:3], 0 offen
	buffer_load_dword v66, v63, s[0:3], 0 offen offset:4
	ds_read_b64 v[67:68], v62
	v_add_u32_e32 v64, 1, v64
	v_cmp_lt_u32_e32 vcc, 24, v64
	v_add_u32_e32 v62, 8, v62
	s_or_b64 s[12:13], vcc, s[12:13]
	v_add_u32_e32 v63, 8, v63
	s_waitcnt vmcnt(0) lgkmcnt(0)
	v_fma_f64 v[57:58], v[65:66], v[67:68], v[57:58]
	s_andn2_b64 exec, exec, s[12:13]
	s_cbranch_execnz .LBB91_515
; %bb.516:
	s_or_b64 exec, exec, s[12:13]
.LBB91_517:
	s_or_b64 exec, exec, s[10:11]
	v_mov_b32_e32 v62, 0
	ds_read_b64 v[62:63], v62 offset:208
	s_waitcnt lgkmcnt(0)
	v_mul_f64 v[57:58], v[57:58], v[62:63]
	buffer_store_dword v58, off, s[0:3], 0 offset:212
	buffer_store_dword v57, off, s[0:3], 0 offset:208
.LBB91_518:
	s_or_b64 exec, exec, s[8:9]
	buffer_load_dword v57, off, s[0:3], 0 offset:216
	buffer_load_dword v58, off, s[0:3], 0 offset:220
	v_cmp_ne_u32_e32 vcc, 27, v0
	s_waitcnt vmcnt(0)
	ds_write_b64 v60, v[57:58]
	s_waitcnt lgkmcnt(0)
	; wave barrier
	s_and_saveexec_b64 s[8:9], vcc
	s_cbranch_execz .LBB91_528
; %bb.519:
	s_and_b64 vcc, exec, s[4:5]
	s_cbranch_vccnz .LBB91_521
; %bb.520:
	buffer_load_dword v57, v61, s[0:3], 0 offen
	buffer_load_dword v58, v61, s[0:3], 0 offen offset:4
	ds_read_b64 v[61:62], v60
	s_waitcnt vmcnt(0) lgkmcnt(0)
	v_mul_f64 v[57:58], v[57:58], v[61:62]
	s_cbranch_execz .LBB91_522
	s_branch .LBB91_523
.LBB91_521:
                                        ; implicit-def: $vgpr57_vgpr58
.LBB91_522:
	ds_read_b64 v[57:58], v60
.LBB91_523:
	s_and_saveexec_b64 s[4:5], s[6:7]
	s_cbranch_execz .LBB91_527
; %bb.524:
	s_mov_b32 s6, 0
	v_add_u32_e32 v60, 0xe8, v59
	v_add3_u32 v59, v59, s6, 8
	s_mov_b64 s[6:7], 0
.LBB91_525:                             ; =>This Inner Loop Header: Depth=1
	buffer_load_dword v61, v59, s[0:3], 0 offen
	buffer_load_dword v62, v59, s[0:3], 0 offen offset:4
	ds_read_b64 v[63:64], v60
	v_add_u32_e32 v0, 1, v0
	v_cmp_lt_u32_e32 vcc, 25, v0
	v_add_u32_e32 v60, 8, v60
	s_or_b64 s[6:7], vcc, s[6:7]
	v_add_u32_e32 v59, 8, v59
	s_waitcnt vmcnt(0) lgkmcnt(0)
	v_fma_f64 v[57:58], v[61:62], v[63:64], v[57:58]
	s_andn2_b64 exec, exec, s[6:7]
	s_cbranch_execnz .LBB91_525
; %bb.526:
	s_or_b64 exec, exec, s[6:7]
.LBB91_527:
	s_or_b64 exec, exec, s[4:5]
	v_mov_b32_e32 v0, 0
	ds_read_b64 v[59:60], v0 offset:216
	s_waitcnt lgkmcnt(0)
	v_mul_f64 v[57:58], v[57:58], v[59:60]
	buffer_store_dword v58, off, s[0:3], 0 offset:220
	buffer_store_dword v57, off, s[0:3], 0 offset:216
.LBB91_528:
	s_or_b64 exec, exec, s[8:9]
.LBB91_529:
	buffer_load_dword v57, off, s[0:3], 0
	buffer_load_dword v58, off, s[0:3], 0 offset:4
	s_waitcnt vmcnt(0)
	flat_store_dwordx2 v[1:2], v[57:58]
	buffer_load_dword v0, off, s[0:3], 0 offset:8
	s_nop 0
	buffer_load_dword v1, off, s[0:3], 0 offset:12
	s_waitcnt vmcnt(0)
	flat_store_dwordx2 v[3:4], v[0:1]
	buffer_load_dword v0, off, s[0:3], 0 offset:16
	s_nop 0
	;; [unrolled: 5-line block ×27, first 2 shown]
	buffer_load_dword v1, off, s[0:3], 0 offset:220
	s_waitcnt vmcnt(0)
	flat_store_dwordx2 v[55:56], v[0:1]
.LBB91_530:
	s_endpgm
	.section	.rodata,"a",@progbits
	.p2align	6, 0x0
	.amdhsa_kernel _ZN9rocsolver6v33100L18trti2_kernel_smallILi28EdPKPdEEv13rocblas_fill_17rocblas_diagonal_T1_iil
		.amdhsa_group_segment_fixed_size 448
		.amdhsa_private_segment_fixed_size 240
		.amdhsa_kernarg_size 32
		.amdhsa_user_sgpr_count 6
		.amdhsa_user_sgpr_private_segment_buffer 1
		.amdhsa_user_sgpr_dispatch_ptr 0
		.amdhsa_user_sgpr_queue_ptr 0
		.amdhsa_user_sgpr_kernarg_segment_ptr 1
		.amdhsa_user_sgpr_dispatch_id 0
		.amdhsa_user_sgpr_flat_scratch_init 0
		.amdhsa_user_sgpr_private_segment_size 0
		.amdhsa_uses_dynamic_stack 0
		.amdhsa_system_sgpr_private_segment_wavefront_offset 1
		.amdhsa_system_sgpr_workgroup_id_x 1
		.amdhsa_system_sgpr_workgroup_id_y 0
		.amdhsa_system_sgpr_workgroup_id_z 0
		.amdhsa_system_sgpr_workgroup_info 0
		.amdhsa_system_vgpr_workitem_id 0
		.amdhsa_next_free_vgpr 70
		.amdhsa_next_free_sgpr 41
		.amdhsa_reserve_vcc 1
		.amdhsa_reserve_flat_scratch 0
		.amdhsa_float_round_mode_32 0
		.amdhsa_float_round_mode_16_64 0
		.amdhsa_float_denorm_mode_32 3
		.amdhsa_float_denorm_mode_16_64 3
		.amdhsa_dx10_clamp 1
		.amdhsa_ieee_mode 1
		.amdhsa_fp16_overflow 0
		.amdhsa_exception_fp_ieee_invalid_op 0
		.amdhsa_exception_fp_denorm_src 0
		.amdhsa_exception_fp_ieee_div_zero 0
		.amdhsa_exception_fp_ieee_overflow 0
		.amdhsa_exception_fp_ieee_underflow 0
		.amdhsa_exception_fp_ieee_inexact 0
		.amdhsa_exception_int_div_zero 0
	.end_amdhsa_kernel
	.section	.text._ZN9rocsolver6v33100L18trti2_kernel_smallILi28EdPKPdEEv13rocblas_fill_17rocblas_diagonal_T1_iil,"axG",@progbits,_ZN9rocsolver6v33100L18trti2_kernel_smallILi28EdPKPdEEv13rocblas_fill_17rocblas_diagonal_T1_iil,comdat
.Lfunc_end91:
	.size	_ZN9rocsolver6v33100L18trti2_kernel_smallILi28EdPKPdEEv13rocblas_fill_17rocblas_diagonal_T1_iil, .Lfunc_end91-_ZN9rocsolver6v33100L18trti2_kernel_smallILi28EdPKPdEEv13rocblas_fill_17rocblas_diagonal_T1_iil
                                        ; -- End function
	.set _ZN9rocsolver6v33100L18trti2_kernel_smallILi28EdPKPdEEv13rocblas_fill_17rocblas_diagonal_T1_iil.num_vgpr, 70
	.set _ZN9rocsolver6v33100L18trti2_kernel_smallILi28EdPKPdEEv13rocblas_fill_17rocblas_diagonal_T1_iil.num_agpr, 0
	.set _ZN9rocsolver6v33100L18trti2_kernel_smallILi28EdPKPdEEv13rocblas_fill_17rocblas_diagonal_T1_iil.numbered_sgpr, 41
	.set _ZN9rocsolver6v33100L18trti2_kernel_smallILi28EdPKPdEEv13rocblas_fill_17rocblas_diagonal_T1_iil.num_named_barrier, 0
	.set _ZN9rocsolver6v33100L18trti2_kernel_smallILi28EdPKPdEEv13rocblas_fill_17rocblas_diagonal_T1_iil.private_seg_size, 240
	.set _ZN9rocsolver6v33100L18trti2_kernel_smallILi28EdPKPdEEv13rocblas_fill_17rocblas_diagonal_T1_iil.uses_vcc, 1
	.set _ZN9rocsolver6v33100L18trti2_kernel_smallILi28EdPKPdEEv13rocblas_fill_17rocblas_diagonal_T1_iil.uses_flat_scratch, 0
	.set _ZN9rocsolver6v33100L18trti2_kernel_smallILi28EdPKPdEEv13rocblas_fill_17rocblas_diagonal_T1_iil.has_dyn_sized_stack, 0
	.set _ZN9rocsolver6v33100L18trti2_kernel_smallILi28EdPKPdEEv13rocblas_fill_17rocblas_diagonal_T1_iil.has_recursion, 0
	.set _ZN9rocsolver6v33100L18trti2_kernel_smallILi28EdPKPdEEv13rocblas_fill_17rocblas_diagonal_T1_iil.has_indirect_call, 0
	.section	.AMDGPU.csdata,"",@progbits
; Kernel info:
; codeLenInByte = 16348
; TotalNumSgprs: 45
; NumVgprs: 70
; ScratchSize: 240
; MemoryBound: 0
; FloatMode: 240
; IeeeMode: 1
; LDSByteSize: 448 bytes/workgroup (compile time only)
; SGPRBlocks: 5
; VGPRBlocks: 17
; NumSGPRsForWavesPerEU: 45
; NumVGPRsForWavesPerEU: 70
; Occupancy: 3
; WaveLimiterHint : 1
; COMPUTE_PGM_RSRC2:SCRATCH_EN: 1
; COMPUTE_PGM_RSRC2:USER_SGPR: 6
; COMPUTE_PGM_RSRC2:TRAP_HANDLER: 0
; COMPUTE_PGM_RSRC2:TGID_X_EN: 1
; COMPUTE_PGM_RSRC2:TGID_Y_EN: 0
; COMPUTE_PGM_RSRC2:TGID_Z_EN: 0
; COMPUTE_PGM_RSRC2:TIDIG_COMP_CNT: 0
	.section	.text._ZN9rocsolver6v33100L18trti2_kernel_smallILi29EdPKPdEEv13rocblas_fill_17rocblas_diagonal_T1_iil,"axG",@progbits,_ZN9rocsolver6v33100L18trti2_kernel_smallILi29EdPKPdEEv13rocblas_fill_17rocblas_diagonal_T1_iil,comdat
	.globl	_ZN9rocsolver6v33100L18trti2_kernel_smallILi29EdPKPdEEv13rocblas_fill_17rocblas_diagonal_T1_iil ; -- Begin function _ZN9rocsolver6v33100L18trti2_kernel_smallILi29EdPKPdEEv13rocblas_fill_17rocblas_diagonal_T1_iil
	.p2align	8
	.type	_ZN9rocsolver6v33100L18trti2_kernel_smallILi29EdPKPdEEv13rocblas_fill_17rocblas_diagonal_T1_iil,@function
_ZN9rocsolver6v33100L18trti2_kernel_smallILi29EdPKPdEEv13rocblas_fill_17rocblas_diagonal_T1_iil: ; @_ZN9rocsolver6v33100L18trti2_kernel_smallILi29EdPKPdEEv13rocblas_fill_17rocblas_diagonal_T1_iil
; %bb.0:
	s_add_u32 s0, s0, s7
	s_addc_u32 s1, s1, 0
	v_cmp_gt_u32_e32 vcc, 29, v0
	s_and_saveexec_b64 s[8:9], vcc
	s_cbranch_execz .LBB92_550
; %bb.1:
	s_load_dwordx2 s[12:13], s[4:5], 0x10
	s_load_dwordx4 s[8:11], s[4:5], 0x0
	s_ashr_i32 s7, s6, 31
	s_lshl_b64 s[6:7], s[6:7], 3
	v_lshlrev_b32_e32 v61, 3, v0
	s_waitcnt lgkmcnt(0)
	s_ashr_i32 s5, s12, 31
	s_add_u32 s6, s10, s6
	s_addc_u32 s7, s11, s7
	s_load_dwordx2 s[6:7], s[6:7], 0x0
	s_mov_b32 s4, s12
	s_lshl_b64 s[4:5], s[4:5], 3
	s_waitcnt lgkmcnt(0)
	s_add_u32 s4, s6, s4
	s_addc_u32 s5, s7, s5
	v_mov_b32_e32 v2, s5
	v_add_co_u32_e32 v1, vcc, s4, v61
	v_addc_co_u32_e32 v2, vcc, 0, v2, vcc
	flat_load_dwordx2 v[5:6], v[1:2]
	s_mov_b32 s6, s13
	s_ashr_i32 s7, s13, 31
	s_lshl_b64 s[6:7], s[6:7], 3
	v_mov_b32_e32 v4, s7
	v_add_co_u32_e32 v3, vcc, s6, v1
	v_addc_co_u32_e32 v4, vcc, v2, v4, vcc
	s_add_i32 s6, s13, s13
	v_add_u32_e32 v9, s6, v0
	v_ashrrev_i32_e32 v10, 31, v9
	v_mov_b32_e32 v11, s5
	v_add_u32_e32 v12, s13, v9
	v_ashrrev_i32_e32 v13, 31, v12
	v_mov_b32_e32 v14, s5
	v_mov_b32_e32 v15, s5
	;; [unrolled: 1-line block ×25, first 2 shown]
	s_cmpk_lg_i32 s9, 0x84
	s_cselect_b64 s[10:11], -1, 0
	s_cmpk_eq_i32 s9, 0x84
	s_waitcnt vmcnt(0) lgkmcnt(0)
	buffer_store_dword v6, off, s[0:3], 0 offset:4
	buffer_store_dword v5, off, s[0:3], 0
	flat_load_dwordx2 v[7:8], v[3:4]
	v_lshlrev_b64 v[5:6], 3, v[9:10]
	s_waitcnt vmcnt(0) lgkmcnt(0)
	buffer_store_dword v8, off, s[0:3], 0 offset:12
	buffer_store_dword v7, off, s[0:3], 0 offset:8
	v_add_co_u32_e32 v5, vcc, s4, v5
	v_addc_co_u32_e32 v6, vcc, v11, v6, vcc
	flat_load_dwordx2 v[10:11], v[5:6]
	v_lshlrev_b64 v[7:8], 3, v[12:13]
	s_waitcnt vmcnt(0) lgkmcnt(0)
	buffer_store_dword v11, off, s[0:3], 0 offset:20
	buffer_store_dword v10, off, s[0:3], 0 offset:16
	v_add_co_u32_e32 v7, vcc, s4, v7
	v_addc_co_u32_e32 v8, vcc, v14, v8, vcc
	flat_load_dwordx2 v[13:14], v[7:8]
	v_add_u32_e32 v11, s13, v12
	v_ashrrev_i32_e32 v12, 31, v11
	v_lshlrev_b64 v[9:10], 3, v[11:12]
	s_waitcnt vmcnt(0) lgkmcnt(0)
	buffer_store_dword v14, off, s[0:3], 0 offset:28
	buffer_store_dword v13, off, s[0:3], 0 offset:24
	v_add_co_u32_e32 v9, vcc, s4, v9
	v_addc_co_u32_e32 v10, vcc, v15, v10, vcc
	flat_load_dwordx2 v[13:14], v[9:10]
	v_add_u32_e32 v15, s13, v11
	v_ashrrev_i32_e32 v16, 31, v15
	v_lshlrev_b64 v[11:12], 3, v[15:16]
	v_add_u32_e32 v18, s13, v15
	v_add_co_u32_e32 v11, vcc, s4, v11
	v_addc_co_u32_e32 v12, vcc, v17, v12, vcc
	v_ashrrev_i32_e32 v19, 31, v18
	s_waitcnt vmcnt(0) lgkmcnt(0)
	buffer_store_dword v14, off, s[0:3], 0 offset:36
	buffer_store_dword v13, off, s[0:3], 0 offset:32
	flat_load_dwordx2 v[16:17], v[11:12]
	v_lshlrev_b64 v[13:14], 3, v[18:19]
	s_waitcnt vmcnt(0) lgkmcnt(0)
	buffer_store_dword v17, off, s[0:3], 0 offset:44
	buffer_store_dword v16, off, s[0:3], 0 offset:40
	v_add_co_u32_e32 v13, vcc, s4, v13
	v_addc_co_u32_e32 v14, vcc, v20, v14, vcc
	flat_load_dwordx2 v[19:20], v[13:14]
	v_add_u32_e32 v17, s13, v18
	v_ashrrev_i32_e32 v18, 31, v17
	v_lshlrev_b64 v[15:16], 3, v[17:18]
	s_waitcnt vmcnt(0) lgkmcnt(0)
	buffer_store_dword v20, off, s[0:3], 0 offset:52
	buffer_store_dword v19, off, s[0:3], 0 offset:48
	v_add_co_u32_e32 v15, vcc, s4, v15
	v_addc_co_u32_e32 v16, vcc, v21, v16, vcc
	flat_load_dwordx2 v[19:20], v[15:16]
	v_add_u32_e32 v21, s13, v17
	v_ashrrev_i32_e32 v22, 31, v21
	v_lshlrev_b64 v[17:18], 3, v[21:22]
	v_add_u32_e32 v24, s13, v21
	v_add_co_u32_e32 v17, vcc, s4, v17
	v_addc_co_u32_e32 v18, vcc, v23, v18, vcc
	v_ashrrev_i32_e32 v25, 31, v24
	s_waitcnt vmcnt(0) lgkmcnt(0)
	buffer_store_dword v20, off, s[0:3], 0 offset:60
	buffer_store_dword v19, off, s[0:3], 0 offset:56
	;; [unrolled: 27-line block ×7, first 2 shown]
	flat_load_dwordx2 v[52:53], v[47:48]
	v_lshlrev_b64 v[49:50], 3, v[54:55]
	s_waitcnt vmcnt(0) lgkmcnt(0)
	buffer_store_dword v53, off, s[0:3], 0 offset:188
	buffer_store_dword v52, off, s[0:3], 0 offset:184
	v_add_co_u32_e32 v49, vcc, s4, v49
	v_addc_co_u32_e32 v50, vcc, v56, v50, vcc
	flat_load_dwordx2 v[55:56], v[49:50]
	v_add_u32_e32 v53, s13, v54
	v_ashrrev_i32_e32 v54, 31, v53
	v_lshlrev_b64 v[51:52], 3, v[53:54]
	s_waitcnt vmcnt(0) lgkmcnt(0)
	buffer_store_dword v56, off, s[0:3], 0 offset:196
	buffer_store_dword v55, off, s[0:3], 0 offset:192
	v_add_co_u32_e32 v51, vcc, s4, v51
	v_addc_co_u32_e32 v52, vcc, v57, v52, vcc
	flat_load_dwordx2 v[55:56], v[51:52]
	v_add_u32_e32 v57, s13, v53
	v_ashrrev_i32_e32 v58, 31, v57
	v_lshlrev_b64 v[53:54], 3, v[57:58]
	v_add_u32_e32 v62, s13, v57
	v_add_co_u32_e32 v53, vcc, s4, v53
	v_addc_co_u32_e32 v54, vcc, v59, v54, vcc
	s_waitcnt vmcnt(0) lgkmcnt(0)
	buffer_store_dword v56, off, s[0:3], 0 offset:204
	buffer_store_dword v55, off, s[0:3], 0 offset:200
	flat_load_dwordx2 v[58:59], v[53:54]
	v_ashrrev_i32_e32 v63, 31, v62
	v_lshlrev_b64 v[55:56], 3, v[62:63]
	v_add_u32_e32 v57, s13, v62
	v_add_co_u32_e32 v55, vcc, s4, v55
	v_addc_co_u32_e32 v56, vcc, v60, v56, vcc
	v_mov_b32_e32 v63, s5
	s_waitcnt vmcnt(0) lgkmcnt(0)
	buffer_store_dword v59, off, s[0:3], 0 offset:212
	buffer_store_dword v58, off, s[0:3], 0 offset:208
	flat_load_dwordx2 v[59:60], v[55:56]
	v_ashrrev_i32_e32 v58, 31, v57
	v_lshlrev_b64 v[57:58], 3, v[57:58]
	s_waitcnt vmcnt(0) lgkmcnt(0)
	buffer_store_dword v60, off, s[0:3], 0 offset:220
	buffer_store_dword v59, off, s[0:3], 0 offset:216
	v_add_co_u32_e32 v57, vcc, s4, v57
	v_addc_co_u32_e32 v58, vcc, v63, v58, vcc
	flat_load_dwordx2 v[62:63], v[57:58]
	v_mov_b32_e32 v59, 0
	v_mov_b32_e32 v60, 0xbff00000
	s_waitcnt vmcnt(0) lgkmcnt(0)
	buffer_store_dword v63, off, s[0:3], 0 offset:228
	buffer_store_dword v62, off, s[0:3], 0 offset:224
	s_cbranch_scc1 .LBB92_3
; %bb.2:
	v_mov_b32_e32 v59, 0
	v_lshl_add_u32 v70, v0, 3, v59
	buffer_load_dword v59, v70, s[0:3], 0 offen
	buffer_load_dword v60, v70, s[0:3], 0 offen offset:4
	s_waitcnt vmcnt(0)
	v_div_scale_f64 v[62:63], s[4:5], v[59:60], v[59:60], 1.0
	v_rcp_f64_e32 v[64:65], v[62:63]
	v_fma_f64 v[66:67], -v[62:63], v[64:65], 1.0
	v_fma_f64 v[64:65], v[64:65], v[66:67], v[64:65]
	v_div_scale_f64 v[66:67], vcc, 1.0, v[59:60], 1.0
	v_fma_f64 v[68:69], -v[62:63], v[64:65], 1.0
	v_fma_f64 v[64:65], v[64:65], v[68:69], v[64:65]
	v_mul_f64 v[68:69], v[66:67], v[64:65]
	v_fma_f64 v[62:63], -v[62:63], v[68:69], v[66:67]
	v_div_fmas_f64 v[62:63], v[62:63], v[64:65], v[68:69]
	v_div_fixup_f64 v[59:60], v[62:63], v[59:60], 1.0
	buffer_store_dword v59, v70, s[0:3], 0 offen
	buffer_store_dword v60, v70, s[0:3], 0 offen offset:4
	v_xor_b32_e32 v60, 0x80000000, v60
.LBB92_3:
	s_cmpk_eq_i32 s8, 0x79
	v_add_u32_e32 v62, 0xf0, v61
	v_mov_b32_e32 v63, v61
	s_mov_b64 s[4:5], -1
	ds_write_b64 v61, v[59:60]
	s_cbranch_scc1 .LBB92_277
; %bb.4:
	buffer_load_dword v59, off, s[0:3], 0 offset:216
	buffer_load_dword v60, off, s[0:3], 0 offset:220
	s_movk_i32 s12, 0x48
	s_movk_i32 s13, 0x50
	;; [unrolled: 1-line block ×18, first 2 shown]
	v_cmp_eq_u32_e64 s[4:5], 28, v0
	s_waitcnt vmcnt(0)
	ds_write_b64 v62, v[59:60]
	s_waitcnt lgkmcnt(0)
	; wave barrier
	s_and_saveexec_b64 s[6:7], s[4:5]
	s_cbranch_execz .LBB92_10
; %bb.5:
	s_and_b64 vcc, exec, s[10:11]
	s_cbranch_vccz .LBB92_7
; %bb.6:
	buffer_load_dword v59, v63, s[0:3], 0 offen
	buffer_load_dword v60, v63, s[0:3], 0 offen offset:4
	ds_read_b64 v[64:65], v62
	s_waitcnt vmcnt(0) lgkmcnt(0)
	v_mul_f64 v[59:60], v[59:60], v[64:65]
	s_cbranch_execz .LBB92_8
	s_branch .LBB92_9
.LBB92_7:
                                        ; implicit-def: $vgpr59_vgpr60
.LBB92_8:
	ds_read_b64 v[59:60], v62
.LBB92_9:
	v_mov_b32_e32 v64, 0
	ds_read_b64 v[64:65], v64 offset:216
	s_waitcnt lgkmcnt(0)
	v_mul_f64 v[59:60], v[59:60], v[64:65]
	buffer_store_dword v60, off, s[0:3], 0 offset:220
	buffer_store_dword v59, off, s[0:3], 0 offset:216
.LBB92_10:
	s_or_b64 exec, exec, s[6:7]
	buffer_load_dword v59, off, s[0:3], 0 offset:208
	buffer_load_dword v60, off, s[0:3], 0 offset:212
	s_or_b32 s14, 0, 8
	s_mov_b32 s15, 16
	s_mov_b32 s16, 24
	;; [unrolled: 1-line block ×9, first 2 shown]
	v_cmp_lt_u32_e64 s[6:7], 26, v0
	s_waitcnt vmcnt(0)
	ds_write_b64 v62, v[59:60]
	s_waitcnt lgkmcnt(0)
	; wave barrier
	s_and_saveexec_b64 s[8:9], s[6:7]
	s_cbranch_execz .LBB92_16
; %bb.11:
	s_andn2_b64 vcc, exec, s[10:11]
	s_cbranch_vccnz .LBB92_13
; %bb.12:
	buffer_load_dword v59, v63, s[0:3], 0 offen
	buffer_load_dword v60, v63, s[0:3], 0 offen offset:4
	ds_read_b64 v[64:65], v62
	s_waitcnt vmcnt(0) lgkmcnt(0)
	v_mul_f64 v[59:60], v[59:60], v[64:65]
	s_cbranch_execz .LBB92_14
	s_branch .LBB92_15
.LBB92_13:
                                        ; implicit-def: $vgpr59_vgpr60
.LBB92_14:
	ds_read_b64 v[59:60], v62
.LBB92_15:
	buffer_load_dword v68, off, s[0:3], 0 offset:216
	buffer_load_dword v69, off, s[0:3], 0 offset:220
	v_mov_b32_e32 v64, 0
	ds_read2_b64 v[64:67], v64 offset0:26 offset1:57
	s_waitcnt vmcnt(0) lgkmcnt(0)
	v_fma_f64 v[66:67], v[68:69], v[66:67], v[59:60]
	v_cndmask_b32_e64 v60, v60, v67, s[4:5]
	v_cndmask_b32_e64 v59, v59, v66, s[4:5]
	v_mul_f64 v[59:60], v[59:60], v[64:65]
	buffer_store_dword v60, off, s[0:3], 0 offset:212
	buffer_store_dword v59, off, s[0:3], 0 offset:208
.LBB92_16:
	s_or_b64 exec, exec, s[8:9]
	buffer_load_dword v59, off, s[0:3], 0 offset:200
	buffer_load_dword v60, off, s[0:3], 0 offset:204
	v_cmp_lt_u32_e64 s[4:5], 25, v0
	s_waitcnt vmcnt(0)
	ds_write_b64 v62, v[59:60]
	s_waitcnt lgkmcnt(0)
	; wave barrier
	s_and_saveexec_b64 s[8:9], s[4:5]
	s_cbranch_execz .LBB92_26
; %bb.17:
	s_andn2_b64 vcc, exec, s[10:11]
	s_cbranch_vccnz .LBB92_19
; %bb.18:
	buffer_load_dword v59, v63, s[0:3], 0 offen
	buffer_load_dword v60, v63, s[0:3], 0 offen offset:4
	ds_read_b64 v[64:65], v62
	s_waitcnt vmcnt(0) lgkmcnt(0)
	v_mul_f64 v[59:60], v[59:60], v[64:65]
	s_cbranch_execz .LBB92_20
	s_branch .LBB92_21
.LBB92_19:
                                        ; implicit-def: $vgpr59_vgpr60
.LBB92_20:
	ds_read_b64 v[59:60], v62
.LBB92_21:
	s_and_saveexec_b64 s[12:13], s[6:7]
	s_cbranch_execz .LBB92_25
; %bb.22:
	v_subrev_u32_e32 v64, 26, v0
	s_movk_i32 s41, 0x1c0
	s_mov_b64 s[6:7], 0
.LBB92_23:                              ; =>This Inner Loop Header: Depth=1
	v_mov_b32_e32 v67, s40
	buffer_load_dword v65, v67, s[0:3], 0 offen
	buffer_load_dword v66, v67, s[0:3], 0 offen offset:4
	v_mov_b32_e32 v67, s41
	ds_read_b64 v[67:68], v67
	v_add_u32_e32 v64, -1, v64
	s_add_i32 s41, s41, 8
	s_add_i32 s40, s40, 8
	v_cmp_eq_u32_e32 vcc, 0, v64
	s_or_b64 s[6:7], vcc, s[6:7]
	s_waitcnt vmcnt(0) lgkmcnt(0)
	v_fma_f64 v[59:60], v[65:66], v[67:68], v[59:60]
	s_andn2_b64 exec, exec, s[6:7]
	s_cbranch_execnz .LBB92_23
; %bb.24:
	s_or_b64 exec, exec, s[6:7]
.LBB92_25:
	s_or_b64 exec, exec, s[12:13]
	v_mov_b32_e32 v64, 0
	ds_read_b64 v[64:65], v64 offset:200
	s_waitcnt lgkmcnt(0)
	v_mul_f64 v[59:60], v[59:60], v[64:65]
	buffer_store_dword v60, off, s[0:3], 0 offset:204
	buffer_store_dword v59, off, s[0:3], 0 offset:200
.LBB92_26:
	s_or_b64 exec, exec, s[8:9]
	buffer_load_dword v59, off, s[0:3], 0 offset:192
	buffer_load_dword v60, off, s[0:3], 0 offset:196
	v_cmp_lt_u32_e64 s[6:7], 24, v0
	s_waitcnt vmcnt(0)
	ds_write_b64 v62, v[59:60]
	s_waitcnt lgkmcnt(0)
	; wave barrier
	s_and_saveexec_b64 s[8:9], s[6:7]
	s_cbranch_execz .LBB92_36
; %bb.27:
	s_andn2_b64 vcc, exec, s[10:11]
	s_cbranch_vccnz .LBB92_29
; %bb.28:
	buffer_load_dword v59, v63, s[0:3], 0 offen
	buffer_load_dword v60, v63, s[0:3], 0 offen offset:4
	ds_read_b64 v[64:65], v62
	s_waitcnt vmcnt(0) lgkmcnt(0)
	v_mul_f64 v[59:60], v[59:60], v[64:65]
	s_cbranch_execz .LBB92_30
	s_branch .LBB92_31
.LBB92_29:
                                        ; implicit-def: $vgpr59_vgpr60
.LBB92_30:
	ds_read_b64 v[59:60], v62
.LBB92_31:
	s_and_saveexec_b64 s[12:13], s[4:5]
	s_cbranch_execz .LBB92_35
; %bb.32:
	v_subrev_u32_e32 v64, 25, v0
	s_movk_i32 s40, 0x1b8
	s_mov_b64 s[4:5], 0
.LBB92_33:                              ; =>This Inner Loop Header: Depth=1
	v_mov_b32_e32 v67, s39
	buffer_load_dword v65, v67, s[0:3], 0 offen
	buffer_load_dword v66, v67, s[0:3], 0 offen offset:4
	v_mov_b32_e32 v67, s40
	ds_read_b64 v[67:68], v67
	v_add_u32_e32 v64, -1, v64
	s_add_i32 s40, s40, 8
	s_add_i32 s39, s39, 8
	v_cmp_eq_u32_e32 vcc, 0, v64
	s_or_b64 s[4:5], vcc, s[4:5]
	s_waitcnt vmcnt(0) lgkmcnt(0)
	v_fma_f64 v[59:60], v[65:66], v[67:68], v[59:60]
	s_andn2_b64 exec, exec, s[4:5]
	s_cbranch_execnz .LBB92_33
; %bb.34:
	s_or_b64 exec, exec, s[4:5]
.LBB92_35:
	s_or_b64 exec, exec, s[12:13]
	v_mov_b32_e32 v64, 0
	ds_read_b64 v[64:65], v64 offset:192
	s_waitcnt lgkmcnt(0)
	v_mul_f64 v[59:60], v[59:60], v[64:65]
	buffer_store_dword v60, off, s[0:3], 0 offset:196
	buffer_store_dword v59, off, s[0:3], 0 offset:192
.LBB92_36:
	;; [unrolled: 58-line block ×8, first 2 shown]
	s_or_b64 exec, exec, s[8:9]
	buffer_load_dword v59, off, s[0:3], 0 offset:136
	buffer_load_dword v60, off, s[0:3], 0 offset:140
	v_cmp_lt_u32_e64 s[4:5], 17, v0
	s_waitcnt vmcnt(0)
	ds_write_b64 v62, v[59:60]
	s_waitcnt lgkmcnt(0)
	; wave barrier
	s_and_saveexec_b64 s[8:9], s[4:5]
	s_cbranch_execz .LBB92_106
; %bb.97:
	s_andn2_b64 vcc, exec, s[10:11]
	s_cbranch_vccnz .LBB92_99
; %bb.98:
	buffer_load_dword v59, v63, s[0:3], 0 offen
	buffer_load_dword v60, v63, s[0:3], 0 offen offset:4
	ds_read_b64 v[64:65], v62
	s_waitcnt vmcnt(0) lgkmcnt(0)
	v_mul_f64 v[59:60], v[59:60], v[64:65]
	s_cbranch_execz .LBB92_100
	s_branch .LBB92_101
.LBB92_99:
                                        ; implicit-def: $vgpr59_vgpr60
.LBB92_100:
	ds_read_b64 v[59:60], v62
.LBB92_101:
	s_and_saveexec_b64 s[12:13], s[6:7]
	s_cbranch_execz .LBB92_105
; %bb.102:
	v_subrev_u32_e32 v64, 18, v0
	s_movk_i32 s33, 0x180
	s_mov_b64 s[6:7], 0
.LBB92_103:                             ; =>This Inner Loop Header: Depth=1
	v_mov_b32_e32 v67, s31
	buffer_load_dword v65, v67, s[0:3], 0 offen
	buffer_load_dword v66, v67, s[0:3], 0 offen offset:4
	v_mov_b32_e32 v67, s33
	ds_read_b64 v[67:68], v67
	v_add_u32_e32 v64, -1, v64
	s_add_i32 s33, s33, 8
	s_add_i32 s31, s31, 8
	v_cmp_eq_u32_e32 vcc, 0, v64
	s_or_b64 s[6:7], vcc, s[6:7]
	s_waitcnt vmcnt(0) lgkmcnt(0)
	v_fma_f64 v[59:60], v[65:66], v[67:68], v[59:60]
	s_andn2_b64 exec, exec, s[6:7]
	s_cbranch_execnz .LBB92_103
; %bb.104:
	s_or_b64 exec, exec, s[6:7]
.LBB92_105:
	s_or_b64 exec, exec, s[12:13]
	v_mov_b32_e32 v64, 0
	ds_read_b64 v[64:65], v64 offset:136
	s_waitcnt lgkmcnt(0)
	v_mul_f64 v[59:60], v[59:60], v[64:65]
	buffer_store_dword v60, off, s[0:3], 0 offset:140
	buffer_store_dword v59, off, s[0:3], 0 offset:136
.LBB92_106:
	s_or_b64 exec, exec, s[8:9]
	buffer_load_dword v59, off, s[0:3], 0 offset:128
	buffer_load_dword v60, off, s[0:3], 0 offset:132
	v_cmp_lt_u32_e64 s[6:7], 16, v0
	s_waitcnt vmcnt(0)
	ds_write_b64 v62, v[59:60]
	s_waitcnt lgkmcnt(0)
	; wave barrier
	s_and_saveexec_b64 s[8:9], s[6:7]
	s_cbranch_execz .LBB92_116
; %bb.107:
	s_andn2_b64 vcc, exec, s[10:11]
	s_cbranch_vccnz .LBB92_109
; %bb.108:
	buffer_load_dword v59, v63, s[0:3], 0 offen
	buffer_load_dword v60, v63, s[0:3], 0 offen offset:4
	ds_read_b64 v[64:65], v62
	s_waitcnt vmcnt(0) lgkmcnt(0)
	v_mul_f64 v[59:60], v[59:60], v[64:65]
	s_cbranch_execz .LBB92_110
	s_branch .LBB92_111
.LBB92_109:
                                        ; implicit-def: $vgpr59_vgpr60
.LBB92_110:
	ds_read_b64 v[59:60], v62
.LBB92_111:
	s_and_saveexec_b64 s[12:13], s[4:5]
	s_cbranch_execz .LBB92_115
; %bb.112:
	v_subrev_u32_e32 v64, 17, v0
	s_movk_i32 s31, 0x178
	s_mov_b64 s[4:5], 0
.LBB92_113:                             ; =>This Inner Loop Header: Depth=1
	v_mov_b32_e32 v67, s30
	buffer_load_dword v65, v67, s[0:3], 0 offen
	buffer_load_dword v66, v67, s[0:3], 0 offen offset:4
	v_mov_b32_e32 v67, s31
	ds_read_b64 v[67:68], v67
	v_add_u32_e32 v64, -1, v64
	s_add_i32 s31, s31, 8
	s_add_i32 s30, s30, 8
	v_cmp_eq_u32_e32 vcc, 0, v64
	s_or_b64 s[4:5], vcc, s[4:5]
	s_waitcnt vmcnt(0) lgkmcnt(0)
	v_fma_f64 v[59:60], v[65:66], v[67:68], v[59:60]
	s_andn2_b64 exec, exec, s[4:5]
	s_cbranch_execnz .LBB92_113
; %bb.114:
	s_or_b64 exec, exec, s[4:5]
.LBB92_115:
	s_or_b64 exec, exec, s[12:13]
	v_mov_b32_e32 v64, 0
	ds_read_b64 v[64:65], v64 offset:128
	s_waitcnt lgkmcnt(0)
	v_mul_f64 v[59:60], v[59:60], v[64:65]
	buffer_store_dword v60, off, s[0:3], 0 offset:132
	buffer_store_dword v59, off, s[0:3], 0 offset:128
.LBB92_116:
	s_or_b64 exec, exec, s[8:9]
	buffer_load_dword v59, off, s[0:3], 0 offset:120
	buffer_load_dword v60, off, s[0:3], 0 offset:124
	v_cmp_lt_u32_e64 s[4:5], 15, v0
	s_waitcnt vmcnt(0)
	ds_write_b64 v62, v[59:60]
	s_waitcnt lgkmcnt(0)
	; wave barrier
	s_and_saveexec_b64 s[8:9], s[4:5]
	s_cbranch_execz .LBB92_126
; %bb.117:
	s_andn2_b64 vcc, exec, s[10:11]
	s_cbranch_vccnz .LBB92_119
; %bb.118:
	buffer_load_dword v59, v63, s[0:3], 0 offen
	buffer_load_dword v60, v63, s[0:3], 0 offen offset:4
	ds_read_b64 v[64:65], v62
	s_waitcnt vmcnt(0) lgkmcnt(0)
	v_mul_f64 v[59:60], v[59:60], v[64:65]
	s_cbranch_execz .LBB92_120
	s_branch .LBB92_121
.LBB92_119:
                                        ; implicit-def: $vgpr59_vgpr60
.LBB92_120:
	ds_read_b64 v[59:60], v62
.LBB92_121:
	s_and_saveexec_b64 s[12:13], s[6:7]
	s_cbranch_execz .LBB92_125
; %bb.122:
	v_add_u32_e32 v64, -16, v0
	s_movk_i32 s30, 0x170
	s_mov_b64 s[6:7], 0
.LBB92_123:                             ; =>This Inner Loop Header: Depth=1
	v_mov_b32_e32 v67, s29
	buffer_load_dword v65, v67, s[0:3], 0 offen
	buffer_load_dword v66, v67, s[0:3], 0 offen offset:4
	v_mov_b32_e32 v67, s30
	ds_read_b64 v[67:68], v67
	v_add_u32_e32 v64, -1, v64
	s_add_i32 s30, s30, 8
	s_add_i32 s29, s29, 8
	v_cmp_eq_u32_e32 vcc, 0, v64
	s_or_b64 s[6:7], vcc, s[6:7]
	s_waitcnt vmcnt(0) lgkmcnt(0)
	v_fma_f64 v[59:60], v[65:66], v[67:68], v[59:60]
	s_andn2_b64 exec, exec, s[6:7]
	s_cbranch_execnz .LBB92_123
; %bb.124:
	s_or_b64 exec, exec, s[6:7]
.LBB92_125:
	s_or_b64 exec, exec, s[12:13]
	v_mov_b32_e32 v64, 0
	ds_read_b64 v[64:65], v64 offset:120
	s_waitcnt lgkmcnt(0)
	v_mul_f64 v[59:60], v[59:60], v[64:65]
	buffer_store_dword v60, off, s[0:3], 0 offset:124
	buffer_store_dword v59, off, s[0:3], 0 offset:120
.LBB92_126:
	s_or_b64 exec, exec, s[8:9]
	buffer_load_dword v59, off, s[0:3], 0 offset:112
	buffer_load_dword v60, off, s[0:3], 0 offset:116
	v_cmp_lt_u32_e64 s[6:7], 14, v0
	s_waitcnt vmcnt(0)
	ds_write_b64 v62, v[59:60]
	s_waitcnt lgkmcnt(0)
	; wave barrier
	s_and_saveexec_b64 s[8:9], s[6:7]
	s_cbranch_execz .LBB92_136
; %bb.127:
	s_andn2_b64 vcc, exec, s[10:11]
	s_cbranch_vccnz .LBB92_129
; %bb.128:
	buffer_load_dword v59, v63, s[0:3], 0 offen
	buffer_load_dword v60, v63, s[0:3], 0 offen offset:4
	ds_read_b64 v[64:65], v62
	s_waitcnt vmcnt(0) lgkmcnt(0)
	v_mul_f64 v[59:60], v[59:60], v[64:65]
	s_cbranch_execz .LBB92_130
	s_branch .LBB92_131
.LBB92_129:
                                        ; implicit-def: $vgpr59_vgpr60
.LBB92_130:
	ds_read_b64 v[59:60], v62
.LBB92_131:
	s_and_saveexec_b64 s[12:13], s[4:5]
	s_cbranch_execz .LBB92_135
; %bb.132:
	v_add_u32_e32 v64, -15, v0
	s_movk_i32 s29, 0x168
	s_mov_b64 s[4:5], 0
.LBB92_133:                             ; =>This Inner Loop Header: Depth=1
	v_mov_b32_e32 v67, s28
	buffer_load_dword v65, v67, s[0:3], 0 offen
	buffer_load_dword v66, v67, s[0:3], 0 offen offset:4
	v_mov_b32_e32 v67, s29
	ds_read_b64 v[67:68], v67
	v_add_u32_e32 v64, -1, v64
	s_add_i32 s29, s29, 8
	s_add_i32 s28, s28, 8
	v_cmp_eq_u32_e32 vcc, 0, v64
	s_or_b64 s[4:5], vcc, s[4:5]
	s_waitcnt vmcnt(0) lgkmcnt(0)
	v_fma_f64 v[59:60], v[65:66], v[67:68], v[59:60]
	s_andn2_b64 exec, exec, s[4:5]
	s_cbranch_execnz .LBB92_133
; %bb.134:
	s_or_b64 exec, exec, s[4:5]
.LBB92_135:
	s_or_b64 exec, exec, s[12:13]
	v_mov_b32_e32 v64, 0
	ds_read_b64 v[64:65], v64 offset:112
	s_waitcnt lgkmcnt(0)
	v_mul_f64 v[59:60], v[59:60], v[64:65]
	buffer_store_dword v60, off, s[0:3], 0 offset:116
	buffer_store_dword v59, off, s[0:3], 0 offset:112
.LBB92_136:
	;; [unrolled: 58-line block ×15, first 2 shown]
	s_or_b64 exec, exec, s[8:9]
	buffer_load_dword v59, off, s[0:3], 0
	buffer_load_dword v60, off, s[0:3], 0 offset:4
	v_cmp_ne_u32_e32 vcc, 0, v0
	s_waitcnt vmcnt(0)
	ds_write_b64 v62, v[59:60]
	s_waitcnt lgkmcnt(0)
	; wave barrier
	s_and_saveexec_b64 s[6:7], vcc
	s_cbranch_execz .LBB92_276
; %bb.267:
	s_andn2_b64 vcc, exec, s[10:11]
	s_cbranch_vccnz .LBB92_269
; %bb.268:
	buffer_load_dword v59, v63, s[0:3], 0 offen
	buffer_load_dword v60, v63, s[0:3], 0 offen offset:4
	ds_read_b64 v[64:65], v62
	s_waitcnt vmcnt(0) lgkmcnt(0)
	v_mul_f64 v[59:60], v[59:60], v[64:65]
	s_cbranch_execz .LBB92_270
	s_branch .LBB92_271
.LBB92_269:
                                        ; implicit-def: $vgpr59_vgpr60
.LBB92_270:
	ds_read_b64 v[59:60], v62
.LBB92_271:
	s_and_saveexec_b64 s[8:9], s[4:5]
	s_cbranch_execz .LBB92_275
; %bb.272:
	v_add_u32_e32 v64, -1, v0
	s_movk_i32 s12, 0xf8
	s_mov_b64 s[4:5], 0
.LBB92_273:                             ; =>This Inner Loop Header: Depth=1
	v_mov_b32_e32 v67, s14
	buffer_load_dword v65, v67, s[0:3], 0 offen
	buffer_load_dword v66, v67, s[0:3], 0 offen offset:4
	v_mov_b32_e32 v67, s12
	ds_read_b64 v[67:68], v67
	v_add_u32_e32 v64, -1, v64
	s_add_i32 s12, s12, 8
	s_add_i32 s14, s14, 8
	v_cmp_eq_u32_e32 vcc, 0, v64
	s_or_b64 s[4:5], vcc, s[4:5]
	s_waitcnt vmcnt(0) lgkmcnt(0)
	v_fma_f64 v[59:60], v[65:66], v[67:68], v[59:60]
	s_andn2_b64 exec, exec, s[4:5]
	s_cbranch_execnz .LBB92_273
; %bb.274:
	s_or_b64 exec, exec, s[4:5]
.LBB92_275:
	s_or_b64 exec, exec, s[8:9]
	v_mov_b32_e32 v64, 0
	ds_read_b64 v[64:65], v64
	s_waitcnt lgkmcnt(0)
	v_mul_f64 v[59:60], v[59:60], v[64:65]
	buffer_store_dword v60, off, s[0:3], 0 offset:4
	buffer_store_dword v59, off, s[0:3], 0
.LBB92_276:
	s_or_b64 exec, exec, s[6:7]
	s_mov_b64 s[4:5], 0
.LBB92_277:
	s_and_b64 vcc, exec, s[4:5]
	s_cbranch_vccz .LBB92_549
; %bb.278:
	buffer_load_dword v59, off, s[0:3], 0 offset:8
	buffer_load_dword v60, off, s[0:3], 0 offset:12
	v_cmp_eq_u32_e64 s[6:7], 0, v0
	s_waitcnt vmcnt(0)
	ds_write_b64 v62, v[59:60]
	s_waitcnt lgkmcnt(0)
	; wave barrier
	s_and_saveexec_b64 s[4:5], s[6:7]
	s_cbranch_execz .LBB92_284
; %bb.279:
	s_and_b64 vcc, exec, s[10:11]
	s_cbranch_vccz .LBB92_281
; %bb.280:
	buffer_load_dword v59, v63, s[0:3], 0 offen
	buffer_load_dword v60, v63, s[0:3], 0 offen offset:4
	ds_read_b64 v[64:65], v62
	s_waitcnt vmcnt(0) lgkmcnt(0)
	v_mul_f64 v[59:60], v[59:60], v[64:65]
	s_cbranch_execz .LBB92_282
	s_branch .LBB92_283
.LBB92_281:
                                        ; implicit-def: $vgpr59_vgpr60
.LBB92_282:
	ds_read_b64 v[59:60], v62
.LBB92_283:
	v_mov_b32_e32 v64, 0
	ds_read_b64 v[64:65], v64 offset:8
	s_waitcnt lgkmcnt(0)
	v_mul_f64 v[59:60], v[59:60], v[64:65]
	buffer_store_dword v60, off, s[0:3], 0 offset:12
	buffer_store_dword v59, off, s[0:3], 0 offset:8
.LBB92_284:
	s_or_b64 exec, exec, s[4:5]
	buffer_load_dword v59, off, s[0:3], 0 offset:16
	buffer_load_dword v60, off, s[0:3], 0 offset:20
	v_cndmask_b32_e64 v64, 0, 1, s[10:11]
	v_cmp_gt_u32_e32 vcc, 2, v0
	v_cmp_ne_u32_e64 s[4:5], 1, v64
	s_waitcnt vmcnt(0)
	ds_write_b64 v62, v[59:60]
	s_waitcnt lgkmcnt(0)
	; wave barrier
	s_and_saveexec_b64 s[8:9], vcc
	s_cbranch_execz .LBB92_290
; %bb.285:
	s_and_b64 vcc, exec, s[4:5]
	s_cbranch_vccnz .LBB92_287
; %bb.286:
	buffer_load_dword v59, v63, s[0:3], 0 offen
	buffer_load_dword v60, v63, s[0:3], 0 offen offset:4
	ds_read_b64 v[64:65], v62
	s_waitcnt vmcnt(0) lgkmcnt(0)
	v_mul_f64 v[59:60], v[59:60], v[64:65]
	s_cbranch_execz .LBB92_288
	s_branch .LBB92_289
.LBB92_287:
                                        ; implicit-def: $vgpr59_vgpr60
.LBB92_288:
	ds_read_b64 v[59:60], v62
.LBB92_289:
	buffer_load_dword v68, off, s[0:3], 0 offset:8
	buffer_load_dword v69, off, s[0:3], 0 offset:12
	v_mov_b32_e32 v64, 0
	ds_read2_b64 v[64:67], v64 offset0:2 offset1:31
	s_waitcnt vmcnt(0) lgkmcnt(0)
	v_fma_f64 v[66:67], v[68:69], v[66:67], v[59:60]
	v_cndmask_b32_e64 v60, v60, v67, s[6:7]
	v_cndmask_b32_e64 v59, v59, v66, s[6:7]
	v_mul_f64 v[59:60], v[59:60], v[64:65]
	buffer_store_dword v60, off, s[0:3], 0 offset:20
	buffer_store_dword v59, off, s[0:3], 0 offset:16
.LBB92_290:
	s_or_b64 exec, exec, s[8:9]
	buffer_load_dword v59, off, s[0:3], 0 offset:24
	buffer_load_dword v60, off, s[0:3], 0 offset:28
	v_cmp_gt_u32_e32 vcc, 3, v0
	s_waitcnt vmcnt(0)
	ds_write_b64 v62, v[59:60]
	s_waitcnt lgkmcnt(0)
	; wave barrier
	s_and_saveexec_b64 s[8:9], vcc
	s_cbranch_execz .LBB92_298
; %bb.291:
	s_and_b64 vcc, exec, s[4:5]
	s_cbranch_vccnz .LBB92_293
; %bb.292:
	buffer_load_dword v59, v63, s[0:3], 0 offen
	buffer_load_dword v60, v63, s[0:3], 0 offen offset:4
	ds_read_b64 v[64:65], v62
	s_waitcnt vmcnt(0) lgkmcnt(0)
	v_mul_f64 v[59:60], v[59:60], v[64:65]
	s_cbranch_execz .LBB92_294
	s_branch .LBB92_295
.LBB92_293:
                                        ; implicit-def: $vgpr59_vgpr60
.LBB92_294:
	ds_read_b64 v[59:60], v62
.LBB92_295:
	v_cmp_ne_u32_e32 vcc, 2, v0
	s_and_saveexec_b64 s[10:11], vcc
	s_cbranch_execz .LBB92_297
; %bb.296:
	buffer_load_dword v64, v63, s[0:3], 0 offen offset:8
	buffer_load_dword v65, v63, s[0:3], 0 offen offset:12
	buffer_load_dword v66, off, s[0:3], 0 offset:16
	buffer_load_dword v67, off, s[0:3], 0 offset:20
	ds_read_b64 v[68:69], v62 offset:8
	v_mov_b32_e32 v70, 0
	ds_read_b64 v[70:71], v70 offset:256
	s_waitcnt vmcnt(2) lgkmcnt(1)
	v_fma_f64 v[59:60], v[64:65], v[68:69], v[59:60]
	s_waitcnt vmcnt(0) lgkmcnt(0)
	v_fma_f64 v[64:65], v[66:67], v[70:71], v[59:60]
	v_cndmask_b32_e64 v60, v60, v65, s[6:7]
	v_cndmask_b32_e64 v59, v59, v64, s[6:7]
.LBB92_297:
	s_or_b64 exec, exec, s[10:11]
	v_mov_b32_e32 v64, 0
	ds_read_b64 v[64:65], v64 offset:24
	s_waitcnt lgkmcnt(0)
	v_mul_f64 v[59:60], v[59:60], v[64:65]
	buffer_store_dword v60, off, s[0:3], 0 offset:28
	buffer_store_dword v59, off, s[0:3], 0 offset:24
.LBB92_298:
	s_or_b64 exec, exec, s[8:9]
	buffer_load_dword v59, off, s[0:3], 0 offset:32
	buffer_load_dword v60, off, s[0:3], 0 offset:36
	v_cmp_gt_u32_e32 vcc, 4, v0
	s_waitcnt vmcnt(0)
	ds_write_b64 v62, v[59:60]
	s_waitcnt lgkmcnt(0)
	; wave barrier
	s_and_saveexec_b64 s[6:7], vcc
	s_cbranch_execz .LBB92_308
; %bb.299:
	s_and_b64 vcc, exec, s[4:5]
	s_cbranch_vccnz .LBB92_301
; %bb.300:
	buffer_load_dword v59, v63, s[0:3], 0 offen
	buffer_load_dword v60, v63, s[0:3], 0 offen offset:4
	ds_read_b64 v[64:65], v62
	s_waitcnt vmcnt(0) lgkmcnt(0)
	v_mul_f64 v[59:60], v[59:60], v[64:65]
	s_cbranch_execz .LBB92_302
	s_branch .LBB92_303
.LBB92_301:
                                        ; implicit-def: $vgpr59_vgpr60
.LBB92_302:
	ds_read_b64 v[59:60], v62
.LBB92_303:
	v_cmp_ne_u32_e32 vcc, 3, v0
	s_and_saveexec_b64 s[8:9], vcc
	s_cbranch_execz .LBB92_307
; %bb.304:
	s_mov_b32 s10, 0
	v_add_u32_e32 v64, 0xf8, v61
	v_add3_u32 v65, v61, s10, 8
	s_mov_b64 s[10:11], 0
	v_mov_b32_e32 v66, v0
.LBB92_305:                             ; =>This Inner Loop Header: Depth=1
	buffer_load_dword v67, v65, s[0:3], 0 offen
	buffer_load_dword v68, v65, s[0:3], 0 offen offset:4
	ds_read_b64 v[69:70], v64
	v_add_u32_e32 v66, 1, v66
	v_cmp_lt_u32_e32 vcc, 2, v66
	v_add_u32_e32 v64, 8, v64
	s_or_b64 s[10:11], vcc, s[10:11]
	v_add_u32_e32 v65, 8, v65
	s_waitcnt vmcnt(0) lgkmcnt(0)
	v_fma_f64 v[59:60], v[67:68], v[69:70], v[59:60]
	s_andn2_b64 exec, exec, s[10:11]
	s_cbranch_execnz .LBB92_305
; %bb.306:
	s_or_b64 exec, exec, s[10:11]
.LBB92_307:
	s_or_b64 exec, exec, s[8:9]
	v_mov_b32_e32 v64, 0
	ds_read_b64 v[64:65], v64 offset:32
	s_waitcnt lgkmcnt(0)
	v_mul_f64 v[59:60], v[59:60], v[64:65]
	buffer_store_dword v60, off, s[0:3], 0 offset:36
	buffer_store_dword v59, off, s[0:3], 0 offset:32
.LBB92_308:
	s_or_b64 exec, exec, s[6:7]
	buffer_load_dword v59, off, s[0:3], 0 offset:40
	buffer_load_dword v60, off, s[0:3], 0 offset:44
	v_cmp_gt_u32_e32 vcc, 5, v0
	s_waitcnt vmcnt(0)
	ds_write_b64 v62, v[59:60]
	s_waitcnt lgkmcnt(0)
	; wave barrier
	s_and_saveexec_b64 s[6:7], vcc
	s_cbranch_execz .LBB92_318
; %bb.309:
	s_and_b64 vcc, exec, s[4:5]
	s_cbranch_vccnz .LBB92_311
; %bb.310:
	buffer_load_dword v59, v63, s[0:3], 0 offen
	buffer_load_dword v60, v63, s[0:3], 0 offen offset:4
	ds_read_b64 v[64:65], v62
	s_waitcnt vmcnt(0) lgkmcnt(0)
	v_mul_f64 v[59:60], v[59:60], v[64:65]
	s_cbranch_execz .LBB92_312
	s_branch .LBB92_313
.LBB92_311:
                                        ; implicit-def: $vgpr59_vgpr60
.LBB92_312:
	ds_read_b64 v[59:60], v62
.LBB92_313:
	v_cmp_ne_u32_e32 vcc, 4, v0
	s_and_saveexec_b64 s[8:9], vcc
	s_cbranch_execz .LBB92_317
; %bb.314:
	s_mov_b32 s10, 0
	v_add_u32_e32 v64, 0xf8, v61
	v_add3_u32 v65, v61, s10, 8
	s_mov_b64 s[10:11], 0
	v_mov_b32_e32 v66, v0
.LBB92_315:                             ; =>This Inner Loop Header: Depth=1
	buffer_load_dword v67, v65, s[0:3], 0 offen
	buffer_load_dword v68, v65, s[0:3], 0 offen offset:4
	ds_read_b64 v[69:70], v64
	v_add_u32_e32 v66, 1, v66
	v_cmp_lt_u32_e32 vcc, 3, v66
	v_add_u32_e32 v64, 8, v64
	s_or_b64 s[10:11], vcc, s[10:11]
	v_add_u32_e32 v65, 8, v65
	s_waitcnt vmcnt(0) lgkmcnt(0)
	v_fma_f64 v[59:60], v[67:68], v[69:70], v[59:60]
	s_andn2_b64 exec, exec, s[10:11]
	s_cbranch_execnz .LBB92_315
; %bb.316:
	s_or_b64 exec, exec, s[10:11]
.LBB92_317:
	s_or_b64 exec, exec, s[8:9]
	v_mov_b32_e32 v64, 0
	ds_read_b64 v[64:65], v64 offset:40
	s_waitcnt lgkmcnt(0)
	v_mul_f64 v[59:60], v[59:60], v[64:65]
	buffer_store_dword v60, off, s[0:3], 0 offset:44
	buffer_store_dword v59, off, s[0:3], 0 offset:40
.LBB92_318:
	;; [unrolled: 59-line block ×23, first 2 shown]
	s_or_b64 exec, exec, s[6:7]
	buffer_load_dword v59, off, s[0:3], 0 offset:216
	buffer_load_dword v60, off, s[0:3], 0 offset:220
	v_cmp_gt_u32_e64 s[6:7], 27, v0
	s_waitcnt vmcnt(0)
	ds_write_b64 v62, v[59:60]
	s_waitcnt lgkmcnt(0)
	; wave barrier
	s_and_saveexec_b64 s[8:9], s[6:7]
	s_cbranch_execz .LBB92_538
; %bb.529:
	s_and_b64 vcc, exec, s[4:5]
	s_cbranch_vccnz .LBB92_531
; %bb.530:
	buffer_load_dword v59, v63, s[0:3], 0 offen
	buffer_load_dword v60, v63, s[0:3], 0 offen offset:4
	ds_read_b64 v[64:65], v62
	s_waitcnt vmcnt(0) lgkmcnt(0)
	v_mul_f64 v[59:60], v[59:60], v[64:65]
	s_cbranch_execz .LBB92_532
	s_branch .LBB92_533
.LBB92_531:
                                        ; implicit-def: $vgpr59_vgpr60
.LBB92_532:
	ds_read_b64 v[59:60], v62
.LBB92_533:
	v_cmp_ne_u32_e32 vcc, 26, v0
	s_and_saveexec_b64 s[10:11], vcc
	s_cbranch_execz .LBB92_537
; %bb.534:
	s_mov_b32 s12, 0
	v_add_u32_e32 v64, 0xf8, v61
	v_add3_u32 v65, v61, s12, 8
	s_mov_b64 s[12:13], 0
	v_mov_b32_e32 v66, v0
.LBB92_535:                             ; =>This Inner Loop Header: Depth=1
	buffer_load_dword v67, v65, s[0:3], 0 offen
	buffer_load_dword v68, v65, s[0:3], 0 offen offset:4
	ds_read_b64 v[69:70], v64
	v_add_u32_e32 v66, 1, v66
	v_cmp_lt_u32_e32 vcc, 25, v66
	v_add_u32_e32 v64, 8, v64
	s_or_b64 s[12:13], vcc, s[12:13]
	v_add_u32_e32 v65, 8, v65
	s_waitcnt vmcnt(0) lgkmcnt(0)
	v_fma_f64 v[59:60], v[67:68], v[69:70], v[59:60]
	s_andn2_b64 exec, exec, s[12:13]
	s_cbranch_execnz .LBB92_535
; %bb.536:
	s_or_b64 exec, exec, s[12:13]
.LBB92_537:
	s_or_b64 exec, exec, s[10:11]
	v_mov_b32_e32 v64, 0
	ds_read_b64 v[64:65], v64 offset:216
	s_waitcnt lgkmcnt(0)
	v_mul_f64 v[59:60], v[59:60], v[64:65]
	buffer_store_dword v60, off, s[0:3], 0 offset:220
	buffer_store_dword v59, off, s[0:3], 0 offset:216
.LBB92_538:
	s_or_b64 exec, exec, s[8:9]
	buffer_load_dword v59, off, s[0:3], 0 offset:224
	buffer_load_dword v60, off, s[0:3], 0 offset:228
	v_cmp_ne_u32_e32 vcc, 28, v0
	s_waitcnt vmcnt(0)
	ds_write_b64 v62, v[59:60]
	s_waitcnt lgkmcnt(0)
	; wave barrier
	s_and_saveexec_b64 s[8:9], vcc
	s_cbranch_execz .LBB92_548
; %bb.539:
	s_and_b64 vcc, exec, s[4:5]
	s_cbranch_vccnz .LBB92_541
; %bb.540:
	buffer_load_dword v59, v63, s[0:3], 0 offen
	buffer_load_dword v60, v63, s[0:3], 0 offen offset:4
	ds_read_b64 v[63:64], v62
	s_waitcnt vmcnt(0) lgkmcnt(0)
	v_mul_f64 v[59:60], v[59:60], v[63:64]
	s_cbranch_execz .LBB92_542
	s_branch .LBB92_543
.LBB92_541:
                                        ; implicit-def: $vgpr59_vgpr60
.LBB92_542:
	ds_read_b64 v[59:60], v62
.LBB92_543:
	s_and_saveexec_b64 s[4:5], s[6:7]
	s_cbranch_execz .LBB92_547
; %bb.544:
	s_mov_b32 s6, 0
	v_add_u32_e32 v62, 0xf8, v61
	v_add3_u32 v61, v61, s6, 8
	s_mov_b64 s[6:7], 0
.LBB92_545:                             ; =>This Inner Loop Header: Depth=1
	buffer_load_dword v63, v61, s[0:3], 0 offen
	buffer_load_dword v64, v61, s[0:3], 0 offen offset:4
	ds_read_b64 v[65:66], v62
	v_add_u32_e32 v0, 1, v0
	v_cmp_lt_u32_e32 vcc, 26, v0
	v_add_u32_e32 v62, 8, v62
	s_or_b64 s[6:7], vcc, s[6:7]
	v_add_u32_e32 v61, 8, v61
	s_waitcnt vmcnt(0) lgkmcnt(0)
	v_fma_f64 v[59:60], v[63:64], v[65:66], v[59:60]
	s_andn2_b64 exec, exec, s[6:7]
	s_cbranch_execnz .LBB92_545
; %bb.546:
	s_or_b64 exec, exec, s[6:7]
.LBB92_547:
	s_or_b64 exec, exec, s[4:5]
	v_mov_b32_e32 v0, 0
	ds_read_b64 v[61:62], v0 offset:224
	s_waitcnt lgkmcnt(0)
	v_mul_f64 v[59:60], v[59:60], v[61:62]
	buffer_store_dword v60, off, s[0:3], 0 offset:228
	buffer_store_dword v59, off, s[0:3], 0 offset:224
.LBB92_548:
	s_or_b64 exec, exec, s[8:9]
.LBB92_549:
	buffer_load_dword v59, off, s[0:3], 0
	buffer_load_dword v60, off, s[0:3], 0 offset:4
	s_waitcnt vmcnt(0)
	flat_store_dwordx2 v[1:2], v[59:60]
	buffer_load_dword v0, off, s[0:3], 0 offset:8
	s_nop 0
	buffer_load_dword v1, off, s[0:3], 0 offset:12
	s_waitcnt vmcnt(0)
	flat_store_dwordx2 v[3:4], v[0:1]
	buffer_load_dword v0, off, s[0:3], 0 offset:16
	s_nop 0
	;; [unrolled: 5-line block ×28, first 2 shown]
	buffer_load_dword v1, off, s[0:3], 0 offset:228
	s_waitcnt vmcnt(0)
	flat_store_dwordx2 v[57:58], v[0:1]
.LBB92_550:
	s_endpgm
	.section	.rodata,"a",@progbits
	.p2align	6, 0x0
	.amdhsa_kernel _ZN9rocsolver6v33100L18trti2_kernel_smallILi29EdPKPdEEv13rocblas_fill_17rocblas_diagonal_T1_iil
		.amdhsa_group_segment_fixed_size 472
		.amdhsa_private_segment_fixed_size 240
		.amdhsa_kernarg_size 32
		.amdhsa_user_sgpr_count 6
		.amdhsa_user_sgpr_private_segment_buffer 1
		.amdhsa_user_sgpr_dispatch_ptr 0
		.amdhsa_user_sgpr_queue_ptr 0
		.amdhsa_user_sgpr_kernarg_segment_ptr 1
		.amdhsa_user_sgpr_dispatch_id 0
		.amdhsa_user_sgpr_flat_scratch_init 0
		.amdhsa_user_sgpr_private_segment_size 0
		.amdhsa_uses_dynamic_stack 0
		.amdhsa_system_sgpr_private_segment_wavefront_offset 1
		.amdhsa_system_sgpr_workgroup_id_x 1
		.amdhsa_system_sgpr_workgroup_id_y 0
		.amdhsa_system_sgpr_workgroup_id_z 0
		.amdhsa_system_sgpr_workgroup_info 0
		.amdhsa_system_vgpr_workitem_id 0
		.amdhsa_next_free_vgpr 72
		.amdhsa_next_free_sgpr 42
		.amdhsa_reserve_vcc 1
		.amdhsa_reserve_flat_scratch 0
		.amdhsa_float_round_mode_32 0
		.amdhsa_float_round_mode_16_64 0
		.amdhsa_float_denorm_mode_32 3
		.amdhsa_float_denorm_mode_16_64 3
		.amdhsa_dx10_clamp 1
		.amdhsa_ieee_mode 1
		.amdhsa_fp16_overflow 0
		.amdhsa_exception_fp_ieee_invalid_op 0
		.amdhsa_exception_fp_denorm_src 0
		.amdhsa_exception_fp_ieee_div_zero 0
		.amdhsa_exception_fp_ieee_overflow 0
		.amdhsa_exception_fp_ieee_underflow 0
		.amdhsa_exception_fp_ieee_inexact 0
		.amdhsa_exception_int_div_zero 0
	.end_amdhsa_kernel
	.section	.text._ZN9rocsolver6v33100L18trti2_kernel_smallILi29EdPKPdEEv13rocblas_fill_17rocblas_diagonal_T1_iil,"axG",@progbits,_ZN9rocsolver6v33100L18trti2_kernel_smallILi29EdPKPdEEv13rocblas_fill_17rocblas_diagonal_T1_iil,comdat
.Lfunc_end92:
	.size	_ZN9rocsolver6v33100L18trti2_kernel_smallILi29EdPKPdEEv13rocblas_fill_17rocblas_diagonal_T1_iil, .Lfunc_end92-_ZN9rocsolver6v33100L18trti2_kernel_smallILi29EdPKPdEEv13rocblas_fill_17rocblas_diagonal_T1_iil
                                        ; -- End function
	.set _ZN9rocsolver6v33100L18trti2_kernel_smallILi29EdPKPdEEv13rocblas_fill_17rocblas_diagonal_T1_iil.num_vgpr, 72
	.set _ZN9rocsolver6v33100L18trti2_kernel_smallILi29EdPKPdEEv13rocblas_fill_17rocblas_diagonal_T1_iil.num_agpr, 0
	.set _ZN9rocsolver6v33100L18trti2_kernel_smallILi29EdPKPdEEv13rocblas_fill_17rocblas_diagonal_T1_iil.numbered_sgpr, 42
	.set _ZN9rocsolver6v33100L18trti2_kernel_smallILi29EdPKPdEEv13rocblas_fill_17rocblas_diagonal_T1_iil.num_named_barrier, 0
	.set _ZN9rocsolver6v33100L18trti2_kernel_smallILi29EdPKPdEEv13rocblas_fill_17rocblas_diagonal_T1_iil.private_seg_size, 240
	.set _ZN9rocsolver6v33100L18trti2_kernel_smallILi29EdPKPdEEv13rocblas_fill_17rocblas_diagonal_T1_iil.uses_vcc, 1
	.set _ZN9rocsolver6v33100L18trti2_kernel_smallILi29EdPKPdEEv13rocblas_fill_17rocblas_diagonal_T1_iil.uses_flat_scratch, 0
	.set _ZN9rocsolver6v33100L18trti2_kernel_smallILi29EdPKPdEEv13rocblas_fill_17rocblas_diagonal_T1_iil.has_dyn_sized_stack, 0
	.set _ZN9rocsolver6v33100L18trti2_kernel_smallILi29EdPKPdEEv13rocblas_fill_17rocblas_diagonal_T1_iil.has_recursion, 0
	.set _ZN9rocsolver6v33100L18trti2_kernel_smallILi29EdPKPdEEv13rocblas_fill_17rocblas_diagonal_T1_iil.has_indirect_call, 0
	.section	.AMDGPU.csdata,"",@progbits
; Kernel info:
; codeLenInByte = 16952
; TotalNumSgprs: 46
; NumVgprs: 72
; ScratchSize: 240
; MemoryBound: 0
; FloatMode: 240
; IeeeMode: 1
; LDSByteSize: 472 bytes/workgroup (compile time only)
; SGPRBlocks: 5
; VGPRBlocks: 17
; NumSGPRsForWavesPerEU: 46
; NumVGPRsForWavesPerEU: 72
; Occupancy: 3
; WaveLimiterHint : 1
; COMPUTE_PGM_RSRC2:SCRATCH_EN: 1
; COMPUTE_PGM_RSRC2:USER_SGPR: 6
; COMPUTE_PGM_RSRC2:TRAP_HANDLER: 0
; COMPUTE_PGM_RSRC2:TGID_X_EN: 1
; COMPUTE_PGM_RSRC2:TGID_Y_EN: 0
; COMPUTE_PGM_RSRC2:TGID_Z_EN: 0
; COMPUTE_PGM_RSRC2:TIDIG_COMP_CNT: 0
	.section	.text._ZN9rocsolver6v33100L18trti2_kernel_smallILi30EdPKPdEEv13rocblas_fill_17rocblas_diagonal_T1_iil,"axG",@progbits,_ZN9rocsolver6v33100L18trti2_kernel_smallILi30EdPKPdEEv13rocblas_fill_17rocblas_diagonal_T1_iil,comdat
	.globl	_ZN9rocsolver6v33100L18trti2_kernel_smallILi30EdPKPdEEv13rocblas_fill_17rocblas_diagonal_T1_iil ; -- Begin function _ZN9rocsolver6v33100L18trti2_kernel_smallILi30EdPKPdEEv13rocblas_fill_17rocblas_diagonal_T1_iil
	.p2align	8
	.type	_ZN9rocsolver6v33100L18trti2_kernel_smallILi30EdPKPdEEv13rocblas_fill_17rocblas_diagonal_T1_iil,@function
_ZN9rocsolver6v33100L18trti2_kernel_smallILi30EdPKPdEEv13rocblas_fill_17rocblas_diagonal_T1_iil: ; @_ZN9rocsolver6v33100L18trti2_kernel_smallILi30EdPKPdEEv13rocblas_fill_17rocblas_diagonal_T1_iil
; %bb.0:
	s_add_u32 s0, s0, s7
	s_addc_u32 s1, s1, 0
	v_cmp_gt_u32_e32 vcc, 30, v0
	s_and_saveexec_b64 s[8:9], vcc
	s_cbranch_execz .LBB93_570
; %bb.1:
	s_load_dwordx2 s[12:13], s[4:5], 0x10
	s_load_dwordx4 s[8:11], s[4:5], 0x0
	s_ashr_i32 s7, s6, 31
	s_lshl_b64 s[6:7], s[6:7], 3
	v_lshlrev_b32_e32 v63, 3, v0
	s_waitcnt lgkmcnt(0)
	s_ashr_i32 s5, s12, 31
	s_add_u32 s6, s10, s6
	s_addc_u32 s7, s11, s7
	s_load_dwordx2 s[6:7], s[6:7], 0x0
	s_mov_b32 s4, s12
	s_lshl_b64 s[4:5], s[4:5], 3
	s_waitcnt lgkmcnt(0)
	s_add_u32 s4, s6, s4
	s_addc_u32 s5, s7, s5
	v_mov_b32_e32 v2, s5
	v_add_co_u32_e32 v1, vcc, s4, v63
	v_addc_co_u32_e32 v2, vcc, 0, v2, vcc
	flat_load_dwordx2 v[5:6], v[1:2]
	s_mov_b32 s6, s13
	s_ashr_i32 s7, s13, 31
	s_lshl_b64 s[6:7], s[6:7], 3
	v_mov_b32_e32 v4, s7
	v_add_co_u32_e32 v3, vcc, s6, v1
	v_addc_co_u32_e32 v4, vcc, v2, v4, vcc
	s_add_i32 s6, s13, s13
	v_add_u32_e32 v9, s6, v0
	v_ashrrev_i32_e32 v10, 31, v9
	v_mov_b32_e32 v11, s5
	v_add_u32_e32 v12, s13, v9
	v_ashrrev_i32_e32 v13, 31, v12
	v_mov_b32_e32 v14, s5
	v_mov_b32_e32 v15, s5
	;; [unrolled: 1-line block ×26, first 2 shown]
	s_cmpk_lg_i32 s9, 0x84
	s_cselect_b64 s[10:11], -1, 0
	s_cmpk_eq_i32 s9, 0x84
	s_waitcnt vmcnt(0) lgkmcnt(0)
	buffer_store_dword v6, off, s[0:3], 0 offset:4
	buffer_store_dword v5, off, s[0:3], 0
	flat_load_dwordx2 v[7:8], v[3:4]
	v_lshlrev_b64 v[5:6], 3, v[9:10]
	s_waitcnt vmcnt(0) lgkmcnt(0)
	buffer_store_dword v8, off, s[0:3], 0 offset:12
	buffer_store_dword v7, off, s[0:3], 0 offset:8
	v_add_co_u32_e32 v5, vcc, s4, v5
	v_addc_co_u32_e32 v6, vcc, v11, v6, vcc
	flat_load_dwordx2 v[10:11], v[5:6]
	v_lshlrev_b64 v[7:8], 3, v[12:13]
	s_waitcnt vmcnt(0) lgkmcnt(0)
	buffer_store_dword v11, off, s[0:3], 0 offset:20
	buffer_store_dword v10, off, s[0:3], 0 offset:16
	v_add_co_u32_e32 v7, vcc, s4, v7
	v_addc_co_u32_e32 v8, vcc, v14, v8, vcc
	flat_load_dwordx2 v[13:14], v[7:8]
	v_add_u32_e32 v11, s13, v12
	v_ashrrev_i32_e32 v12, 31, v11
	v_lshlrev_b64 v[9:10], 3, v[11:12]
	s_waitcnt vmcnt(0) lgkmcnt(0)
	buffer_store_dword v14, off, s[0:3], 0 offset:28
	buffer_store_dword v13, off, s[0:3], 0 offset:24
	v_add_co_u32_e32 v9, vcc, s4, v9
	v_addc_co_u32_e32 v10, vcc, v15, v10, vcc
	flat_load_dwordx2 v[13:14], v[9:10]
	v_add_u32_e32 v15, s13, v11
	v_ashrrev_i32_e32 v16, 31, v15
	v_lshlrev_b64 v[11:12], 3, v[15:16]
	v_add_u32_e32 v18, s13, v15
	v_add_co_u32_e32 v11, vcc, s4, v11
	v_addc_co_u32_e32 v12, vcc, v17, v12, vcc
	v_ashrrev_i32_e32 v19, 31, v18
	s_waitcnt vmcnt(0) lgkmcnt(0)
	buffer_store_dword v14, off, s[0:3], 0 offset:36
	buffer_store_dword v13, off, s[0:3], 0 offset:32
	flat_load_dwordx2 v[16:17], v[11:12]
	v_lshlrev_b64 v[13:14], 3, v[18:19]
	s_waitcnt vmcnt(0) lgkmcnt(0)
	buffer_store_dword v17, off, s[0:3], 0 offset:44
	buffer_store_dword v16, off, s[0:3], 0 offset:40
	v_add_co_u32_e32 v13, vcc, s4, v13
	v_addc_co_u32_e32 v14, vcc, v20, v14, vcc
	flat_load_dwordx2 v[19:20], v[13:14]
	v_add_u32_e32 v17, s13, v18
	v_ashrrev_i32_e32 v18, 31, v17
	v_lshlrev_b64 v[15:16], 3, v[17:18]
	s_waitcnt vmcnt(0) lgkmcnt(0)
	buffer_store_dword v20, off, s[0:3], 0 offset:52
	buffer_store_dword v19, off, s[0:3], 0 offset:48
	v_add_co_u32_e32 v15, vcc, s4, v15
	v_addc_co_u32_e32 v16, vcc, v21, v16, vcc
	flat_load_dwordx2 v[19:20], v[15:16]
	v_add_u32_e32 v21, s13, v17
	v_ashrrev_i32_e32 v22, 31, v21
	v_lshlrev_b64 v[17:18], 3, v[21:22]
	v_add_u32_e32 v24, s13, v21
	v_add_co_u32_e32 v17, vcc, s4, v17
	v_addc_co_u32_e32 v18, vcc, v23, v18, vcc
	v_ashrrev_i32_e32 v25, 31, v24
	s_waitcnt vmcnt(0) lgkmcnt(0)
	buffer_store_dword v20, off, s[0:3], 0 offset:60
	buffer_store_dword v19, off, s[0:3], 0 offset:56
	;; [unrolled: 27-line block ×7, first 2 shown]
	flat_load_dwordx2 v[52:53], v[47:48]
	v_lshlrev_b64 v[49:50], 3, v[54:55]
	s_waitcnt vmcnt(0) lgkmcnt(0)
	buffer_store_dword v53, off, s[0:3], 0 offset:188
	buffer_store_dword v52, off, s[0:3], 0 offset:184
	v_add_co_u32_e32 v49, vcc, s4, v49
	v_addc_co_u32_e32 v50, vcc, v56, v50, vcc
	flat_load_dwordx2 v[55:56], v[49:50]
	v_add_u32_e32 v53, s13, v54
	v_ashrrev_i32_e32 v54, 31, v53
	v_lshlrev_b64 v[51:52], 3, v[53:54]
	s_waitcnt vmcnt(0) lgkmcnt(0)
	buffer_store_dword v56, off, s[0:3], 0 offset:196
	buffer_store_dword v55, off, s[0:3], 0 offset:192
	v_add_co_u32_e32 v51, vcc, s4, v51
	v_addc_co_u32_e32 v52, vcc, v57, v52, vcc
	flat_load_dwordx2 v[55:56], v[51:52]
	v_add_u32_e32 v57, s13, v53
	v_ashrrev_i32_e32 v58, 31, v57
	v_lshlrev_b64 v[53:54], 3, v[57:58]
	v_add_u32_e32 v60, s13, v57
	v_add_co_u32_e32 v53, vcc, s4, v53
	v_addc_co_u32_e32 v54, vcc, v59, v54, vcc
	s_waitcnt vmcnt(0) lgkmcnt(0)
	buffer_store_dword v56, off, s[0:3], 0 offset:204
	buffer_store_dword v55, off, s[0:3], 0 offset:200
	flat_load_dwordx2 v[58:59], v[53:54]
	v_ashrrev_i32_e32 v61, 31, v60
	v_lshlrev_b64 v[55:56], 3, v[60:61]
	s_waitcnt vmcnt(0) lgkmcnt(0)
	buffer_store_dword v59, off, s[0:3], 0 offset:212
	buffer_store_dword v58, off, s[0:3], 0 offset:208
	v_add_co_u32_e32 v55, vcc, s4, v55
	v_addc_co_u32_e32 v56, vcc, v62, v56, vcc
	flat_load_dwordx2 v[61:62], v[55:56]
	v_add_u32_e32 v59, s13, v60
	v_ashrrev_i32_e32 v60, 31, v59
	v_lshlrev_b64 v[57:58], 3, v[59:60]
	v_add_u32_e32 v59, s13, v59
	v_add_co_u32_e32 v57, vcc, s4, v57
	v_addc_co_u32_e32 v58, vcc, v64, v58, vcc
	s_waitcnt vmcnt(0) lgkmcnt(0)
	buffer_store_dword v62, off, s[0:3], 0 offset:220
	buffer_store_dword v61, off, s[0:3], 0 offset:216
	flat_load_dwordx2 v[61:62], v[57:58]
	v_ashrrev_i32_e32 v60, 31, v59
	v_lshlrev_b64 v[59:60], 3, v[59:60]
	s_waitcnt vmcnt(0) lgkmcnt(0)
	buffer_store_dword v62, off, s[0:3], 0 offset:228
	buffer_store_dword v61, off, s[0:3], 0 offset:224
	v_add_co_u32_e32 v59, vcc, s4, v59
	v_addc_co_u32_e32 v60, vcc, v64, v60, vcc
	flat_load_dwordx2 v[64:65], v[59:60]
	v_mov_b32_e32 v61, 0
	v_mov_b32_e32 v62, 0xbff00000
	s_waitcnt vmcnt(0) lgkmcnt(0)
	buffer_store_dword v65, off, s[0:3], 0 offset:236
	buffer_store_dword v64, off, s[0:3], 0 offset:232
	s_cbranch_scc1 .LBB93_3
; %bb.2:
	v_mov_b32_e32 v61, 0
	v_lshl_add_u32 v72, v0, 3, v61
	buffer_load_dword v61, v72, s[0:3], 0 offen
	buffer_load_dword v62, v72, s[0:3], 0 offen offset:4
	s_waitcnt vmcnt(0)
	v_div_scale_f64 v[64:65], s[4:5], v[61:62], v[61:62], 1.0
	v_rcp_f64_e32 v[66:67], v[64:65]
	v_fma_f64 v[68:69], -v[64:65], v[66:67], 1.0
	v_fma_f64 v[66:67], v[66:67], v[68:69], v[66:67]
	v_div_scale_f64 v[68:69], vcc, 1.0, v[61:62], 1.0
	v_fma_f64 v[70:71], -v[64:65], v[66:67], 1.0
	v_fma_f64 v[66:67], v[66:67], v[70:71], v[66:67]
	v_mul_f64 v[70:71], v[68:69], v[66:67]
	v_fma_f64 v[64:65], -v[64:65], v[70:71], v[68:69]
	v_div_fmas_f64 v[64:65], v[64:65], v[66:67], v[70:71]
	v_div_fixup_f64 v[61:62], v[64:65], v[61:62], 1.0
	buffer_store_dword v61, v72, s[0:3], 0 offen
	buffer_store_dword v62, v72, s[0:3], 0 offen offset:4
	v_xor_b32_e32 v62, 0x80000000, v62
.LBB93_3:
	s_cmpk_eq_i32 s8, 0x79
	v_add_u32_e32 v64, 0xf0, v63
	v_mov_b32_e32 v65, v63
	s_mov_b64 s[4:5], -1
	ds_write_b64 v63, v[61:62]
	s_cbranch_scc1 .LBB93_287
; %bb.4:
	buffer_load_dword v61, off, s[0:3], 0 offset:224
	buffer_load_dword v62, off, s[0:3], 0 offset:228
	s_movk_i32 s12, 0x48
	s_movk_i32 s13, 0x50
	;; [unrolled: 1-line block ×19, first 2 shown]
	v_cmp_eq_u32_e64 s[4:5], 29, v0
	s_waitcnt vmcnt(0)
	ds_write_b64 v64, v[61:62]
	s_waitcnt lgkmcnt(0)
	; wave barrier
	s_and_saveexec_b64 s[6:7], s[4:5]
	s_cbranch_execz .LBB93_10
; %bb.5:
	s_and_b64 vcc, exec, s[10:11]
	s_cbranch_vccz .LBB93_7
; %bb.6:
	buffer_load_dword v61, v65, s[0:3], 0 offen
	buffer_load_dword v62, v65, s[0:3], 0 offen offset:4
	ds_read_b64 v[66:67], v64
	s_waitcnt vmcnt(0) lgkmcnt(0)
	v_mul_f64 v[61:62], v[61:62], v[66:67]
	s_cbranch_execz .LBB93_8
	s_branch .LBB93_9
.LBB93_7:
                                        ; implicit-def: $vgpr61_vgpr62
.LBB93_8:
	ds_read_b64 v[61:62], v64
.LBB93_9:
	v_mov_b32_e32 v66, 0
	ds_read_b64 v[66:67], v66 offset:224
	s_waitcnt lgkmcnt(0)
	v_mul_f64 v[61:62], v[61:62], v[66:67]
	buffer_store_dword v62, off, s[0:3], 0 offset:228
	buffer_store_dword v61, off, s[0:3], 0 offset:224
.LBB93_10:
	s_or_b64 exec, exec, s[6:7]
	buffer_load_dword v61, off, s[0:3], 0 offset:216
	buffer_load_dword v62, off, s[0:3], 0 offset:220
	s_or_b32 s14, 0, 8
	s_mov_b32 s15, 16
	s_mov_b32 s16, 24
	;; [unrolled: 1-line block ×9, first 2 shown]
	v_cmp_lt_u32_e64 s[6:7], 27, v0
	s_waitcnt vmcnt(0)
	ds_write_b64 v64, v[61:62]
	s_waitcnt lgkmcnt(0)
	; wave barrier
	s_and_saveexec_b64 s[8:9], s[6:7]
	s_cbranch_execz .LBB93_16
; %bb.11:
	s_andn2_b64 vcc, exec, s[10:11]
	s_cbranch_vccnz .LBB93_13
; %bb.12:
	buffer_load_dword v61, v65, s[0:3], 0 offen
	buffer_load_dword v62, v65, s[0:3], 0 offen offset:4
	ds_read_b64 v[66:67], v64
	s_waitcnt vmcnt(0) lgkmcnt(0)
	v_mul_f64 v[61:62], v[61:62], v[66:67]
	s_cbranch_execz .LBB93_14
	s_branch .LBB93_15
.LBB93_13:
                                        ; implicit-def: $vgpr61_vgpr62
.LBB93_14:
	ds_read_b64 v[61:62], v64
.LBB93_15:
	buffer_load_dword v70, off, s[0:3], 0 offset:224
	buffer_load_dword v71, off, s[0:3], 0 offset:228
	v_mov_b32_e32 v66, 0
	ds_read2_b64 v[66:69], v66 offset0:27 offset1:58
	s_waitcnt vmcnt(0) lgkmcnt(0)
	v_fma_f64 v[68:69], v[70:71], v[68:69], v[61:62]
	v_cndmask_b32_e64 v62, v62, v69, s[4:5]
	v_cndmask_b32_e64 v61, v61, v68, s[4:5]
	v_mul_f64 v[61:62], v[61:62], v[66:67]
	buffer_store_dword v62, off, s[0:3], 0 offset:220
	buffer_store_dword v61, off, s[0:3], 0 offset:216
.LBB93_16:
	s_or_b64 exec, exec, s[8:9]
	buffer_load_dword v61, off, s[0:3], 0 offset:208
	buffer_load_dword v62, off, s[0:3], 0 offset:212
	v_cmp_lt_u32_e64 s[4:5], 26, v0
	s_waitcnt vmcnt(0)
	ds_write_b64 v64, v[61:62]
	s_waitcnt lgkmcnt(0)
	; wave barrier
	s_and_saveexec_b64 s[8:9], s[4:5]
	s_cbranch_execz .LBB93_26
; %bb.17:
	s_andn2_b64 vcc, exec, s[10:11]
	s_cbranch_vccnz .LBB93_19
; %bb.18:
	buffer_load_dword v61, v65, s[0:3], 0 offen
	buffer_load_dword v62, v65, s[0:3], 0 offen offset:4
	ds_read_b64 v[66:67], v64
	s_waitcnt vmcnt(0) lgkmcnt(0)
	v_mul_f64 v[61:62], v[61:62], v[66:67]
	s_cbranch_execz .LBB93_20
	s_branch .LBB93_21
.LBB93_19:
                                        ; implicit-def: $vgpr61_vgpr62
.LBB93_20:
	ds_read_b64 v[61:62], v64
.LBB93_21:
	s_and_saveexec_b64 s[12:13], s[6:7]
	s_cbranch_execz .LBB93_25
; %bb.22:
	v_subrev_u32_e32 v66, 27, v0
	s_movk_i32 s42, 0x1c8
	s_mov_b64 s[6:7], 0
.LBB93_23:                              ; =>This Inner Loop Header: Depth=1
	v_mov_b32_e32 v69, s41
	buffer_load_dword v67, v69, s[0:3], 0 offen
	buffer_load_dword v68, v69, s[0:3], 0 offen offset:4
	v_mov_b32_e32 v69, s42
	ds_read_b64 v[69:70], v69
	v_add_u32_e32 v66, -1, v66
	s_add_i32 s42, s42, 8
	s_add_i32 s41, s41, 8
	v_cmp_eq_u32_e32 vcc, 0, v66
	s_or_b64 s[6:7], vcc, s[6:7]
	s_waitcnt vmcnt(0) lgkmcnt(0)
	v_fma_f64 v[61:62], v[67:68], v[69:70], v[61:62]
	s_andn2_b64 exec, exec, s[6:7]
	s_cbranch_execnz .LBB93_23
; %bb.24:
	s_or_b64 exec, exec, s[6:7]
.LBB93_25:
	s_or_b64 exec, exec, s[12:13]
	v_mov_b32_e32 v66, 0
	ds_read_b64 v[66:67], v66 offset:208
	s_waitcnt lgkmcnt(0)
	v_mul_f64 v[61:62], v[61:62], v[66:67]
	buffer_store_dword v62, off, s[0:3], 0 offset:212
	buffer_store_dword v61, off, s[0:3], 0 offset:208
.LBB93_26:
	s_or_b64 exec, exec, s[8:9]
	buffer_load_dword v61, off, s[0:3], 0 offset:200
	buffer_load_dword v62, off, s[0:3], 0 offset:204
	v_cmp_lt_u32_e64 s[6:7], 25, v0
	s_waitcnt vmcnt(0)
	ds_write_b64 v64, v[61:62]
	s_waitcnt lgkmcnt(0)
	; wave barrier
	s_and_saveexec_b64 s[8:9], s[6:7]
	s_cbranch_execz .LBB93_36
; %bb.27:
	s_andn2_b64 vcc, exec, s[10:11]
	s_cbranch_vccnz .LBB93_29
; %bb.28:
	buffer_load_dword v61, v65, s[0:3], 0 offen
	buffer_load_dword v62, v65, s[0:3], 0 offen offset:4
	ds_read_b64 v[66:67], v64
	s_waitcnt vmcnt(0) lgkmcnt(0)
	v_mul_f64 v[61:62], v[61:62], v[66:67]
	s_cbranch_execz .LBB93_30
	s_branch .LBB93_31
.LBB93_29:
                                        ; implicit-def: $vgpr61_vgpr62
.LBB93_30:
	ds_read_b64 v[61:62], v64
.LBB93_31:
	s_and_saveexec_b64 s[12:13], s[4:5]
	s_cbranch_execz .LBB93_35
; %bb.32:
	v_subrev_u32_e32 v66, 26, v0
	s_movk_i32 s41, 0x1c0
	s_mov_b64 s[4:5], 0
.LBB93_33:                              ; =>This Inner Loop Header: Depth=1
	v_mov_b32_e32 v69, s40
	buffer_load_dword v67, v69, s[0:3], 0 offen
	buffer_load_dword v68, v69, s[0:3], 0 offen offset:4
	v_mov_b32_e32 v69, s41
	ds_read_b64 v[69:70], v69
	v_add_u32_e32 v66, -1, v66
	s_add_i32 s41, s41, 8
	s_add_i32 s40, s40, 8
	v_cmp_eq_u32_e32 vcc, 0, v66
	s_or_b64 s[4:5], vcc, s[4:5]
	s_waitcnt vmcnt(0) lgkmcnt(0)
	v_fma_f64 v[61:62], v[67:68], v[69:70], v[61:62]
	s_andn2_b64 exec, exec, s[4:5]
	s_cbranch_execnz .LBB93_33
; %bb.34:
	s_or_b64 exec, exec, s[4:5]
.LBB93_35:
	s_or_b64 exec, exec, s[12:13]
	v_mov_b32_e32 v66, 0
	ds_read_b64 v[66:67], v66 offset:200
	s_waitcnt lgkmcnt(0)
	v_mul_f64 v[61:62], v[61:62], v[66:67]
	buffer_store_dword v62, off, s[0:3], 0 offset:204
	buffer_store_dword v61, off, s[0:3], 0 offset:200
.LBB93_36:
	;; [unrolled: 58-line block ×8, first 2 shown]
	s_or_b64 exec, exec, s[8:9]
	buffer_load_dword v61, off, s[0:3], 0 offset:144
	buffer_load_dword v62, off, s[0:3], 0 offset:148
	v_cmp_lt_u32_e64 s[4:5], 18, v0
	s_waitcnt vmcnt(0)
	ds_write_b64 v64, v[61:62]
	s_waitcnt lgkmcnt(0)
	; wave barrier
	s_and_saveexec_b64 s[8:9], s[4:5]
	s_cbranch_execz .LBB93_106
; %bb.97:
	s_andn2_b64 vcc, exec, s[10:11]
	s_cbranch_vccnz .LBB93_99
; %bb.98:
	buffer_load_dword v61, v65, s[0:3], 0 offen
	buffer_load_dword v62, v65, s[0:3], 0 offen offset:4
	ds_read_b64 v[66:67], v64
	s_waitcnt vmcnt(0) lgkmcnt(0)
	v_mul_f64 v[61:62], v[61:62], v[66:67]
	s_cbranch_execz .LBB93_100
	s_branch .LBB93_101
.LBB93_99:
                                        ; implicit-def: $vgpr61_vgpr62
.LBB93_100:
	ds_read_b64 v[61:62], v64
.LBB93_101:
	s_and_saveexec_b64 s[12:13], s[6:7]
	s_cbranch_execz .LBB93_105
; %bb.102:
	v_subrev_u32_e32 v66, 19, v0
	s_movk_i32 s34, 0x188
	s_mov_b64 s[6:7], 0
.LBB93_103:                             ; =>This Inner Loop Header: Depth=1
	v_mov_b32_e32 v69, s33
	buffer_load_dword v67, v69, s[0:3], 0 offen
	buffer_load_dword v68, v69, s[0:3], 0 offen offset:4
	v_mov_b32_e32 v69, s34
	ds_read_b64 v[69:70], v69
	v_add_u32_e32 v66, -1, v66
	s_add_i32 s34, s34, 8
	s_add_i32 s33, s33, 8
	v_cmp_eq_u32_e32 vcc, 0, v66
	s_or_b64 s[6:7], vcc, s[6:7]
	s_waitcnt vmcnt(0) lgkmcnt(0)
	v_fma_f64 v[61:62], v[67:68], v[69:70], v[61:62]
	s_andn2_b64 exec, exec, s[6:7]
	s_cbranch_execnz .LBB93_103
; %bb.104:
	s_or_b64 exec, exec, s[6:7]
.LBB93_105:
	s_or_b64 exec, exec, s[12:13]
	v_mov_b32_e32 v66, 0
	ds_read_b64 v[66:67], v66 offset:144
	s_waitcnt lgkmcnt(0)
	v_mul_f64 v[61:62], v[61:62], v[66:67]
	buffer_store_dword v62, off, s[0:3], 0 offset:148
	buffer_store_dword v61, off, s[0:3], 0 offset:144
.LBB93_106:
	s_or_b64 exec, exec, s[8:9]
	buffer_load_dword v61, off, s[0:3], 0 offset:136
	buffer_load_dword v62, off, s[0:3], 0 offset:140
	v_cmp_lt_u32_e64 s[6:7], 17, v0
	s_waitcnt vmcnt(0)
	ds_write_b64 v64, v[61:62]
	s_waitcnt lgkmcnt(0)
	; wave barrier
	s_and_saveexec_b64 s[8:9], s[6:7]
	s_cbranch_execz .LBB93_116
; %bb.107:
	s_andn2_b64 vcc, exec, s[10:11]
	s_cbranch_vccnz .LBB93_109
; %bb.108:
	buffer_load_dword v61, v65, s[0:3], 0 offen
	buffer_load_dword v62, v65, s[0:3], 0 offen offset:4
	ds_read_b64 v[66:67], v64
	s_waitcnt vmcnt(0) lgkmcnt(0)
	v_mul_f64 v[61:62], v[61:62], v[66:67]
	s_cbranch_execz .LBB93_110
	s_branch .LBB93_111
.LBB93_109:
                                        ; implicit-def: $vgpr61_vgpr62
.LBB93_110:
	ds_read_b64 v[61:62], v64
.LBB93_111:
	s_and_saveexec_b64 s[12:13], s[4:5]
	s_cbranch_execz .LBB93_115
; %bb.112:
	v_subrev_u32_e32 v66, 18, v0
	s_movk_i32 s33, 0x180
	s_mov_b64 s[4:5], 0
.LBB93_113:                             ; =>This Inner Loop Header: Depth=1
	v_mov_b32_e32 v69, s31
	buffer_load_dword v67, v69, s[0:3], 0 offen
	buffer_load_dword v68, v69, s[0:3], 0 offen offset:4
	v_mov_b32_e32 v69, s33
	ds_read_b64 v[69:70], v69
	v_add_u32_e32 v66, -1, v66
	s_add_i32 s33, s33, 8
	s_add_i32 s31, s31, 8
	v_cmp_eq_u32_e32 vcc, 0, v66
	s_or_b64 s[4:5], vcc, s[4:5]
	s_waitcnt vmcnt(0) lgkmcnt(0)
	v_fma_f64 v[61:62], v[67:68], v[69:70], v[61:62]
	s_andn2_b64 exec, exec, s[4:5]
	s_cbranch_execnz .LBB93_113
; %bb.114:
	s_or_b64 exec, exec, s[4:5]
.LBB93_115:
	s_or_b64 exec, exec, s[12:13]
	v_mov_b32_e32 v66, 0
	ds_read_b64 v[66:67], v66 offset:136
	s_waitcnt lgkmcnt(0)
	v_mul_f64 v[61:62], v[61:62], v[66:67]
	buffer_store_dword v62, off, s[0:3], 0 offset:140
	buffer_store_dword v61, off, s[0:3], 0 offset:136
.LBB93_116:
	;; [unrolled: 58-line block ×3, first 2 shown]
	s_or_b64 exec, exec, s[8:9]
	buffer_load_dword v61, off, s[0:3], 0 offset:120
	buffer_load_dword v62, off, s[0:3], 0 offset:124
	v_cmp_lt_u32_e64 s[6:7], 15, v0
	s_waitcnt vmcnt(0)
	ds_write_b64 v64, v[61:62]
	s_waitcnt lgkmcnt(0)
	; wave barrier
	s_and_saveexec_b64 s[8:9], s[6:7]
	s_cbranch_execz .LBB93_136
; %bb.127:
	s_andn2_b64 vcc, exec, s[10:11]
	s_cbranch_vccnz .LBB93_129
; %bb.128:
	buffer_load_dword v61, v65, s[0:3], 0 offen
	buffer_load_dword v62, v65, s[0:3], 0 offen offset:4
	ds_read_b64 v[66:67], v64
	s_waitcnt vmcnt(0) lgkmcnt(0)
	v_mul_f64 v[61:62], v[61:62], v[66:67]
	s_cbranch_execz .LBB93_130
	s_branch .LBB93_131
.LBB93_129:
                                        ; implicit-def: $vgpr61_vgpr62
.LBB93_130:
	ds_read_b64 v[61:62], v64
.LBB93_131:
	s_and_saveexec_b64 s[12:13], s[4:5]
	s_cbranch_execz .LBB93_135
; %bb.132:
	v_add_u32_e32 v66, -16, v0
	s_movk_i32 s30, 0x170
	s_mov_b64 s[4:5], 0
.LBB93_133:                             ; =>This Inner Loop Header: Depth=1
	v_mov_b32_e32 v69, s29
	buffer_load_dword v67, v69, s[0:3], 0 offen
	buffer_load_dword v68, v69, s[0:3], 0 offen offset:4
	v_mov_b32_e32 v69, s30
	ds_read_b64 v[69:70], v69
	v_add_u32_e32 v66, -1, v66
	s_add_i32 s30, s30, 8
	s_add_i32 s29, s29, 8
	v_cmp_eq_u32_e32 vcc, 0, v66
	s_or_b64 s[4:5], vcc, s[4:5]
	s_waitcnt vmcnt(0) lgkmcnt(0)
	v_fma_f64 v[61:62], v[67:68], v[69:70], v[61:62]
	s_andn2_b64 exec, exec, s[4:5]
	s_cbranch_execnz .LBB93_133
; %bb.134:
	s_or_b64 exec, exec, s[4:5]
.LBB93_135:
	s_or_b64 exec, exec, s[12:13]
	v_mov_b32_e32 v66, 0
	ds_read_b64 v[66:67], v66 offset:120
	s_waitcnt lgkmcnt(0)
	v_mul_f64 v[61:62], v[61:62], v[66:67]
	buffer_store_dword v62, off, s[0:3], 0 offset:124
	buffer_store_dword v61, off, s[0:3], 0 offset:120
.LBB93_136:
	s_or_b64 exec, exec, s[8:9]
	buffer_load_dword v61, off, s[0:3], 0 offset:112
	buffer_load_dword v62, off, s[0:3], 0 offset:116
	v_cmp_lt_u32_e64 s[4:5], 14, v0
	s_waitcnt vmcnt(0)
	ds_write_b64 v64, v[61:62]
	s_waitcnt lgkmcnt(0)
	; wave barrier
	s_and_saveexec_b64 s[8:9], s[4:5]
	s_cbranch_execz .LBB93_146
; %bb.137:
	s_andn2_b64 vcc, exec, s[10:11]
	s_cbranch_vccnz .LBB93_139
; %bb.138:
	buffer_load_dword v61, v65, s[0:3], 0 offen
	buffer_load_dword v62, v65, s[0:3], 0 offen offset:4
	ds_read_b64 v[66:67], v64
	s_waitcnt vmcnt(0) lgkmcnt(0)
	v_mul_f64 v[61:62], v[61:62], v[66:67]
	s_cbranch_execz .LBB93_140
	s_branch .LBB93_141
.LBB93_139:
                                        ; implicit-def: $vgpr61_vgpr62
.LBB93_140:
	ds_read_b64 v[61:62], v64
.LBB93_141:
	s_and_saveexec_b64 s[12:13], s[6:7]
	s_cbranch_execz .LBB93_145
; %bb.142:
	v_add_u32_e32 v66, -15, v0
	s_movk_i32 s29, 0x168
	s_mov_b64 s[6:7], 0
.LBB93_143:                             ; =>This Inner Loop Header: Depth=1
	v_mov_b32_e32 v69, s28
	buffer_load_dword v67, v69, s[0:3], 0 offen
	buffer_load_dword v68, v69, s[0:3], 0 offen offset:4
	v_mov_b32_e32 v69, s29
	ds_read_b64 v[69:70], v69
	v_add_u32_e32 v66, -1, v66
	s_add_i32 s29, s29, 8
	s_add_i32 s28, s28, 8
	v_cmp_eq_u32_e32 vcc, 0, v66
	s_or_b64 s[6:7], vcc, s[6:7]
	s_waitcnt vmcnt(0) lgkmcnt(0)
	v_fma_f64 v[61:62], v[67:68], v[69:70], v[61:62]
	s_andn2_b64 exec, exec, s[6:7]
	s_cbranch_execnz .LBB93_143
; %bb.144:
	s_or_b64 exec, exec, s[6:7]
.LBB93_145:
	s_or_b64 exec, exec, s[12:13]
	v_mov_b32_e32 v66, 0
	ds_read_b64 v[66:67], v66 offset:112
	s_waitcnt lgkmcnt(0)
	v_mul_f64 v[61:62], v[61:62], v[66:67]
	buffer_store_dword v62, off, s[0:3], 0 offset:116
	buffer_store_dword v61, off, s[0:3], 0 offset:112
.LBB93_146:
	;; [unrolled: 58-line block ×15, first 2 shown]
	s_or_b64 exec, exec, s[8:9]
	buffer_load_dword v61, off, s[0:3], 0
	buffer_load_dword v62, off, s[0:3], 0 offset:4
	v_cmp_ne_u32_e32 vcc, 0, v0
	s_waitcnt vmcnt(0)
	ds_write_b64 v64, v[61:62]
	s_waitcnt lgkmcnt(0)
	; wave barrier
	s_and_saveexec_b64 s[4:5], vcc
	s_cbranch_execz .LBB93_286
; %bb.277:
	s_andn2_b64 vcc, exec, s[10:11]
	s_cbranch_vccnz .LBB93_279
; %bb.278:
	buffer_load_dword v61, v65, s[0:3], 0 offen
	buffer_load_dword v62, v65, s[0:3], 0 offen offset:4
	ds_read_b64 v[66:67], v64
	s_waitcnt vmcnt(0) lgkmcnt(0)
	v_mul_f64 v[61:62], v[61:62], v[66:67]
	s_cbranch_execz .LBB93_280
	s_branch .LBB93_281
.LBB93_279:
                                        ; implicit-def: $vgpr61_vgpr62
.LBB93_280:
	ds_read_b64 v[61:62], v64
.LBB93_281:
	s_and_saveexec_b64 s[8:9], s[6:7]
	s_cbranch_execz .LBB93_285
; %bb.282:
	v_add_u32_e32 v66, -1, v0
	s_movk_i32 s12, 0xf8
	s_mov_b64 s[6:7], 0
.LBB93_283:                             ; =>This Inner Loop Header: Depth=1
	v_mov_b32_e32 v69, s14
	buffer_load_dword v67, v69, s[0:3], 0 offen
	buffer_load_dword v68, v69, s[0:3], 0 offen offset:4
	v_mov_b32_e32 v69, s12
	ds_read_b64 v[69:70], v69
	v_add_u32_e32 v66, -1, v66
	s_add_i32 s12, s12, 8
	s_add_i32 s14, s14, 8
	v_cmp_eq_u32_e32 vcc, 0, v66
	s_or_b64 s[6:7], vcc, s[6:7]
	s_waitcnt vmcnt(0) lgkmcnt(0)
	v_fma_f64 v[61:62], v[67:68], v[69:70], v[61:62]
	s_andn2_b64 exec, exec, s[6:7]
	s_cbranch_execnz .LBB93_283
; %bb.284:
	s_or_b64 exec, exec, s[6:7]
.LBB93_285:
	s_or_b64 exec, exec, s[8:9]
	v_mov_b32_e32 v66, 0
	ds_read_b64 v[66:67], v66
	s_waitcnt lgkmcnt(0)
	v_mul_f64 v[61:62], v[61:62], v[66:67]
	buffer_store_dword v62, off, s[0:3], 0 offset:4
	buffer_store_dword v61, off, s[0:3], 0
.LBB93_286:
	s_or_b64 exec, exec, s[4:5]
	s_mov_b64 s[4:5], 0
.LBB93_287:
	s_and_b64 vcc, exec, s[4:5]
	s_cbranch_vccz .LBB93_569
; %bb.288:
	buffer_load_dword v61, off, s[0:3], 0 offset:8
	buffer_load_dword v62, off, s[0:3], 0 offset:12
	v_cmp_eq_u32_e64 s[6:7], 0, v0
	s_waitcnt vmcnt(0)
	ds_write_b64 v64, v[61:62]
	s_waitcnt lgkmcnt(0)
	; wave barrier
	s_and_saveexec_b64 s[4:5], s[6:7]
	s_cbranch_execz .LBB93_294
; %bb.289:
	s_and_b64 vcc, exec, s[10:11]
	s_cbranch_vccz .LBB93_291
; %bb.290:
	buffer_load_dword v61, v65, s[0:3], 0 offen
	buffer_load_dword v62, v65, s[0:3], 0 offen offset:4
	ds_read_b64 v[66:67], v64
	s_waitcnt vmcnt(0) lgkmcnt(0)
	v_mul_f64 v[61:62], v[61:62], v[66:67]
	s_cbranch_execz .LBB93_292
	s_branch .LBB93_293
.LBB93_291:
                                        ; implicit-def: $vgpr61_vgpr62
.LBB93_292:
	ds_read_b64 v[61:62], v64
.LBB93_293:
	v_mov_b32_e32 v66, 0
	ds_read_b64 v[66:67], v66 offset:8
	s_waitcnt lgkmcnt(0)
	v_mul_f64 v[61:62], v[61:62], v[66:67]
	buffer_store_dword v62, off, s[0:3], 0 offset:12
	buffer_store_dword v61, off, s[0:3], 0 offset:8
.LBB93_294:
	s_or_b64 exec, exec, s[4:5]
	buffer_load_dword v61, off, s[0:3], 0 offset:16
	buffer_load_dword v62, off, s[0:3], 0 offset:20
	v_cndmask_b32_e64 v66, 0, 1, s[10:11]
	v_cmp_gt_u32_e32 vcc, 2, v0
	v_cmp_ne_u32_e64 s[4:5], 1, v66
	s_waitcnt vmcnt(0)
	ds_write_b64 v64, v[61:62]
	s_waitcnt lgkmcnt(0)
	; wave barrier
	s_and_saveexec_b64 s[8:9], vcc
	s_cbranch_execz .LBB93_300
; %bb.295:
	s_and_b64 vcc, exec, s[4:5]
	s_cbranch_vccnz .LBB93_297
; %bb.296:
	buffer_load_dword v61, v65, s[0:3], 0 offen
	buffer_load_dword v62, v65, s[0:3], 0 offen offset:4
	ds_read_b64 v[66:67], v64
	s_waitcnt vmcnt(0) lgkmcnt(0)
	v_mul_f64 v[61:62], v[61:62], v[66:67]
	s_cbranch_execz .LBB93_298
	s_branch .LBB93_299
.LBB93_297:
                                        ; implicit-def: $vgpr61_vgpr62
.LBB93_298:
	ds_read_b64 v[61:62], v64
.LBB93_299:
	buffer_load_dword v70, off, s[0:3], 0 offset:8
	buffer_load_dword v71, off, s[0:3], 0 offset:12
	v_mov_b32_e32 v66, 0
	ds_read2_b64 v[66:69], v66 offset0:2 offset1:31
	s_waitcnt vmcnt(0) lgkmcnt(0)
	v_fma_f64 v[68:69], v[70:71], v[68:69], v[61:62]
	v_cndmask_b32_e64 v62, v62, v69, s[6:7]
	v_cndmask_b32_e64 v61, v61, v68, s[6:7]
	v_mul_f64 v[61:62], v[61:62], v[66:67]
	buffer_store_dword v62, off, s[0:3], 0 offset:20
	buffer_store_dword v61, off, s[0:3], 0 offset:16
.LBB93_300:
	s_or_b64 exec, exec, s[8:9]
	buffer_load_dword v61, off, s[0:3], 0 offset:24
	buffer_load_dword v62, off, s[0:3], 0 offset:28
	v_cmp_gt_u32_e32 vcc, 3, v0
	s_waitcnt vmcnt(0)
	ds_write_b64 v64, v[61:62]
	s_waitcnt lgkmcnt(0)
	; wave barrier
	s_and_saveexec_b64 s[8:9], vcc
	s_cbranch_execz .LBB93_308
; %bb.301:
	s_and_b64 vcc, exec, s[4:5]
	s_cbranch_vccnz .LBB93_303
; %bb.302:
	buffer_load_dword v61, v65, s[0:3], 0 offen
	buffer_load_dword v62, v65, s[0:3], 0 offen offset:4
	ds_read_b64 v[66:67], v64
	s_waitcnt vmcnt(0) lgkmcnt(0)
	v_mul_f64 v[61:62], v[61:62], v[66:67]
	s_cbranch_execz .LBB93_304
	s_branch .LBB93_305
.LBB93_303:
                                        ; implicit-def: $vgpr61_vgpr62
.LBB93_304:
	ds_read_b64 v[61:62], v64
.LBB93_305:
	v_cmp_ne_u32_e32 vcc, 2, v0
	s_and_saveexec_b64 s[10:11], vcc
	s_cbranch_execz .LBB93_307
; %bb.306:
	buffer_load_dword v66, v65, s[0:3], 0 offen offset:8
	buffer_load_dword v67, v65, s[0:3], 0 offen offset:12
	buffer_load_dword v68, off, s[0:3], 0 offset:16
	buffer_load_dword v69, off, s[0:3], 0 offset:20
	ds_read_b64 v[70:71], v64 offset:8
	v_mov_b32_e32 v72, 0
	ds_read_b64 v[72:73], v72 offset:256
	s_waitcnt vmcnt(2) lgkmcnt(1)
	v_fma_f64 v[61:62], v[66:67], v[70:71], v[61:62]
	s_waitcnt vmcnt(0) lgkmcnt(0)
	v_fma_f64 v[66:67], v[68:69], v[72:73], v[61:62]
	v_cndmask_b32_e64 v62, v62, v67, s[6:7]
	v_cndmask_b32_e64 v61, v61, v66, s[6:7]
.LBB93_307:
	s_or_b64 exec, exec, s[10:11]
	v_mov_b32_e32 v66, 0
	ds_read_b64 v[66:67], v66 offset:24
	s_waitcnt lgkmcnt(0)
	v_mul_f64 v[61:62], v[61:62], v[66:67]
	buffer_store_dword v62, off, s[0:3], 0 offset:28
	buffer_store_dword v61, off, s[0:3], 0 offset:24
.LBB93_308:
	s_or_b64 exec, exec, s[8:9]
	buffer_load_dword v61, off, s[0:3], 0 offset:32
	buffer_load_dword v62, off, s[0:3], 0 offset:36
	v_cmp_gt_u32_e32 vcc, 4, v0
	s_waitcnt vmcnt(0)
	ds_write_b64 v64, v[61:62]
	s_waitcnt lgkmcnt(0)
	; wave barrier
	s_and_saveexec_b64 s[6:7], vcc
	s_cbranch_execz .LBB93_318
; %bb.309:
	s_and_b64 vcc, exec, s[4:5]
	s_cbranch_vccnz .LBB93_311
; %bb.310:
	buffer_load_dword v61, v65, s[0:3], 0 offen
	buffer_load_dword v62, v65, s[0:3], 0 offen offset:4
	ds_read_b64 v[66:67], v64
	s_waitcnt vmcnt(0) lgkmcnt(0)
	v_mul_f64 v[61:62], v[61:62], v[66:67]
	s_cbranch_execz .LBB93_312
	s_branch .LBB93_313
.LBB93_311:
                                        ; implicit-def: $vgpr61_vgpr62
.LBB93_312:
	ds_read_b64 v[61:62], v64
.LBB93_313:
	v_cmp_ne_u32_e32 vcc, 3, v0
	s_and_saveexec_b64 s[8:9], vcc
	s_cbranch_execz .LBB93_317
; %bb.314:
	s_mov_b32 s10, 0
	v_add_u32_e32 v66, 0xf8, v63
	v_add3_u32 v67, v63, s10, 8
	s_mov_b64 s[10:11], 0
	v_mov_b32_e32 v68, v0
.LBB93_315:                             ; =>This Inner Loop Header: Depth=1
	buffer_load_dword v69, v67, s[0:3], 0 offen
	buffer_load_dword v70, v67, s[0:3], 0 offen offset:4
	ds_read_b64 v[71:72], v66
	v_add_u32_e32 v68, 1, v68
	v_cmp_lt_u32_e32 vcc, 2, v68
	v_add_u32_e32 v66, 8, v66
	s_or_b64 s[10:11], vcc, s[10:11]
	v_add_u32_e32 v67, 8, v67
	s_waitcnt vmcnt(0) lgkmcnt(0)
	v_fma_f64 v[61:62], v[69:70], v[71:72], v[61:62]
	s_andn2_b64 exec, exec, s[10:11]
	s_cbranch_execnz .LBB93_315
; %bb.316:
	s_or_b64 exec, exec, s[10:11]
.LBB93_317:
	s_or_b64 exec, exec, s[8:9]
	v_mov_b32_e32 v66, 0
	ds_read_b64 v[66:67], v66 offset:32
	s_waitcnt lgkmcnt(0)
	v_mul_f64 v[61:62], v[61:62], v[66:67]
	buffer_store_dword v62, off, s[0:3], 0 offset:36
	buffer_store_dword v61, off, s[0:3], 0 offset:32
.LBB93_318:
	s_or_b64 exec, exec, s[6:7]
	buffer_load_dword v61, off, s[0:3], 0 offset:40
	buffer_load_dword v62, off, s[0:3], 0 offset:44
	v_cmp_gt_u32_e32 vcc, 5, v0
	s_waitcnt vmcnt(0)
	ds_write_b64 v64, v[61:62]
	s_waitcnt lgkmcnt(0)
	; wave barrier
	s_and_saveexec_b64 s[6:7], vcc
	s_cbranch_execz .LBB93_328
; %bb.319:
	s_and_b64 vcc, exec, s[4:5]
	s_cbranch_vccnz .LBB93_321
; %bb.320:
	buffer_load_dword v61, v65, s[0:3], 0 offen
	buffer_load_dword v62, v65, s[0:3], 0 offen offset:4
	ds_read_b64 v[66:67], v64
	s_waitcnt vmcnt(0) lgkmcnt(0)
	v_mul_f64 v[61:62], v[61:62], v[66:67]
	s_cbranch_execz .LBB93_322
	s_branch .LBB93_323
.LBB93_321:
                                        ; implicit-def: $vgpr61_vgpr62
.LBB93_322:
	ds_read_b64 v[61:62], v64
.LBB93_323:
	v_cmp_ne_u32_e32 vcc, 4, v0
	s_and_saveexec_b64 s[8:9], vcc
	s_cbranch_execz .LBB93_327
; %bb.324:
	s_mov_b32 s10, 0
	v_add_u32_e32 v66, 0xf8, v63
	v_add3_u32 v67, v63, s10, 8
	s_mov_b64 s[10:11], 0
	v_mov_b32_e32 v68, v0
.LBB93_325:                             ; =>This Inner Loop Header: Depth=1
	buffer_load_dword v69, v67, s[0:3], 0 offen
	buffer_load_dword v70, v67, s[0:3], 0 offen offset:4
	ds_read_b64 v[71:72], v66
	v_add_u32_e32 v68, 1, v68
	v_cmp_lt_u32_e32 vcc, 3, v68
	v_add_u32_e32 v66, 8, v66
	s_or_b64 s[10:11], vcc, s[10:11]
	v_add_u32_e32 v67, 8, v67
	s_waitcnt vmcnt(0) lgkmcnt(0)
	v_fma_f64 v[61:62], v[69:70], v[71:72], v[61:62]
	s_andn2_b64 exec, exec, s[10:11]
	s_cbranch_execnz .LBB93_325
; %bb.326:
	s_or_b64 exec, exec, s[10:11]
.LBB93_327:
	s_or_b64 exec, exec, s[8:9]
	v_mov_b32_e32 v66, 0
	ds_read_b64 v[66:67], v66 offset:40
	s_waitcnt lgkmcnt(0)
	v_mul_f64 v[61:62], v[61:62], v[66:67]
	buffer_store_dword v62, off, s[0:3], 0 offset:44
	buffer_store_dword v61, off, s[0:3], 0 offset:40
.LBB93_328:
	;; [unrolled: 59-line block ×24, first 2 shown]
	s_or_b64 exec, exec, s[6:7]
	buffer_load_dword v61, off, s[0:3], 0 offset:224
	buffer_load_dword v62, off, s[0:3], 0 offset:228
	v_cmp_gt_u32_e64 s[6:7], 28, v0
	s_waitcnt vmcnt(0)
	ds_write_b64 v64, v[61:62]
	s_waitcnt lgkmcnt(0)
	; wave barrier
	s_and_saveexec_b64 s[8:9], s[6:7]
	s_cbranch_execz .LBB93_558
; %bb.549:
	s_and_b64 vcc, exec, s[4:5]
	s_cbranch_vccnz .LBB93_551
; %bb.550:
	buffer_load_dword v61, v65, s[0:3], 0 offen
	buffer_load_dword v62, v65, s[0:3], 0 offen offset:4
	ds_read_b64 v[66:67], v64
	s_waitcnt vmcnt(0) lgkmcnt(0)
	v_mul_f64 v[61:62], v[61:62], v[66:67]
	s_cbranch_execz .LBB93_552
	s_branch .LBB93_553
.LBB93_551:
                                        ; implicit-def: $vgpr61_vgpr62
.LBB93_552:
	ds_read_b64 v[61:62], v64
.LBB93_553:
	v_cmp_ne_u32_e32 vcc, 27, v0
	s_and_saveexec_b64 s[10:11], vcc
	s_cbranch_execz .LBB93_557
; %bb.554:
	s_mov_b32 s12, 0
	v_add_u32_e32 v66, 0xf8, v63
	v_add3_u32 v67, v63, s12, 8
	s_mov_b64 s[12:13], 0
	v_mov_b32_e32 v68, v0
.LBB93_555:                             ; =>This Inner Loop Header: Depth=1
	buffer_load_dword v69, v67, s[0:3], 0 offen
	buffer_load_dword v70, v67, s[0:3], 0 offen offset:4
	ds_read_b64 v[71:72], v66
	v_add_u32_e32 v68, 1, v68
	v_cmp_lt_u32_e32 vcc, 26, v68
	v_add_u32_e32 v66, 8, v66
	s_or_b64 s[12:13], vcc, s[12:13]
	v_add_u32_e32 v67, 8, v67
	s_waitcnt vmcnt(0) lgkmcnt(0)
	v_fma_f64 v[61:62], v[69:70], v[71:72], v[61:62]
	s_andn2_b64 exec, exec, s[12:13]
	s_cbranch_execnz .LBB93_555
; %bb.556:
	s_or_b64 exec, exec, s[12:13]
.LBB93_557:
	s_or_b64 exec, exec, s[10:11]
	v_mov_b32_e32 v66, 0
	ds_read_b64 v[66:67], v66 offset:224
	s_waitcnt lgkmcnt(0)
	v_mul_f64 v[61:62], v[61:62], v[66:67]
	buffer_store_dword v62, off, s[0:3], 0 offset:228
	buffer_store_dword v61, off, s[0:3], 0 offset:224
.LBB93_558:
	s_or_b64 exec, exec, s[8:9]
	buffer_load_dword v61, off, s[0:3], 0 offset:232
	buffer_load_dword v62, off, s[0:3], 0 offset:236
	v_cmp_ne_u32_e32 vcc, 29, v0
	s_waitcnt vmcnt(0)
	ds_write_b64 v64, v[61:62]
	s_waitcnt lgkmcnt(0)
	; wave barrier
	s_and_saveexec_b64 s[8:9], vcc
	s_cbranch_execz .LBB93_568
; %bb.559:
	s_and_b64 vcc, exec, s[4:5]
	s_cbranch_vccnz .LBB93_561
; %bb.560:
	buffer_load_dword v61, v65, s[0:3], 0 offen
	buffer_load_dword v62, v65, s[0:3], 0 offen offset:4
	ds_read_b64 v[65:66], v64
	s_waitcnt vmcnt(0) lgkmcnt(0)
	v_mul_f64 v[61:62], v[61:62], v[65:66]
	s_cbranch_execz .LBB93_562
	s_branch .LBB93_563
.LBB93_561:
                                        ; implicit-def: $vgpr61_vgpr62
.LBB93_562:
	ds_read_b64 v[61:62], v64
.LBB93_563:
	s_and_saveexec_b64 s[4:5], s[6:7]
	s_cbranch_execz .LBB93_567
; %bb.564:
	s_mov_b32 s6, 0
	v_add_u32_e32 v64, 0xf8, v63
	v_add3_u32 v63, v63, s6, 8
	s_mov_b64 s[6:7], 0
.LBB93_565:                             ; =>This Inner Loop Header: Depth=1
	buffer_load_dword v65, v63, s[0:3], 0 offen
	buffer_load_dword v66, v63, s[0:3], 0 offen offset:4
	ds_read_b64 v[67:68], v64
	v_add_u32_e32 v0, 1, v0
	v_cmp_lt_u32_e32 vcc, 27, v0
	v_add_u32_e32 v64, 8, v64
	s_or_b64 s[6:7], vcc, s[6:7]
	v_add_u32_e32 v63, 8, v63
	s_waitcnt vmcnt(0) lgkmcnt(0)
	v_fma_f64 v[61:62], v[65:66], v[67:68], v[61:62]
	s_andn2_b64 exec, exec, s[6:7]
	s_cbranch_execnz .LBB93_565
; %bb.566:
	s_or_b64 exec, exec, s[6:7]
.LBB93_567:
	s_or_b64 exec, exec, s[4:5]
	v_mov_b32_e32 v0, 0
	ds_read_b64 v[63:64], v0 offset:232
	s_waitcnt lgkmcnt(0)
	v_mul_f64 v[61:62], v[61:62], v[63:64]
	buffer_store_dword v62, off, s[0:3], 0 offset:236
	buffer_store_dword v61, off, s[0:3], 0 offset:232
.LBB93_568:
	s_or_b64 exec, exec, s[8:9]
.LBB93_569:
	buffer_load_dword v61, off, s[0:3], 0
	buffer_load_dword v62, off, s[0:3], 0 offset:4
	s_waitcnt vmcnt(0)
	flat_store_dwordx2 v[1:2], v[61:62]
	buffer_load_dword v0, off, s[0:3], 0 offset:8
	s_nop 0
	buffer_load_dword v1, off, s[0:3], 0 offset:12
	s_waitcnt vmcnt(0)
	flat_store_dwordx2 v[3:4], v[0:1]
	buffer_load_dword v0, off, s[0:3], 0 offset:16
	s_nop 0
	;; [unrolled: 5-line block ×29, first 2 shown]
	buffer_load_dword v1, off, s[0:3], 0 offset:236
	s_waitcnt vmcnt(0)
	flat_store_dwordx2 v[59:60], v[0:1]
.LBB93_570:
	s_endpgm
	.section	.rodata,"a",@progbits
	.p2align	6, 0x0
	.amdhsa_kernel _ZN9rocsolver6v33100L18trti2_kernel_smallILi30EdPKPdEEv13rocblas_fill_17rocblas_diagonal_T1_iil
		.amdhsa_group_segment_fixed_size 480
		.amdhsa_private_segment_fixed_size 256
		.amdhsa_kernarg_size 32
		.amdhsa_user_sgpr_count 6
		.amdhsa_user_sgpr_private_segment_buffer 1
		.amdhsa_user_sgpr_dispatch_ptr 0
		.amdhsa_user_sgpr_queue_ptr 0
		.amdhsa_user_sgpr_kernarg_segment_ptr 1
		.amdhsa_user_sgpr_dispatch_id 0
		.amdhsa_user_sgpr_flat_scratch_init 0
		.amdhsa_user_sgpr_private_segment_size 0
		.amdhsa_uses_dynamic_stack 0
		.amdhsa_system_sgpr_private_segment_wavefront_offset 1
		.amdhsa_system_sgpr_workgroup_id_x 1
		.amdhsa_system_sgpr_workgroup_id_y 0
		.amdhsa_system_sgpr_workgroup_id_z 0
		.amdhsa_system_sgpr_workgroup_info 0
		.amdhsa_system_vgpr_workitem_id 0
		.amdhsa_next_free_vgpr 74
		.amdhsa_next_free_sgpr 43
		.amdhsa_reserve_vcc 1
		.amdhsa_reserve_flat_scratch 0
		.amdhsa_float_round_mode_32 0
		.amdhsa_float_round_mode_16_64 0
		.amdhsa_float_denorm_mode_32 3
		.amdhsa_float_denorm_mode_16_64 3
		.amdhsa_dx10_clamp 1
		.amdhsa_ieee_mode 1
		.amdhsa_fp16_overflow 0
		.amdhsa_exception_fp_ieee_invalid_op 0
		.amdhsa_exception_fp_denorm_src 0
		.amdhsa_exception_fp_ieee_div_zero 0
		.amdhsa_exception_fp_ieee_overflow 0
		.amdhsa_exception_fp_ieee_underflow 0
		.amdhsa_exception_fp_ieee_inexact 0
		.amdhsa_exception_int_div_zero 0
	.end_amdhsa_kernel
	.section	.text._ZN9rocsolver6v33100L18trti2_kernel_smallILi30EdPKPdEEv13rocblas_fill_17rocblas_diagonal_T1_iil,"axG",@progbits,_ZN9rocsolver6v33100L18trti2_kernel_smallILi30EdPKPdEEv13rocblas_fill_17rocblas_diagonal_T1_iil,comdat
.Lfunc_end93:
	.size	_ZN9rocsolver6v33100L18trti2_kernel_smallILi30EdPKPdEEv13rocblas_fill_17rocblas_diagonal_T1_iil, .Lfunc_end93-_ZN9rocsolver6v33100L18trti2_kernel_smallILi30EdPKPdEEv13rocblas_fill_17rocblas_diagonal_T1_iil
                                        ; -- End function
	.set _ZN9rocsolver6v33100L18trti2_kernel_smallILi30EdPKPdEEv13rocblas_fill_17rocblas_diagonal_T1_iil.num_vgpr, 74
	.set _ZN9rocsolver6v33100L18trti2_kernel_smallILi30EdPKPdEEv13rocblas_fill_17rocblas_diagonal_T1_iil.num_agpr, 0
	.set _ZN9rocsolver6v33100L18trti2_kernel_smallILi30EdPKPdEEv13rocblas_fill_17rocblas_diagonal_T1_iil.numbered_sgpr, 43
	.set _ZN9rocsolver6v33100L18trti2_kernel_smallILi30EdPKPdEEv13rocblas_fill_17rocblas_diagonal_T1_iil.num_named_barrier, 0
	.set _ZN9rocsolver6v33100L18trti2_kernel_smallILi30EdPKPdEEv13rocblas_fill_17rocblas_diagonal_T1_iil.private_seg_size, 256
	.set _ZN9rocsolver6v33100L18trti2_kernel_smallILi30EdPKPdEEv13rocblas_fill_17rocblas_diagonal_T1_iil.uses_vcc, 1
	.set _ZN9rocsolver6v33100L18trti2_kernel_smallILi30EdPKPdEEv13rocblas_fill_17rocblas_diagonal_T1_iil.uses_flat_scratch, 0
	.set _ZN9rocsolver6v33100L18trti2_kernel_smallILi30EdPKPdEEv13rocblas_fill_17rocblas_diagonal_T1_iil.has_dyn_sized_stack, 0
	.set _ZN9rocsolver6v33100L18trti2_kernel_smallILi30EdPKPdEEv13rocblas_fill_17rocblas_diagonal_T1_iil.has_recursion, 0
	.set _ZN9rocsolver6v33100L18trti2_kernel_smallILi30EdPKPdEEv13rocblas_fill_17rocblas_diagonal_T1_iil.has_indirect_call, 0
	.section	.AMDGPU.csdata,"",@progbits
; Kernel info:
; codeLenInByte = 17552
; TotalNumSgprs: 47
; NumVgprs: 74
; ScratchSize: 256
; MemoryBound: 0
; FloatMode: 240
; IeeeMode: 1
; LDSByteSize: 480 bytes/workgroup (compile time only)
; SGPRBlocks: 5
; VGPRBlocks: 18
; NumSGPRsForWavesPerEU: 47
; NumVGPRsForWavesPerEU: 74
; Occupancy: 3
; WaveLimiterHint : 1
; COMPUTE_PGM_RSRC2:SCRATCH_EN: 1
; COMPUTE_PGM_RSRC2:USER_SGPR: 6
; COMPUTE_PGM_RSRC2:TRAP_HANDLER: 0
; COMPUTE_PGM_RSRC2:TGID_X_EN: 1
; COMPUTE_PGM_RSRC2:TGID_Y_EN: 0
; COMPUTE_PGM_RSRC2:TGID_Z_EN: 0
; COMPUTE_PGM_RSRC2:TIDIG_COMP_CNT: 0
	.section	.text._ZN9rocsolver6v33100L18trti2_kernel_smallILi31EdPKPdEEv13rocblas_fill_17rocblas_diagonal_T1_iil,"axG",@progbits,_ZN9rocsolver6v33100L18trti2_kernel_smallILi31EdPKPdEEv13rocblas_fill_17rocblas_diagonal_T1_iil,comdat
	.globl	_ZN9rocsolver6v33100L18trti2_kernel_smallILi31EdPKPdEEv13rocblas_fill_17rocblas_diagonal_T1_iil ; -- Begin function _ZN9rocsolver6v33100L18trti2_kernel_smallILi31EdPKPdEEv13rocblas_fill_17rocblas_diagonal_T1_iil
	.p2align	8
	.type	_ZN9rocsolver6v33100L18trti2_kernel_smallILi31EdPKPdEEv13rocblas_fill_17rocblas_diagonal_T1_iil,@function
_ZN9rocsolver6v33100L18trti2_kernel_smallILi31EdPKPdEEv13rocblas_fill_17rocblas_diagonal_T1_iil: ; @_ZN9rocsolver6v33100L18trti2_kernel_smallILi31EdPKPdEEv13rocblas_fill_17rocblas_diagonal_T1_iil
; %bb.0:
	s_add_u32 s0, s0, s7
	s_addc_u32 s1, s1, 0
	v_cmp_gt_u32_e32 vcc, 31, v0
	s_and_saveexec_b64 s[8:9], vcc
	s_cbranch_execz .LBB94_590
; %bb.1:
	s_load_dwordx2 s[12:13], s[4:5], 0x10
	s_load_dwordx4 s[8:11], s[4:5], 0x0
	s_ashr_i32 s7, s6, 31
	s_lshl_b64 s[6:7], s[6:7], 3
	v_lshlrev_b32_e32 v65, 3, v0
	s_waitcnt lgkmcnt(0)
	s_ashr_i32 s5, s12, 31
	s_add_u32 s6, s10, s6
	s_addc_u32 s7, s11, s7
	s_load_dwordx2 s[6:7], s[6:7], 0x0
	s_mov_b32 s4, s12
	s_lshl_b64 s[4:5], s[4:5], 3
	s_waitcnt lgkmcnt(0)
	s_add_u32 s4, s6, s4
	s_addc_u32 s5, s7, s5
	v_mov_b32_e32 v2, s5
	v_add_co_u32_e32 v1, vcc, s4, v65
	v_addc_co_u32_e32 v2, vcc, 0, v2, vcc
	flat_load_dwordx2 v[5:6], v[1:2]
	s_mov_b32 s6, s13
	s_ashr_i32 s7, s13, 31
	s_lshl_b64 s[6:7], s[6:7], 3
	v_mov_b32_e32 v4, s7
	v_add_co_u32_e32 v3, vcc, s6, v1
	v_addc_co_u32_e32 v4, vcc, v2, v4, vcc
	s_add_i32 s6, s13, s13
	v_add_u32_e32 v9, s6, v0
	v_ashrrev_i32_e32 v10, 31, v9
	v_mov_b32_e32 v11, s5
	v_add_u32_e32 v12, s13, v9
	v_ashrrev_i32_e32 v13, 31, v12
	v_mov_b32_e32 v14, s5
	v_mov_b32_e32 v15, s5
	;; [unrolled: 1-line block ×27, first 2 shown]
	s_cmpk_lg_i32 s9, 0x84
	s_cselect_b64 s[10:11], -1, 0
	s_cmpk_eq_i32 s9, 0x84
	s_waitcnt vmcnt(0) lgkmcnt(0)
	buffer_store_dword v6, off, s[0:3], 0 offset:4
	buffer_store_dword v5, off, s[0:3], 0
	flat_load_dwordx2 v[7:8], v[3:4]
	v_lshlrev_b64 v[5:6], 3, v[9:10]
	s_waitcnt vmcnt(0) lgkmcnt(0)
	buffer_store_dword v8, off, s[0:3], 0 offset:12
	buffer_store_dword v7, off, s[0:3], 0 offset:8
	v_add_co_u32_e32 v5, vcc, s4, v5
	v_addc_co_u32_e32 v6, vcc, v11, v6, vcc
	flat_load_dwordx2 v[10:11], v[5:6]
	v_lshlrev_b64 v[7:8], 3, v[12:13]
	s_waitcnt vmcnt(0) lgkmcnt(0)
	buffer_store_dword v11, off, s[0:3], 0 offset:20
	buffer_store_dword v10, off, s[0:3], 0 offset:16
	v_add_co_u32_e32 v7, vcc, s4, v7
	v_addc_co_u32_e32 v8, vcc, v14, v8, vcc
	flat_load_dwordx2 v[13:14], v[7:8]
	v_add_u32_e32 v11, s13, v12
	v_ashrrev_i32_e32 v12, 31, v11
	v_lshlrev_b64 v[9:10], 3, v[11:12]
	s_waitcnt vmcnt(0) lgkmcnt(0)
	buffer_store_dword v14, off, s[0:3], 0 offset:28
	buffer_store_dword v13, off, s[0:3], 0 offset:24
	v_add_co_u32_e32 v9, vcc, s4, v9
	v_addc_co_u32_e32 v10, vcc, v15, v10, vcc
	flat_load_dwordx2 v[13:14], v[9:10]
	v_add_u32_e32 v15, s13, v11
	v_ashrrev_i32_e32 v16, 31, v15
	v_lshlrev_b64 v[11:12], 3, v[15:16]
	v_add_u32_e32 v18, s13, v15
	v_add_co_u32_e32 v11, vcc, s4, v11
	v_addc_co_u32_e32 v12, vcc, v17, v12, vcc
	v_ashrrev_i32_e32 v19, 31, v18
	s_waitcnt vmcnt(0) lgkmcnt(0)
	buffer_store_dword v14, off, s[0:3], 0 offset:36
	buffer_store_dword v13, off, s[0:3], 0 offset:32
	flat_load_dwordx2 v[16:17], v[11:12]
	v_lshlrev_b64 v[13:14], 3, v[18:19]
	s_waitcnt vmcnt(0) lgkmcnt(0)
	buffer_store_dword v17, off, s[0:3], 0 offset:44
	buffer_store_dword v16, off, s[0:3], 0 offset:40
	v_add_co_u32_e32 v13, vcc, s4, v13
	v_addc_co_u32_e32 v14, vcc, v20, v14, vcc
	flat_load_dwordx2 v[19:20], v[13:14]
	v_add_u32_e32 v17, s13, v18
	v_ashrrev_i32_e32 v18, 31, v17
	v_lshlrev_b64 v[15:16], 3, v[17:18]
	s_waitcnt vmcnt(0) lgkmcnt(0)
	buffer_store_dword v20, off, s[0:3], 0 offset:52
	buffer_store_dword v19, off, s[0:3], 0 offset:48
	v_add_co_u32_e32 v15, vcc, s4, v15
	v_addc_co_u32_e32 v16, vcc, v21, v16, vcc
	flat_load_dwordx2 v[19:20], v[15:16]
	v_add_u32_e32 v21, s13, v17
	v_ashrrev_i32_e32 v22, 31, v21
	v_lshlrev_b64 v[17:18], 3, v[21:22]
	v_add_u32_e32 v24, s13, v21
	v_add_co_u32_e32 v17, vcc, s4, v17
	v_addc_co_u32_e32 v18, vcc, v23, v18, vcc
	v_ashrrev_i32_e32 v25, 31, v24
	s_waitcnt vmcnt(0) lgkmcnt(0)
	buffer_store_dword v20, off, s[0:3], 0 offset:60
	buffer_store_dword v19, off, s[0:3], 0 offset:56
	;; [unrolled: 27-line block ×7, first 2 shown]
	flat_load_dwordx2 v[52:53], v[47:48]
	v_lshlrev_b64 v[49:50], 3, v[54:55]
	s_waitcnt vmcnt(0) lgkmcnt(0)
	buffer_store_dword v53, off, s[0:3], 0 offset:188
	buffer_store_dword v52, off, s[0:3], 0 offset:184
	v_add_co_u32_e32 v49, vcc, s4, v49
	v_addc_co_u32_e32 v50, vcc, v56, v50, vcc
	flat_load_dwordx2 v[55:56], v[49:50]
	v_add_u32_e32 v53, s13, v54
	v_ashrrev_i32_e32 v54, 31, v53
	v_lshlrev_b64 v[51:52], 3, v[53:54]
	s_waitcnt vmcnt(0) lgkmcnt(0)
	buffer_store_dword v56, off, s[0:3], 0 offset:196
	buffer_store_dword v55, off, s[0:3], 0 offset:192
	v_add_co_u32_e32 v51, vcc, s4, v51
	v_addc_co_u32_e32 v52, vcc, v57, v52, vcc
	flat_load_dwordx2 v[55:56], v[51:52]
	v_add_u32_e32 v57, s13, v53
	v_ashrrev_i32_e32 v58, 31, v57
	v_lshlrev_b64 v[53:54], 3, v[57:58]
	v_add_u32_e32 v60, s13, v57
	v_add_co_u32_e32 v53, vcc, s4, v53
	v_addc_co_u32_e32 v54, vcc, v59, v54, vcc
	s_waitcnt vmcnt(0) lgkmcnt(0)
	buffer_store_dword v56, off, s[0:3], 0 offset:204
	buffer_store_dword v55, off, s[0:3], 0 offset:200
	flat_load_dwordx2 v[58:59], v[53:54]
	v_ashrrev_i32_e32 v61, 31, v60
	v_lshlrev_b64 v[55:56], 3, v[60:61]
	s_waitcnt vmcnt(0) lgkmcnt(0)
	buffer_store_dword v59, off, s[0:3], 0 offset:212
	buffer_store_dword v58, off, s[0:3], 0 offset:208
	v_add_co_u32_e32 v55, vcc, s4, v55
	v_addc_co_u32_e32 v56, vcc, v62, v56, vcc
	flat_load_dwordx2 v[61:62], v[55:56]
	v_add_u32_e32 v59, s13, v60
	v_ashrrev_i32_e32 v60, 31, v59
	v_lshlrev_b64 v[57:58], 3, v[59:60]
	s_waitcnt vmcnt(0) lgkmcnt(0)
	buffer_store_dword v62, off, s[0:3], 0 offset:220
	buffer_store_dword v61, off, s[0:3], 0 offset:216
	v_add_co_u32_e32 v57, vcc, s4, v57
	v_addc_co_u32_e32 v58, vcc, v63, v58, vcc
	flat_load_dwordx2 v[61:62], v[57:58]
	v_add_u32_e32 v63, s13, v59
	;; [unrolled: 9-line block ×3, first 2 shown]
	v_ashrrev_i32_e32 v62, 31, v61
	v_lshlrev_b64 v[61:62], 3, v[61:62]
	v_mov_b32_e32 v64, s5
	v_add_co_u32_e32 v61, vcc, s4, v61
	v_addc_co_u32_e32 v62, vcc, v64, v62, vcc
	s_waitcnt vmcnt(0) lgkmcnt(0)
	buffer_store_dword v67, off, s[0:3], 0 offset:236
	buffer_store_dword v66, off, s[0:3], 0 offset:232
	flat_load_dwordx2 v[66:67], v[61:62]
	v_mov_b32_e32 v63, 0
	v_mov_b32_e32 v64, 0xbff00000
	s_waitcnt vmcnt(0) lgkmcnt(0)
	buffer_store_dword v67, off, s[0:3], 0 offset:244
	buffer_store_dword v66, off, s[0:3], 0 offset:240
	s_cbranch_scc1 .LBB94_3
; %bb.2:
	v_mov_b32_e32 v63, 0
	v_lshl_add_u32 v74, v0, 3, v63
	buffer_load_dword v63, v74, s[0:3], 0 offen
	buffer_load_dword v64, v74, s[0:3], 0 offen offset:4
	s_waitcnt vmcnt(0)
	v_div_scale_f64 v[66:67], s[4:5], v[63:64], v[63:64], 1.0
	v_rcp_f64_e32 v[68:69], v[66:67]
	v_fma_f64 v[70:71], -v[66:67], v[68:69], 1.0
	v_fma_f64 v[68:69], v[68:69], v[70:71], v[68:69]
	v_div_scale_f64 v[70:71], vcc, 1.0, v[63:64], 1.0
	v_fma_f64 v[72:73], -v[66:67], v[68:69], 1.0
	v_fma_f64 v[68:69], v[68:69], v[72:73], v[68:69]
	v_mul_f64 v[72:73], v[70:71], v[68:69]
	v_fma_f64 v[66:67], -v[66:67], v[72:73], v[70:71]
	v_div_fmas_f64 v[66:67], v[66:67], v[68:69], v[72:73]
	v_div_fixup_f64 v[63:64], v[66:67], v[63:64], 1.0
	buffer_store_dword v63, v74, s[0:3], 0 offen
	buffer_store_dword v64, v74, s[0:3], 0 offen offset:4
	v_xor_b32_e32 v64, 0x80000000, v64
.LBB94_3:
	s_cmpk_eq_i32 s8, 0x79
	v_add_u32_e32 v66, 0x100, v65
	v_mov_b32_e32 v67, v65
	s_mov_b64 s[4:5], -1
	ds_write_b64 v65, v[63:64]
	s_cbranch_scc1 .LBB94_297
; %bb.4:
	buffer_load_dword v63, off, s[0:3], 0 offset:232
	buffer_load_dword v64, off, s[0:3], 0 offset:236
	s_movk_i32 s12, 0x48
	s_movk_i32 s13, 0x50
	;; [unrolled: 1-line block ×20, first 2 shown]
	v_cmp_eq_u32_e64 s[4:5], 30, v0
	s_waitcnt vmcnt(0)
	ds_write_b64 v66, v[63:64]
	s_waitcnt lgkmcnt(0)
	; wave barrier
	s_and_saveexec_b64 s[6:7], s[4:5]
	s_cbranch_execz .LBB94_10
; %bb.5:
	s_and_b64 vcc, exec, s[10:11]
	s_cbranch_vccz .LBB94_7
; %bb.6:
	buffer_load_dword v63, v67, s[0:3], 0 offen
	buffer_load_dword v64, v67, s[0:3], 0 offen offset:4
	ds_read_b64 v[68:69], v66
	s_waitcnt vmcnt(0) lgkmcnt(0)
	v_mul_f64 v[63:64], v[63:64], v[68:69]
	s_cbranch_execz .LBB94_8
	s_branch .LBB94_9
.LBB94_7:
                                        ; implicit-def: $vgpr63_vgpr64
.LBB94_8:
	ds_read_b64 v[63:64], v66
.LBB94_9:
	v_mov_b32_e32 v68, 0
	ds_read_b64 v[68:69], v68 offset:232
	s_waitcnt lgkmcnt(0)
	v_mul_f64 v[63:64], v[63:64], v[68:69]
	buffer_store_dword v64, off, s[0:3], 0 offset:236
	buffer_store_dword v63, off, s[0:3], 0 offset:232
.LBB94_10:
	s_or_b64 exec, exec, s[6:7]
	buffer_load_dword v63, off, s[0:3], 0 offset:224
	buffer_load_dword v64, off, s[0:3], 0 offset:228
	s_or_b32 s14, 0, 8
	s_mov_b32 s15, 16
	s_mov_b32 s16, 24
	;; [unrolled: 1-line block ×9, first 2 shown]
	v_cmp_lt_u32_e64 s[6:7], 28, v0
	s_waitcnt vmcnt(0)
	ds_write_b64 v66, v[63:64]
	s_waitcnt lgkmcnt(0)
	; wave barrier
	s_and_saveexec_b64 s[8:9], s[6:7]
	s_cbranch_execz .LBB94_16
; %bb.11:
	s_andn2_b64 vcc, exec, s[10:11]
	s_cbranch_vccnz .LBB94_13
; %bb.12:
	buffer_load_dword v63, v67, s[0:3], 0 offen
	buffer_load_dword v64, v67, s[0:3], 0 offen offset:4
	ds_read_b64 v[68:69], v66
	s_waitcnt vmcnt(0) lgkmcnt(0)
	v_mul_f64 v[63:64], v[63:64], v[68:69]
	s_cbranch_execz .LBB94_14
	s_branch .LBB94_15
.LBB94_13:
                                        ; implicit-def: $vgpr63_vgpr64
.LBB94_14:
	ds_read_b64 v[63:64], v66
.LBB94_15:
	buffer_load_dword v72, off, s[0:3], 0 offset:232
	buffer_load_dword v73, off, s[0:3], 0 offset:236
	v_mov_b32_e32 v68, 0
	ds_read2_b64 v[68:71], v68 offset0:28 offset1:61
	s_waitcnt vmcnt(0) lgkmcnt(0)
	v_fma_f64 v[70:71], v[72:73], v[70:71], v[63:64]
	v_cndmask_b32_e64 v64, v64, v71, s[4:5]
	v_cndmask_b32_e64 v63, v63, v70, s[4:5]
	v_mul_f64 v[63:64], v[63:64], v[68:69]
	buffer_store_dword v64, off, s[0:3], 0 offset:228
	buffer_store_dword v63, off, s[0:3], 0 offset:224
.LBB94_16:
	s_or_b64 exec, exec, s[8:9]
	buffer_load_dword v63, off, s[0:3], 0 offset:216
	buffer_load_dword v64, off, s[0:3], 0 offset:220
	v_cmp_lt_u32_e64 s[4:5], 27, v0
	s_waitcnt vmcnt(0)
	ds_write_b64 v66, v[63:64]
	s_waitcnt lgkmcnt(0)
	; wave barrier
	s_and_saveexec_b64 s[8:9], s[4:5]
	s_cbranch_execz .LBB94_26
; %bb.17:
	s_andn2_b64 vcc, exec, s[10:11]
	s_cbranch_vccnz .LBB94_19
; %bb.18:
	buffer_load_dword v63, v67, s[0:3], 0 offen
	buffer_load_dword v64, v67, s[0:3], 0 offen offset:4
	ds_read_b64 v[68:69], v66
	s_waitcnt vmcnt(0) lgkmcnt(0)
	v_mul_f64 v[63:64], v[63:64], v[68:69]
	s_cbranch_execz .LBB94_20
	s_branch .LBB94_21
.LBB94_19:
                                        ; implicit-def: $vgpr63_vgpr64
.LBB94_20:
	ds_read_b64 v[63:64], v66
.LBB94_21:
	s_and_saveexec_b64 s[12:13], s[6:7]
	s_cbranch_execz .LBB94_25
; %bb.22:
	v_subrev_u32_e32 v68, 28, v0
	s_movk_i32 s43, 0x1e0
	s_mov_b64 s[6:7], 0
.LBB94_23:                              ; =>This Inner Loop Header: Depth=1
	v_mov_b32_e32 v71, s42
	buffer_load_dword v69, v71, s[0:3], 0 offen
	buffer_load_dword v70, v71, s[0:3], 0 offen offset:4
	v_mov_b32_e32 v71, s43
	ds_read_b64 v[71:72], v71
	v_add_u32_e32 v68, -1, v68
	s_add_i32 s43, s43, 8
	s_add_i32 s42, s42, 8
	v_cmp_eq_u32_e32 vcc, 0, v68
	s_or_b64 s[6:7], vcc, s[6:7]
	s_waitcnt vmcnt(0) lgkmcnt(0)
	v_fma_f64 v[63:64], v[69:70], v[71:72], v[63:64]
	s_andn2_b64 exec, exec, s[6:7]
	s_cbranch_execnz .LBB94_23
; %bb.24:
	s_or_b64 exec, exec, s[6:7]
.LBB94_25:
	s_or_b64 exec, exec, s[12:13]
	v_mov_b32_e32 v68, 0
	ds_read_b64 v[68:69], v68 offset:216
	s_waitcnt lgkmcnt(0)
	v_mul_f64 v[63:64], v[63:64], v[68:69]
	buffer_store_dword v64, off, s[0:3], 0 offset:220
	buffer_store_dword v63, off, s[0:3], 0 offset:216
.LBB94_26:
	s_or_b64 exec, exec, s[8:9]
	buffer_load_dword v63, off, s[0:3], 0 offset:208
	buffer_load_dword v64, off, s[0:3], 0 offset:212
	v_cmp_lt_u32_e64 s[6:7], 26, v0
	s_waitcnt vmcnt(0)
	ds_write_b64 v66, v[63:64]
	s_waitcnt lgkmcnt(0)
	; wave barrier
	s_and_saveexec_b64 s[8:9], s[6:7]
	s_cbranch_execz .LBB94_36
; %bb.27:
	s_andn2_b64 vcc, exec, s[10:11]
	s_cbranch_vccnz .LBB94_29
; %bb.28:
	buffer_load_dword v63, v67, s[0:3], 0 offen
	buffer_load_dword v64, v67, s[0:3], 0 offen offset:4
	ds_read_b64 v[68:69], v66
	s_waitcnt vmcnt(0) lgkmcnt(0)
	v_mul_f64 v[63:64], v[63:64], v[68:69]
	s_cbranch_execz .LBB94_30
	s_branch .LBB94_31
.LBB94_29:
                                        ; implicit-def: $vgpr63_vgpr64
.LBB94_30:
	ds_read_b64 v[63:64], v66
.LBB94_31:
	s_and_saveexec_b64 s[12:13], s[4:5]
	s_cbranch_execz .LBB94_35
; %bb.32:
	v_subrev_u32_e32 v68, 27, v0
	s_movk_i32 s42, 0x1d8
	s_mov_b64 s[4:5], 0
.LBB94_33:                              ; =>This Inner Loop Header: Depth=1
	v_mov_b32_e32 v71, s41
	buffer_load_dword v69, v71, s[0:3], 0 offen
	buffer_load_dword v70, v71, s[0:3], 0 offen offset:4
	v_mov_b32_e32 v71, s42
	ds_read_b64 v[71:72], v71
	v_add_u32_e32 v68, -1, v68
	s_add_i32 s42, s42, 8
	s_add_i32 s41, s41, 8
	v_cmp_eq_u32_e32 vcc, 0, v68
	s_or_b64 s[4:5], vcc, s[4:5]
	s_waitcnt vmcnt(0) lgkmcnt(0)
	v_fma_f64 v[63:64], v[69:70], v[71:72], v[63:64]
	s_andn2_b64 exec, exec, s[4:5]
	s_cbranch_execnz .LBB94_33
; %bb.34:
	s_or_b64 exec, exec, s[4:5]
.LBB94_35:
	s_or_b64 exec, exec, s[12:13]
	v_mov_b32_e32 v68, 0
	ds_read_b64 v[68:69], v68 offset:208
	s_waitcnt lgkmcnt(0)
	v_mul_f64 v[63:64], v[63:64], v[68:69]
	buffer_store_dword v64, off, s[0:3], 0 offset:212
	buffer_store_dword v63, off, s[0:3], 0 offset:208
.LBB94_36:
	;; [unrolled: 58-line block ×8, first 2 shown]
	s_or_b64 exec, exec, s[8:9]
	buffer_load_dword v63, off, s[0:3], 0 offset:152
	buffer_load_dword v64, off, s[0:3], 0 offset:156
	v_cmp_lt_u32_e64 s[4:5], 19, v0
	s_waitcnt vmcnt(0)
	ds_write_b64 v66, v[63:64]
	s_waitcnt lgkmcnt(0)
	; wave barrier
	s_and_saveexec_b64 s[8:9], s[4:5]
	s_cbranch_execz .LBB94_106
; %bb.97:
	s_andn2_b64 vcc, exec, s[10:11]
	s_cbranch_vccnz .LBB94_99
; %bb.98:
	buffer_load_dword v63, v67, s[0:3], 0 offen
	buffer_load_dword v64, v67, s[0:3], 0 offen offset:4
	ds_read_b64 v[68:69], v66
	s_waitcnt vmcnt(0) lgkmcnt(0)
	v_mul_f64 v[63:64], v[63:64], v[68:69]
	s_cbranch_execz .LBB94_100
	s_branch .LBB94_101
.LBB94_99:
                                        ; implicit-def: $vgpr63_vgpr64
.LBB94_100:
	ds_read_b64 v[63:64], v66
.LBB94_101:
	s_and_saveexec_b64 s[12:13], s[6:7]
	s_cbranch_execz .LBB94_105
; %bb.102:
	v_subrev_u32_e32 v68, 20, v0
	s_movk_i32 s35, 0x1a0
	s_mov_b64 s[6:7], 0
.LBB94_103:                             ; =>This Inner Loop Header: Depth=1
	v_mov_b32_e32 v71, s34
	buffer_load_dword v69, v71, s[0:3], 0 offen
	buffer_load_dword v70, v71, s[0:3], 0 offen offset:4
	v_mov_b32_e32 v71, s35
	ds_read_b64 v[71:72], v71
	v_add_u32_e32 v68, -1, v68
	s_add_i32 s35, s35, 8
	s_add_i32 s34, s34, 8
	v_cmp_eq_u32_e32 vcc, 0, v68
	s_or_b64 s[6:7], vcc, s[6:7]
	s_waitcnt vmcnt(0) lgkmcnt(0)
	v_fma_f64 v[63:64], v[69:70], v[71:72], v[63:64]
	s_andn2_b64 exec, exec, s[6:7]
	s_cbranch_execnz .LBB94_103
; %bb.104:
	s_or_b64 exec, exec, s[6:7]
.LBB94_105:
	s_or_b64 exec, exec, s[12:13]
	v_mov_b32_e32 v68, 0
	ds_read_b64 v[68:69], v68 offset:152
	s_waitcnt lgkmcnt(0)
	v_mul_f64 v[63:64], v[63:64], v[68:69]
	buffer_store_dword v64, off, s[0:3], 0 offset:156
	buffer_store_dword v63, off, s[0:3], 0 offset:152
.LBB94_106:
	s_or_b64 exec, exec, s[8:9]
	buffer_load_dword v63, off, s[0:3], 0 offset:144
	buffer_load_dword v64, off, s[0:3], 0 offset:148
	v_cmp_lt_u32_e64 s[6:7], 18, v0
	s_waitcnt vmcnt(0)
	ds_write_b64 v66, v[63:64]
	s_waitcnt lgkmcnt(0)
	; wave barrier
	s_and_saveexec_b64 s[8:9], s[6:7]
	s_cbranch_execz .LBB94_116
; %bb.107:
	s_andn2_b64 vcc, exec, s[10:11]
	s_cbranch_vccnz .LBB94_109
; %bb.108:
	buffer_load_dword v63, v67, s[0:3], 0 offen
	buffer_load_dword v64, v67, s[0:3], 0 offen offset:4
	ds_read_b64 v[68:69], v66
	s_waitcnt vmcnt(0) lgkmcnt(0)
	v_mul_f64 v[63:64], v[63:64], v[68:69]
	s_cbranch_execz .LBB94_110
	s_branch .LBB94_111
.LBB94_109:
                                        ; implicit-def: $vgpr63_vgpr64
.LBB94_110:
	ds_read_b64 v[63:64], v66
.LBB94_111:
	s_and_saveexec_b64 s[12:13], s[4:5]
	s_cbranch_execz .LBB94_115
; %bb.112:
	v_subrev_u32_e32 v68, 19, v0
	s_movk_i32 s34, 0x198
	s_mov_b64 s[4:5], 0
.LBB94_113:                             ; =>This Inner Loop Header: Depth=1
	v_mov_b32_e32 v71, s33
	buffer_load_dword v69, v71, s[0:3], 0 offen
	buffer_load_dword v70, v71, s[0:3], 0 offen offset:4
	v_mov_b32_e32 v71, s34
	ds_read_b64 v[71:72], v71
	v_add_u32_e32 v68, -1, v68
	s_add_i32 s34, s34, 8
	s_add_i32 s33, s33, 8
	v_cmp_eq_u32_e32 vcc, 0, v68
	s_or_b64 s[4:5], vcc, s[4:5]
	s_waitcnt vmcnt(0) lgkmcnt(0)
	v_fma_f64 v[63:64], v[69:70], v[71:72], v[63:64]
	s_andn2_b64 exec, exec, s[4:5]
	s_cbranch_execnz .LBB94_113
; %bb.114:
	s_or_b64 exec, exec, s[4:5]
.LBB94_115:
	s_or_b64 exec, exec, s[12:13]
	v_mov_b32_e32 v68, 0
	ds_read_b64 v[68:69], v68 offset:144
	s_waitcnt lgkmcnt(0)
	v_mul_f64 v[63:64], v[63:64], v[68:69]
	buffer_store_dword v64, off, s[0:3], 0 offset:148
	buffer_store_dword v63, off, s[0:3], 0 offset:144
.LBB94_116:
	;; [unrolled: 58-line block ×4, first 2 shown]
	s_or_b64 exec, exec, s[8:9]
	buffer_load_dword v63, off, s[0:3], 0 offset:120
	buffer_load_dword v64, off, s[0:3], 0 offset:124
	v_cmp_lt_u32_e64 s[4:5], 15, v0
	s_waitcnt vmcnt(0)
	ds_write_b64 v66, v[63:64]
	s_waitcnt lgkmcnt(0)
	; wave barrier
	s_and_saveexec_b64 s[8:9], s[4:5]
	s_cbranch_execz .LBB94_146
; %bb.137:
	s_andn2_b64 vcc, exec, s[10:11]
	s_cbranch_vccnz .LBB94_139
; %bb.138:
	buffer_load_dword v63, v67, s[0:3], 0 offen
	buffer_load_dword v64, v67, s[0:3], 0 offen offset:4
	ds_read_b64 v[68:69], v66
	s_waitcnt vmcnt(0) lgkmcnt(0)
	v_mul_f64 v[63:64], v[63:64], v[68:69]
	s_cbranch_execz .LBB94_140
	s_branch .LBB94_141
.LBB94_139:
                                        ; implicit-def: $vgpr63_vgpr64
.LBB94_140:
	ds_read_b64 v[63:64], v66
.LBB94_141:
	s_and_saveexec_b64 s[12:13], s[6:7]
	s_cbranch_execz .LBB94_145
; %bb.142:
	v_add_u32_e32 v68, -16, v0
	s_movk_i32 s30, 0x180
	s_mov_b64 s[6:7], 0
.LBB94_143:                             ; =>This Inner Loop Header: Depth=1
	v_mov_b32_e32 v71, s29
	buffer_load_dword v69, v71, s[0:3], 0 offen
	buffer_load_dword v70, v71, s[0:3], 0 offen offset:4
	v_mov_b32_e32 v71, s30
	ds_read_b64 v[71:72], v71
	v_add_u32_e32 v68, -1, v68
	s_add_i32 s30, s30, 8
	s_add_i32 s29, s29, 8
	v_cmp_eq_u32_e32 vcc, 0, v68
	s_or_b64 s[6:7], vcc, s[6:7]
	s_waitcnt vmcnt(0) lgkmcnt(0)
	v_fma_f64 v[63:64], v[69:70], v[71:72], v[63:64]
	s_andn2_b64 exec, exec, s[6:7]
	s_cbranch_execnz .LBB94_143
; %bb.144:
	s_or_b64 exec, exec, s[6:7]
.LBB94_145:
	s_or_b64 exec, exec, s[12:13]
	v_mov_b32_e32 v68, 0
	ds_read_b64 v[68:69], v68 offset:120
	s_waitcnt lgkmcnt(0)
	v_mul_f64 v[63:64], v[63:64], v[68:69]
	buffer_store_dword v64, off, s[0:3], 0 offset:124
	buffer_store_dword v63, off, s[0:3], 0 offset:120
.LBB94_146:
	s_or_b64 exec, exec, s[8:9]
	buffer_load_dword v63, off, s[0:3], 0 offset:112
	buffer_load_dword v64, off, s[0:3], 0 offset:116
	v_cmp_lt_u32_e64 s[6:7], 14, v0
	s_waitcnt vmcnt(0)
	ds_write_b64 v66, v[63:64]
	s_waitcnt lgkmcnt(0)
	; wave barrier
	s_and_saveexec_b64 s[8:9], s[6:7]
	s_cbranch_execz .LBB94_156
; %bb.147:
	s_andn2_b64 vcc, exec, s[10:11]
	s_cbranch_vccnz .LBB94_149
; %bb.148:
	buffer_load_dword v63, v67, s[0:3], 0 offen
	buffer_load_dword v64, v67, s[0:3], 0 offen offset:4
	ds_read_b64 v[68:69], v66
	s_waitcnt vmcnt(0) lgkmcnt(0)
	v_mul_f64 v[63:64], v[63:64], v[68:69]
	s_cbranch_execz .LBB94_150
	s_branch .LBB94_151
.LBB94_149:
                                        ; implicit-def: $vgpr63_vgpr64
.LBB94_150:
	ds_read_b64 v[63:64], v66
.LBB94_151:
	s_and_saveexec_b64 s[12:13], s[4:5]
	s_cbranch_execz .LBB94_155
; %bb.152:
	v_add_u32_e32 v68, -15, v0
	s_movk_i32 s29, 0x178
	s_mov_b64 s[4:5], 0
.LBB94_153:                             ; =>This Inner Loop Header: Depth=1
	v_mov_b32_e32 v71, s28
	buffer_load_dword v69, v71, s[0:3], 0 offen
	buffer_load_dword v70, v71, s[0:3], 0 offen offset:4
	v_mov_b32_e32 v71, s29
	ds_read_b64 v[71:72], v71
	v_add_u32_e32 v68, -1, v68
	s_add_i32 s29, s29, 8
	s_add_i32 s28, s28, 8
	v_cmp_eq_u32_e32 vcc, 0, v68
	s_or_b64 s[4:5], vcc, s[4:5]
	s_waitcnt vmcnt(0) lgkmcnt(0)
	v_fma_f64 v[63:64], v[69:70], v[71:72], v[63:64]
	s_andn2_b64 exec, exec, s[4:5]
	s_cbranch_execnz .LBB94_153
; %bb.154:
	s_or_b64 exec, exec, s[4:5]
.LBB94_155:
	s_or_b64 exec, exec, s[12:13]
	v_mov_b32_e32 v68, 0
	ds_read_b64 v[68:69], v68 offset:112
	s_waitcnt lgkmcnt(0)
	v_mul_f64 v[63:64], v[63:64], v[68:69]
	buffer_store_dword v64, off, s[0:3], 0 offset:116
	buffer_store_dword v63, off, s[0:3], 0 offset:112
.LBB94_156:
	;; [unrolled: 58-line block ×15, first 2 shown]
	s_or_b64 exec, exec, s[8:9]
	buffer_load_dword v63, off, s[0:3], 0
	buffer_load_dword v64, off, s[0:3], 0 offset:4
	v_cmp_ne_u32_e32 vcc, 0, v0
	s_waitcnt vmcnt(0)
	ds_write_b64 v66, v[63:64]
	s_waitcnt lgkmcnt(0)
	; wave barrier
	s_and_saveexec_b64 s[6:7], vcc
	s_cbranch_execz .LBB94_296
; %bb.287:
	s_andn2_b64 vcc, exec, s[10:11]
	s_cbranch_vccnz .LBB94_289
; %bb.288:
	buffer_load_dword v63, v67, s[0:3], 0 offen
	buffer_load_dword v64, v67, s[0:3], 0 offen offset:4
	ds_read_b64 v[68:69], v66
	s_waitcnt vmcnt(0) lgkmcnt(0)
	v_mul_f64 v[63:64], v[63:64], v[68:69]
	s_cbranch_execz .LBB94_290
	s_branch .LBB94_291
.LBB94_289:
                                        ; implicit-def: $vgpr63_vgpr64
.LBB94_290:
	ds_read_b64 v[63:64], v66
.LBB94_291:
	s_and_saveexec_b64 s[8:9], s[4:5]
	s_cbranch_execz .LBB94_295
; %bb.292:
	v_add_u32_e32 v68, -1, v0
	s_movk_i32 s12, 0x108
	s_mov_b64 s[4:5], 0
.LBB94_293:                             ; =>This Inner Loop Header: Depth=1
	v_mov_b32_e32 v71, s14
	buffer_load_dword v69, v71, s[0:3], 0 offen
	buffer_load_dword v70, v71, s[0:3], 0 offen offset:4
	v_mov_b32_e32 v71, s12
	ds_read_b64 v[71:72], v71
	v_add_u32_e32 v68, -1, v68
	s_add_i32 s12, s12, 8
	s_add_i32 s14, s14, 8
	v_cmp_eq_u32_e32 vcc, 0, v68
	s_or_b64 s[4:5], vcc, s[4:5]
	s_waitcnt vmcnt(0) lgkmcnt(0)
	v_fma_f64 v[63:64], v[69:70], v[71:72], v[63:64]
	s_andn2_b64 exec, exec, s[4:5]
	s_cbranch_execnz .LBB94_293
; %bb.294:
	s_or_b64 exec, exec, s[4:5]
.LBB94_295:
	s_or_b64 exec, exec, s[8:9]
	v_mov_b32_e32 v68, 0
	ds_read_b64 v[68:69], v68
	s_waitcnt lgkmcnt(0)
	v_mul_f64 v[63:64], v[63:64], v[68:69]
	buffer_store_dword v64, off, s[0:3], 0 offset:4
	buffer_store_dword v63, off, s[0:3], 0
.LBB94_296:
	s_or_b64 exec, exec, s[6:7]
	s_mov_b64 s[4:5], 0
.LBB94_297:
	s_and_b64 vcc, exec, s[4:5]
	s_cbranch_vccz .LBB94_589
; %bb.298:
	buffer_load_dword v63, off, s[0:3], 0 offset:8
	buffer_load_dword v64, off, s[0:3], 0 offset:12
	v_cmp_eq_u32_e64 s[6:7], 0, v0
	s_waitcnt vmcnt(0)
	ds_write_b64 v66, v[63:64]
	s_waitcnt lgkmcnt(0)
	; wave barrier
	s_and_saveexec_b64 s[4:5], s[6:7]
	s_cbranch_execz .LBB94_304
; %bb.299:
	s_and_b64 vcc, exec, s[10:11]
	s_cbranch_vccz .LBB94_301
; %bb.300:
	buffer_load_dword v63, v67, s[0:3], 0 offen
	buffer_load_dword v64, v67, s[0:3], 0 offen offset:4
	ds_read_b64 v[68:69], v66
	s_waitcnt vmcnt(0) lgkmcnt(0)
	v_mul_f64 v[63:64], v[63:64], v[68:69]
	s_cbranch_execz .LBB94_302
	s_branch .LBB94_303
.LBB94_301:
                                        ; implicit-def: $vgpr63_vgpr64
.LBB94_302:
	ds_read_b64 v[63:64], v66
.LBB94_303:
	v_mov_b32_e32 v68, 0
	ds_read_b64 v[68:69], v68 offset:8
	s_waitcnt lgkmcnt(0)
	v_mul_f64 v[63:64], v[63:64], v[68:69]
	buffer_store_dword v64, off, s[0:3], 0 offset:12
	buffer_store_dword v63, off, s[0:3], 0 offset:8
.LBB94_304:
	s_or_b64 exec, exec, s[4:5]
	buffer_load_dword v63, off, s[0:3], 0 offset:16
	buffer_load_dword v64, off, s[0:3], 0 offset:20
	v_cndmask_b32_e64 v68, 0, 1, s[10:11]
	v_cmp_gt_u32_e32 vcc, 2, v0
	v_cmp_ne_u32_e64 s[4:5], 1, v68
	s_waitcnt vmcnt(0)
	ds_write_b64 v66, v[63:64]
	s_waitcnt lgkmcnt(0)
	; wave barrier
	s_and_saveexec_b64 s[8:9], vcc
	s_cbranch_execz .LBB94_310
; %bb.305:
	s_and_b64 vcc, exec, s[4:5]
	s_cbranch_vccnz .LBB94_307
; %bb.306:
	buffer_load_dword v63, v67, s[0:3], 0 offen
	buffer_load_dword v64, v67, s[0:3], 0 offen offset:4
	ds_read_b64 v[68:69], v66
	s_waitcnt vmcnt(0) lgkmcnt(0)
	v_mul_f64 v[63:64], v[63:64], v[68:69]
	s_cbranch_execz .LBB94_308
	s_branch .LBB94_309
.LBB94_307:
                                        ; implicit-def: $vgpr63_vgpr64
.LBB94_308:
	ds_read_b64 v[63:64], v66
.LBB94_309:
	buffer_load_dword v72, off, s[0:3], 0 offset:8
	buffer_load_dword v73, off, s[0:3], 0 offset:12
	v_mov_b32_e32 v68, 0
	ds_read2_b64 v[68:71], v68 offset0:2 offset1:33
	s_waitcnt vmcnt(0) lgkmcnt(0)
	v_fma_f64 v[70:71], v[72:73], v[70:71], v[63:64]
	v_cndmask_b32_e64 v64, v64, v71, s[6:7]
	v_cndmask_b32_e64 v63, v63, v70, s[6:7]
	v_mul_f64 v[63:64], v[63:64], v[68:69]
	buffer_store_dword v64, off, s[0:3], 0 offset:20
	buffer_store_dword v63, off, s[0:3], 0 offset:16
.LBB94_310:
	s_or_b64 exec, exec, s[8:9]
	buffer_load_dword v63, off, s[0:3], 0 offset:24
	buffer_load_dword v64, off, s[0:3], 0 offset:28
	v_cmp_gt_u32_e32 vcc, 3, v0
	s_waitcnt vmcnt(0)
	ds_write_b64 v66, v[63:64]
	s_waitcnt lgkmcnt(0)
	; wave barrier
	s_and_saveexec_b64 s[8:9], vcc
	s_cbranch_execz .LBB94_318
; %bb.311:
	s_and_b64 vcc, exec, s[4:5]
	s_cbranch_vccnz .LBB94_313
; %bb.312:
	buffer_load_dword v63, v67, s[0:3], 0 offen
	buffer_load_dword v64, v67, s[0:3], 0 offen offset:4
	ds_read_b64 v[68:69], v66
	s_waitcnt vmcnt(0) lgkmcnt(0)
	v_mul_f64 v[63:64], v[63:64], v[68:69]
	s_cbranch_execz .LBB94_314
	s_branch .LBB94_315
.LBB94_313:
                                        ; implicit-def: $vgpr63_vgpr64
.LBB94_314:
	ds_read_b64 v[63:64], v66
.LBB94_315:
	v_cmp_ne_u32_e32 vcc, 2, v0
	s_and_saveexec_b64 s[10:11], vcc
	s_cbranch_execz .LBB94_317
; %bb.316:
	buffer_load_dword v68, v67, s[0:3], 0 offen offset:8
	buffer_load_dword v69, v67, s[0:3], 0 offen offset:12
	buffer_load_dword v70, off, s[0:3], 0 offset:16
	buffer_load_dword v71, off, s[0:3], 0 offset:20
	ds_read_b64 v[72:73], v66 offset:8
	v_mov_b32_e32 v74, 0
	ds_read_b64 v[74:75], v74 offset:272
	s_waitcnt vmcnt(2) lgkmcnt(1)
	v_fma_f64 v[63:64], v[68:69], v[72:73], v[63:64]
	s_waitcnt vmcnt(0) lgkmcnt(0)
	v_fma_f64 v[68:69], v[70:71], v[74:75], v[63:64]
	v_cndmask_b32_e64 v64, v64, v69, s[6:7]
	v_cndmask_b32_e64 v63, v63, v68, s[6:7]
.LBB94_317:
	s_or_b64 exec, exec, s[10:11]
	v_mov_b32_e32 v68, 0
	ds_read_b64 v[68:69], v68 offset:24
	s_waitcnt lgkmcnt(0)
	v_mul_f64 v[63:64], v[63:64], v[68:69]
	buffer_store_dword v64, off, s[0:3], 0 offset:28
	buffer_store_dword v63, off, s[0:3], 0 offset:24
.LBB94_318:
	s_or_b64 exec, exec, s[8:9]
	buffer_load_dword v63, off, s[0:3], 0 offset:32
	buffer_load_dword v64, off, s[0:3], 0 offset:36
	v_cmp_gt_u32_e32 vcc, 4, v0
	s_waitcnt vmcnt(0)
	ds_write_b64 v66, v[63:64]
	s_waitcnt lgkmcnt(0)
	; wave barrier
	s_and_saveexec_b64 s[6:7], vcc
	s_cbranch_execz .LBB94_328
; %bb.319:
	s_and_b64 vcc, exec, s[4:5]
	s_cbranch_vccnz .LBB94_321
; %bb.320:
	buffer_load_dword v63, v67, s[0:3], 0 offen
	buffer_load_dword v64, v67, s[0:3], 0 offen offset:4
	ds_read_b64 v[68:69], v66
	s_waitcnt vmcnt(0) lgkmcnt(0)
	v_mul_f64 v[63:64], v[63:64], v[68:69]
	s_cbranch_execz .LBB94_322
	s_branch .LBB94_323
.LBB94_321:
                                        ; implicit-def: $vgpr63_vgpr64
.LBB94_322:
	ds_read_b64 v[63:64], v66
.LBB94_323:
	v_cmp_ne_u32_e32 vcc, 3, v0
	s_and_saveexec_b64 s[8:9], vcc
	s_cbranch_execz .LBB94_327
; %bb.324:
	s_mov_b32 s10, 0
	v_add_u32_e32 v68, 0x108, v65
	v_add3_u32 v69, v65, s10, 8
	s_mov_b64 s[10:11], 0
	v_mov_b32_e32 v70, v0
.LBB94_325:                             ; =>This Inner Loop Header: Depth=1
	buffer_load_dword v71, v69, s[0:3], 0 offen
	buffer_load_dword v72, v69, s[0:3], 0 offen offset:4
	ds_read_b64 v[73:74], v68
	v_add_u32_e32 v70, 1, v70
	v_cmp_lt_u32_e32 vcc, 2, v70
	v_add_u32_e32 v68, 8, v68
	s_or_b64 s[10:11], vcc, s[10:11]
	v_add_u32_e32 v69, 8, v69
	s_waitcnt vmcnt(0) lgkmcnt(0)
	v_fma_f64 v[63:64], v[71:72], v[73:74], v[63:64]
	s_andn2_b64 exec, exec, s[10:11]
	s_cbranch_execnz .LBB94_325
; %bb.326:
	s_or_b64 exec, exec, s[10:11]
.LBB94_327:
	s_or_b64 exec, exec, s[8:9]
	v_mov_b32_e32 v68, 0
	ds_read_b64 v[68:69], v68 offset:32
	s_waitcnt lgkmcnt(0)
	v_mul_f64 v[63:64], v[63:64], v[68:69]
	buffer_store_dword v64, off, s[0:3], 0 offset:36
	buffer_store_dword v63, off, s[0:3], 0 offset:32
.LBB94_328:
	s_or_b64 exec, exec, s[6:7]
	buffer_load_dword v63, off, s[0:3], 0 offset:40
	buffer_load_dword v64, off, s[0:3], 0 offset:44
	v_cmp_gt_u32_e32 vcc, 5, v0
	s_waitcnt vmcnt(0)
	ds_write_b64 v66, v[63:64]
	s_waitcnt lgkmcnt(0)
	; wave barrier
	s_and_saveexec_b64 s[6:7], vcc
	s_cbranch_execz .LBB94_338
; %bb.329:
	s_and_b64 vcc, exec, s[4:5]
	s_cbranch_vccnz .LBB94_331
; %bb.330:
	buffer_load_dword v63, v67, s[0:3], 0 offen
	buffer_load_dword v64, v67, s[0:3], 0 offen offset:4
	ds_read_b64 v[68:69], v66
	s_waitcnt vmcnt(0) lgkmcnt(0)
	v_mul_f64 v[63:64], v[63:64], v[68:69]
	s_cbranch_execz .LBB94_332
	s_branch .LBB94_333
.LBB94_331:
                                        ; implicit-def: $vgpr63_vgpr64
.LBB94_332:
	ds_read_b64 v[63:64], v66
.LBB94_333:
	v_cmp_ne_u32_e32 vcc, 4, v0
	s_and_saveexec_b64 s[8:9], vcc
	s_cbranch_execz .LBB94_337
; %bb.334:
	s_mov_b32 s10, 0
	v_add_u32_e32 v68, 0x108, v65
	v_add3_u32 v69, v65, s10, 8
	s_mov_b64 s[10:11], 0
	v_mov_b32_e32 v70, v0
.LBB94_335:                             ; =>This Inner Loop Header: Depth=1
	buffer_load_dword v71, v69, s[0:3], 0 offen
	buffer_load_dword v72, v69, s[0:3], 0 offen offset:4
	ds_read_b64 v[73:74], v68
	v_add_u32_e32 v70, 1, v70
	v_cmp_lt_u32_e32 vcc, 3, v70
	v_add_u32_e32 v68, 8, v68
	s_or_b64 s[10:11], vcc, s[10:11]
	v_add_u32_e32 v69, 8, v69
	s_waitcnt vmcnt(0) lgkmcnt(0)
	v_fma_f64 v[63:64], v[71:72], v[73:74], v[63:64]
	s_andn2_b64 exec, exec, s[10:11]
	s_cbranch_execnz .LBB94_335
; %bb.336:
	s_or_b64 exec, exec, s[10:11]
.LBB94_337:
	s_or_b64 exec, exec, s[8:9]
	v_mov_b32_e32 v68, 0
	ds_read_b64 v[68:69], v68 offset:40
	s_waitcnt lgkmcnt(0)
	v_mul_f64 v[63:64], v[63:64], v[68:69]
	buffer_store_dword v64, off, s[0:3], 0 offset:44
	buffer_store_dword v63, off, s[0:3], 0 offset:40
.LBB94_338:
	;; [unrolled: 59-line block ×25, first 2 shown]
	s_or_b64 exec, exec, s[6:7]
	buffer_load_dword v63, off, s[0:3], 0 offset:232
	buffer_load_dword v64, off, s[0:3], 0 offset:236
	v_cmp_gt_u32_e64 s[6:7], 29, v0
	s_waitcnt vmcnt(0)
	ds_write_b64 v66, v[63:64]
	s_waitcnt lgkmcnt(0)
	; wave barrier
	s_and_saveexec_b64 s[8:9], s[6:7]
	s_cbranch_execz .LBB94_578
; %bb.569:
	s_and_b64 vcc, exec, s[4:5]
	s_cbranch_vccnz .LBB94_571
; %bb.570:
	buffer_load_dword v63, v67, s[0:3], 0 offen
	buffer_load_dword v64, v67, s[0:3], 0 offen offset:4
	ds_read_b64 v[68:69], v66
	s_waitcnt vmcnt(0) lgkmcnt(0)
	v_mul_f64 v[63:64], v[63:64], v[68:69]
	s_cbranch_execz .LBB94_572
	s_branch .LBB94_573
.LBB94_571:
                                        ; implicit-def: $vgpr63_vgpr64
.LBB94_572:
	ds_read_b64 v[63:64], v66
.LBB94_573:
	v_cmp_ne_u32_e32 vcc, 28, v0
	s_and_saveexec_b64 s[10:11], vcc
	s_cbranch_execz .LBB94_577
; %bb.574:
	s_mov_b32 s12, 0
	v_add_u32_e32 v68, 0x108, v65
	v_add3_u32 v69, v65, s12, 8
	s_mov_b64 s[12:13], 0
	v_mov_b32_e32 v70, v0
.LBB94_575:                             ; =>This Inner Loop Header: Depth=1
	buffer_load_dword v71, v69, s[0:3], 0 offen
	buffer_load_dword v72, v69, s[0:3], 0 offen offset:4
	ds_read_b64 v[73:74], v68
	v_add_u32_e32 v70, 1, v70
	v_cmp_lt_u32_e32 vcc, 27, v70
	v_add_u32_e32 v68, 8, v68
	s_or_b64 s[12:13], vcc, s[12:13]
	v_add_u32_e32 v69, 8, v69
	s_waitcnt vmcnt(0) lgkmcnt(0)
	v_fma_f64 v[63:64], v[71:72], v[73:74], v[63:64]
	s_andn2_b64 exec, exec, s[12:13]
	s_cbranch_execnz .LBB94_575
; %bb.576:
	s_or_b64 exec, exec, s[12:13]
.LBB94_577:
	s_or_b64 exec, exec, s[10:11]
	v_mov_b32_e32 v68, 0
	ds_read_b64 v[68:69], v68 offset:232
	s_waitcnt lgkmcnt(0)
	v_mul_f64 v[63:64], v[63:64], v[68:69]
	buffer_store_dword v64, off, s[0:3], 0 offset:236
	buffer_store_dword v63, off, s[0:3], 0 offset:232
.LBB94_578:
	s_or_b64 exec, exec, s[8:9]
	buffer_load_dword v63, off, s[0:3], 0 offset:240
	buffer_load_dword v64, off, s[0:3], 0 offset:244
	v_cmp_ne_u32_e32 vcc, 30, v0
	s_waitcnt vmcnt(0)
	ds_write_b64 v66, v[63:64]
	s_waitcnt lgkmcnt(0)
	; wave barrier
	s_and_saveexec_b64 s[8:9], vcc
	s_cbranch_execz .LBB94_588
; %bb.579:
	s_and_b64 vcc, exec, s[4:5]
	s_cbranch_vccnz .LBB94_581
; %bb.580:
	buffer_load_dword v63, v67, s[0:3], 0 offen
	buffer_load_dword v64, v67, s[0:3], 0 offen offset:4
	ds_read_b64 v[67:68], v66
	s_waitcnt vmcnt(0) lgkmcnt(0)
	v_mul_f64 v[63:64], v[63:64], v[67:68]
	s_cbranch_execz .LBB94_582
	s_branch .LBB94_583
.LBB94_581:
                                        ; implicit-def: $vgpr63_vgpr64
.LBB94_582:
	ds_read_b64 v[63:64], v66
.LBB94_583:
	s_and_saveexec_b64 s[4:5], s[6:7]
	s_cbranch_execz .LBB94_587
; %bb.584:
	s_mov_b32 s6, 0
	v_add_u32_e32 v66, 0x108, v65
	v_add3_u32 v65, v65, s6, 8
	s_mov_b64 s[6:7], 0
.LBB94_585:                             ; =>This Inner Loop Header: Depth=1
	buffer_load_dword v67, v65, s[0:3], 0 offen
	buffer_load_dword v68, v65, s[0:3], 0 offen offset:4
	ds_read_b64 v[69:70], v66
	v_add_u32_e32 v0, 1, v0
	v_cmp_lt_u32_e32 vcc, 28, v0
	v_add_u32_e32 v66, 8, v66
	s_or_b64 s[6:7], vcc, s[6:7]
	v_add_u32_e32 v65, 8, v65
	s_waitcnt vmcnt(0) lgkmcnt(0)
	v_fma_f64 v[63:64], v[67:68], v[69:70], v[63:64]
	s_andn2_b64 exec, exec, s[6:7]
	s_cbranch_execnz .LBB94_585
; %bb.586:
	s_or_b64 exec, exec, s[6:7]
.LBB94_587:
	s_or_b64 exec, exec, s[4:5]
	v_mov_b32_e32 v0, 0
	ds_read_b64 v[65:66], v0 offset:240
	s_waitcnt lgkmcnt(0)
	v_mul_f64 v[63:64], v[63:64], v[65:66]
	buffer_store_dword v64, off, s[0:3], 0 offset:244
	buffer_store_dword v63, off, s[0:3], 0 offset:240
.LBB94_588:
	s_or_b64 exec, exec, s[8:9]
.LBB94_589:
	buffer_load_dword v63, off, s[0:3], 0
	buffer_load_dword v64, off, s[0:3], 0 offset:4
	s_waitcnt vmcnt(0)
	flat_store_dwordx2 v[1:2], v[63:64]
	buffer_load_dword v0, off, s[0:3], 0 offset:8
	s_nop 0
	buffer_load_dword v1, off, s[0:3], 0 offset:12
	s_waitcnt vmcnt(0)
	flat_store_dwordx2 v[3:4], v[0:1]
	buffer_load_dword v0, off, s[0:3], 0 offset:16
	s_nop 0
	;; [unrolled: 5-line block ×30, first 2 shown]
	buffer_load_dword v1, off, s[0:3], 0 offset:244
	s_waitcnt vmcnt(0)
	flat_store_dwordx2 v[61:62], v[0:1]
.LBB94_590:
	s_endpgm
	.section	.rodata,"a",@progbits
	.p2align	6, 0x0
	.amdhsa_kernel _ZN9rocsolver6v33100L18trti2_kernel_smallILi31EdPKPdEEv13rocblas_fill_17rocblas_diagonal_T1_iil
		.amdhsa_group_segment_fixed_size 504
		.amdhsa_private_segment_fixed_size 256
		.amdhsa_kernarg_size 32
		.amdhsa_user_sgpr_count 6
		.amdhsa_user_sgpr_private_segment_buffer 1
		.amdhsa_user_sgpr_dispatch_ptr 0
		.amdhsa_user_sgpr_queue_ptr 0
		.amdhsa_user_sgpr_kernarg_segment_ptr 1
		.amdhsa_user_sgpr_dispatch_id 0
		.amdhsa_user_sgpr_flat_scratch_init 0
		.amdhsa_user_sgpr_private_segment_size 0
		.amdhsa_uses_dynamic_stack 0
		.amdhsa_system_sgpr_private_segment_wavefront_offset 1
		.amdhsa_system_sgpr_workgroup_id_x 1
		.amdhsa_system_sgpr_workgroup_id_y 0
		.amdhsa_system_sgpr_workgroup_id_z 0
		.amdhsa_system_sgpr_workgroup_info 0
		.amdhsa_system_vgpr_workitem_id 0
		.amdhsa_next_free_vgpr 76
		.amdhsa_next_free_sgpr 44
		.amdhsa_reserve_vcc 1
		.amdhsa_reserve_flat_scratch 0
		.amdhsa_float_round_mode_32 0
		.amdhsa_float_round_mode_16_64 0
		.amdhsa_float_denorm_mode_32 3
		.amdhsa_float_denorm_mode_16_64 3
		.amdhsa_dx10_clamp 1
		.amdhsa_ieee_mode 1
		.amdhsa_fp16_overflow 0
		.amdhsa_exception_fp_ieee_invalid_op 0
		.amdhsa_exception_fp_denorm_src 0
		.amdhsa_exception_fp_ieee_div_zero 0
		.amdhsa_exception_fp_ieee_overflow 0
		.amdhsa_exception_fp_ieee_underflow 0
		.amdhsa_exception_fp_ieee_inexact 0
		.amdhsa_exception_int_div_zero 0
	.end_amdhsa_kernel
	.section	.text._ZN9rocsolver6v33100L18trti2_kernel_smallILi31EdPKPdEEv13rocblas_fill_17rocblas_diagonal_T1_iil,"axG",@progbits,_ZN9rocsolver6v33100L18trti2_kernel_smallILi31EdPKPdEEv13rocblas_fill_17rocblas_diagonal_T1_iil,comdat
.Lfunc_end94:
	.size	_ZN9rocsolver6v33100L18trti2_kernel_smallILi31EdPKPdEEv13rocblas_fill_17rocblas_diagonal_T1_iil, .Lfunc_end94-_ZN9rocsolver6v33100L18trti2_kernel_smallILi31EdPKPdEEv13rocblas_fill_17rocblas_diagonal_T1_iil
                                        ; -- End function
	.set _ZN9rocsolver6v33100L18trti2_kernel_smallILi31EdPKPdEEv13rocblas_fill_17rocblas_diagonal_T1_iil.num_vgpr, 76
	.set _ZN9rocsolver6v33100L18trti2_kernel_smallILi31EdPKPdEEv13rocblas_fill_17rocblas_diagonal_T1_iil.num_agpr, 0
	.set _ZN9rocsolver6v33100L18trti2_kernel_smallILi31EdPKPdEEv13rocblas_fill_17rocblas_diagonal_T1_iil.numbered_sgpr, 44
	.set _ZN9rocsolver6v33100L18trti2_kernel_smallILi31EdPKPdEEv13rocblas_fill_17rocblas_diagonal_T1_iil.num_named_barrier, 0
	.set _ZN9rocsolver6v33100L18trti2_kernel_smallILi31EdPKPdEEv13rocblas_fill_17rocblas_diagonal_T1_iil.private_seg_size, 256
	.set _ZN9rocsolver6v33100L18trti2_kernel_smallILi31EdPKPdEEv13rocblas_fill_17rocblas_diagonal_T1_iil.uses_vcc, 1
	.set _ZN9rocsolver6v33100L18trti2_kernel_smallILi31EdPKPdEEv13rocblas_fill_17rocblas_diagonal_T1_iil.uses_flat_scratch, 0
	.set _ZN9rocsolver6v33100L18trti2_kernel_smallILi31EdPKPdEEv13rocblas_fill_17rocblas_diagonal_T1_iil.has_dyn_sized_stack, 0
	.set _ZN9rocsolver6v33100L18trti2_kernel_smallILi31EdPKPdEEv13rocblas_fill_17rocblas_diagonal_T1_iil.has_recursion, 0
	.set _ZN9rocsolver6v33100L18trti2_kernel_smallILi31EdPKPdEEv13rocblas_fill_17rocblas_diagonal_T1_iil.has_indirect_call, 0
	.section	.AMDGPU.csdata,"",@progbits
; Kernel info:
; codeLenInByte = 18160
; TotalNumSgprs: 48
; NumVgprs: 76
; ScratchSize: 256
; MemoryBound: 0
; FloatMode: 240
; IeeeMode: 1
; LDSByteSize: 504 bytes/workgroup (compile time only)
; SGPRBlocks: 5
; VGPRBlocks: 18
; NumSGPRsForWavesPerEU: 48
; NumVGPRsForWavesPerEU: 76
; Occupancy: 3
; WaveLimiterHint : 1
; COMPUTE_PGM_RSRC2:SCRATCH_EN: 1
; COMPUTE_PGM_RSRC2:USER_SGPR: 6
; COMPUTE_PGM_RSRC2:TRAP_HANDLER: 0
; COMPUTE_PGM_RSRC2:TGID_X_EN: 1
; COMPUTE_PGM_RSRC2:TGID_Y_EN: 0
; COMPUTE_PGM_RSRC2:TGID_Z_EN: 0
; COMPUTE_PGM_RSRC2:TIDIG_COMP_CNT: 0
	.section	.text._ZN9rocsolver6v33100L18trti2_kernel_smallILi32EdPKPdEEv13rocblas_fill_17rocblas_diagonal_T1_iil,"axG",@progbits,_ZN9rocsolver6v33100L18trti2_kernel_smallILi32EdPKPdEEv13rocblas_fill_17rocblas_diagonal_T1_iil,comdat
	.globl	_ZN9rocsolver6v33100L18trti2_kernel_smallILi32EdPKPdEEv13rocblas_fill_17rocblas_diagonal_T1_iil ; -- Begin function _ZN9rocsolver6v33100L18trti2_kernel_smallILi32EdPKPdEEv13rocblas_fill_17rocblas_diagonal_T1_iil
	.p2align	8
	.type	_ZN9rocsolver6v33100L18trti2_kernel_smallILi32EdPKPdEEv13rocblas_fill_17rocblas_diagonal_T1_iil,@function
_ZN9rocsolver6v33100L18trti2_kernel_smallILi32EdPKPdEEv13rocblas_fill_17rocblas_diagonal_T1_iil: ; @_ZN9rocsolver6v33100L18trti2_kernel_smallILi32EdPKPdEEv13rocblas_fill_17rocblas_diagonal_T1_iil
; %bb.0:
	s_add_u32 s0, s0, s7
	s_addc_u32 s1, s1, 0
	v_cmp_gt_u32_e32 vcc, 32, v0
	s_and_saveexec_b64 s[8:9], vcc
	s_cbranch_execz .LBB95_610
; %bb.1:
	s_load_dwordx2 s[12:13], s[4:5], 0x10
	s_load_dwordx4 s[8:11], s[4:5], 0x0
	s_ashr_i32 s7, s6, 31
	s_lshl_b64 s[6:7], s[6:7], 3
	v_lshlrev_b32_e32 v67, 3, v0
	s_waitcnt lgkmcnt(0)
	s_ashr_i32 s5, s12, 31
	s_add_u32 s6, s10, s6
	s_addc_u32 s7, s11, s7
	s_load_dwordx2 s[6:7], s[6:7], 0x0
	s_mov_b32 s4, s12
	s_lshl_b64 s[4:5], s[4:5], 3
	s_waitcnt lgkmcnt(0)
	s_add_u32 s4, s6, s4
	s_addc_u32 s5, s7, s5
	v_mov_b32_e32 v2, s5
	v_add_co_u32_e32 v1, vcc, s4, v67
	v_addc_co_u32_e32 v2, vcc, 0, v2, vcc
	flat_load_dwordx2 v[5:6], v[1:2]
	s_mov_b32 s6, s13
	s_ashr_i32 s7, s13, 31
	s_lshl_b64 s[6:7], s[6:7], 3
	v_mov_b32_e32 v4, s7
	v_add_co_u32_e32 v3, vcc, s6, v1
	v_addc_co_u32_e32 v4, vcc, v2, v4, vcc
	s_add_i32 s6, s13, s13
	v_add_u32_e32 v9, s6, v0
	v_ashrrev_i32_e32 v10, 31, v9
	v_mov_b32_e32 v11, s5
	v_add_u32_e32 v12, s13, v9
	v_ashrrev_i32_e32 v13, 31, v12
	v_mov_b32_e32 v14, s5
	v_mov_b32_e32 v15, s5
	;; [unrolled: 1-line block ×28, first 2 shown]
	s_cmpk_lg_i32 s9, 0x84
	s_cselect_b64 s[10:11], -1, 0
	s_cmpk_eq_i32 s9, 0x84
	s_waitcnt vmcnt(0) lgkmcnt(0)
	buffer_store_dword v6, off, s[0:3], 0 offset:4
	buffer_store_dword v5, off, s[0:3], 0
	flat_load_dwordx2 v[7:8], v[3:4]
	v_lshlrev_b64 v[5:6], 3, v[9:10]
	s_waitcnt vmcnt(0) lgkmcnt(0)
	buffer_store_dword v8, off, s[0:3], 0 offset:12
	buffer_store_dword v7, off, s[0:3], 0 offset:8
	v_add_co_u32_e32 v5, vcc, s4, v5
	v_addc_co_u32_e32 v6, vcc, v11, v6, vcc
	flat_load_dwordx2 v[10:11], v[5:6]
	v_lshlrev_b64 v[7:8], 3, v[12:13]
	s_waitcnt vmcnt(0) lgkmcnt(0)
	buffer_store_dword v11, off, s[0:3], 0 offset:20
	buffer_store_dword v10, off, s[0:3], 0 offset:16
	v_add_co_u32_e32 v7, vcc, s4, v7
	v_addc_co_u32_e32 v8, vcc, v14, v8, vcc
	flat_load_dwordx2 v[13:14], v[7:8]
	v_add_u32_e32 v11, s13, v12
	v_ashrrev_i32_e32 v12, 31, v11
	v_lshlrev_b64 v[9:10], 3, v[11:12]
	s_waitcnt vmcnt(0) lgkmcnt(0)
	buffer_store_dword v14, off, s[0:3], 0 offset:28
	buffer_store_dword v13, off, s[0:3], 0 offset:24
	v_add_co_u32_e32 v9, vcc, s4, v9
	v_addc_co_u32_e32 v10, vcc, v15, v10, vcc
	flat_load_dwordx2 v[13:14], v[9:10]
	v_add_u32_e32 v15, s13, v11
	v_ashrrev_i32_e32 v16, 31, v15
	v_lshlrev_b64 v[11:12], 3, v[15:16]
	v_add_u32_e32 v18, s13, v15
	v_add_co_u32_e32 v11, vcc, s4, v11
	v_addc_co_u32_e32 v12, vcc, v17, v12, vcc
	v_ashrrev_i32_e32 v19, 31, v18
	s_waitcnt vmcnt(0) lgkmcnt(0)
	buffer_store_dword v14, off, s[0:3], 0 offset:36
	buffer_store_dword v13, off, s[0:3], 0 offset:32
	flat_load_dwordx2 v[16:17], v[11:12]
	v_lshlrev_b64 v[13:14], 3, v[18:19]
	s_waitcnt vmcnt(0) lgkmcnt(0)
	buffer_store_dword v17, off, s[0:3], 0 offset:44
	buffer_store_dword v16, off, s[0:3], 0 offset:40
	v_add_co_u32_e32 v13, vcc, s4, v13
	v_addc_co_u32_e32 v14, vcc, v20, v14, vcc
	flat_load_dwordx2 v[19:20], v[13:14]
	v_add_u32_e32 v17, s13, v18
	v_ashrrev_i32_e32 v18, 31, v17
	v_lshlrev_b64 v[15:16], 3, v[17:18]
	s_waitcnt vmcnt(0) lgkmcnt(0)
	buffer_store_dword v20, off, s[0:3], 0 offset:52
	buffer_store_dword v19, off, s[0:3], 0 offset:48
	v_add_co_u32_e32 v15, vcc, s4, v15
	v_addc_co_u32_e32 v16, vcc, v21, v16, vcc
	flat_load_dwordx2 v[19:20], v[15:16]
	v_add_u32_e32 v21, s13, v17
	v_ashrrev_i32_e32 v22, 31, v21
	v_lshlrev_b64 v[17:18], 3, v[21:22]
	v_add_u32_e32 v24, s13, v21
	v_add_co_u32_e32 v17, vcc, s4, v17
	v_addc_co_u32_e32 v18, vcc, v23, v18, vcc
	v_ashrrev_i32_e32 v25, 31, v24
	s_waitcnt vmcnt(0) lgkmcnt(0)
	buffer_store_dword v20, off, s[0:3], 0 offset:60
	buffer_store_dword v19, off, s[0:3], 0 offset:56
	;; [unrolled: 27-line block ×7, first 2 shown]
	flat_load_dwordx2 v[52:53], v[47:48]
	v_lshlrev_b64 v[49:50], 3, v[54:55]
	s_waitcnt vmcnt(0) lgkmcnt(0)
	buffer_store_dword v53, off, s[0:3], 0 offset:188
	buffer_store_dword v52, off, s[0:3], 0 offset:184
	v_add_co_u32_e32 v49, vcc, s4, v49
	v_addc_co_u32_e32 v50, vcc, v56, v50, vcc
	flat_load_dwordx2 v[55:56], v[49:50]
	v_add_u32_e32 v53, s13, v54
	v_ashrrev_i32_e32 v54, 31, v53
	v_lshlrev_b64 v[51:52], 3, v[53:54]
	s_waitcnt vmcnt(0) lgkmcnt(0)
	buffer_store_dword v56, off, s[0:3], 0 offset:196
	buffer_store_dword v55, off, s[0:3], 0 offset:192
	v_add_co_u32_e32 v51, vcc, s4, v51
	v_addc_co_u32_e32 v52, vcc, v57, v52, vcc
	flat_load_dwordx2 v[55:56], v[51:52]
	v_add_u32_e32 v57, s13, v53
	v_ashrrev_i32_e32 v58, 31, v57
	v_lshlrev_b64 v[53:54], 3, v[57:58]
	v_add_u32_e32 v60, s13, v57
	v_add_co_u32_e32 v53, vcc, s4, v53
	v_addc_co_u32_e32 v54, vcc, v59, v54, vcc
	s_waitcnt vmcnt(0) lgkmcnt(0)
	buffer_store_dword v56, off, s[0:3], 0 offset:204
	buffer_store_dword v55, off, s[0:3], 0 offset:200
	flat_load_dwordx2 v[58:59], v[53:54]
	v_ashrrev_i32_e32 v61, 31, v60
	v_lshlrev_b64 v[55:56], 3, v[60:61]
	s_waitcnt vmcnt(0) lgkmcnt(0)
	buffer_store_dword v59, off, s[0:3], 0 offset:212
	buffer_store_dword v58, off, s[0:3], 0 offset:208
	v_add_co_u32_e32 v55, vcc, s4, v55
	v_addc_co_u32_e32 v56, vcc, v62, v56, vcc
	flat_load_dwordx2 v[61:62], v[55:56]
	v_add_u32_e32 v59, s13, v60
	v_ashrrev_i32_e32 v60, 31, v59
	v_lshlrev_b64 v[57:58], 3, v[59:60]
	s_waitcnt vmcnt(0) lgkmcnt(0)
	buffer_store_dword v62, off, s[0:3], 0 offset:220
	buffer_store_dword v61, off, s[0:3], 0 offset:216
	v_add_co_u32_e32 v57, vcc, s4, v57
	v_addc_co_u32_e32 v58, vcc, v63, v58, vcc
	flat_load_dwordx2 v[61:62], v[57:58]
	v_add_u32_e32 v63, s13, v59
	;; [unrolled: 9-line block ×4, first 2 shown]
	v_ashrrev_i32_e32 v64, 31, v63
	v_lshlrev_b64 v[63:64], 3, v[63:64]
	v_mov_b32_e32 v69, s5
	v_add_co_u32_e32 v63, vcc, s4, v63
	v_addc_co_u32_e32 v64, vcc, v69, v64, vcc
	s_waitcnt vmcnt(0) lgkmcnt(0)
	buffer_store_dword v66, off, s[0:3], 0 offset:244
	buffer_store_dword v65, off, s[0:3], 0 offset:240
	flat_load_dwordx2 v[68:69], v[63:64]
	v_mov_b32_e32 v65, 0
	v_mov_b32_e32 v66, 0xbff00000
	s_waitcnt vmcnt(0) lgkmcnt(0)
	buffer_store_dword v69, off, s[0:3], 0 offset:252
	buffer_store_dword v68, off, s[0:3], 0 offset:248
	s_cbranch_scc1 .LBB95_3
; %bb.2:
	v_mov_b32_e32 v65, 0
	v_lshl_add_u32 v76, v0, 3, v65
	buffer_load_dword v65, v76, s[0:3], 0 offen
	buffer_load_dword v66, v76, s[0:3], 0 offen offset:4
	s_waitcnt vmcnt(0)
	v_div_scale_f64 v[68:69], s[4:5], v[65:66], v[65:66], 1.0
	v_rcp_f64_e32 v[70:71], v[68:69]
	v_fma_f64 v[72:73], -v[68:69], v[70:71], 1.0
	v_fma_f64 v[70:71], v[70:71], v[72:73], v[70:71]
	v_div_scale_f64 v[72:73], vcc, 1.0, v[65:66], 1.0
	v_fma_f64 v[74:75], -v[68:69], v[70:71], 1.0
	v_fma_f64 v[70:71], v[70:71], v[74:75], v[70:71]
	v_mul_f64 v[74:75], v[72:73], v[70:71]
	v_fma_f64 v[68:69], -v[68:69], v[74:75], v[72:73]
	v_div_fmas_f64 v[68:69], v[68:69], v[70:71], v[74:75]
	v_div_fixup_f64 v[65:66], v[68:69], v[65:66], 1.0
	buffer_store_dword v65, v76, s[0:3], 0 offen
	buffer_store_dword v66, v76, s[0:3], 0 offen offset:4
	v_xor_b32_e32 v66, 0x80000000, v66
.LBB95_3:
	s_cmpk_eq_i32 s8, 0x79
	v_add_u32_e32 v68, 0x100, v67
	v_mov_b32_e32 v69, v67
	s_mov_b64 s[4:5], -1
	ds_write_b64 v67, v[65:66]
	s_cbranch_scc1 .LBB95_307
; %bb.4:
	buffer_load_dword v65, off, s[0:3], 0 offset:240
	buffer_load_dword v66, off, s[0:3], 0 offset:244
	s_movk_i32 s12, 0x48
	s_movk_i32 s13, 0x50
	;; [unrolled: 1-line block ×21, first 2 shown]
	v_cmp_eq_u32_e64 s[4:5], 31, v0
	s_waitcnt vmcnt(0)
	ds_write_b64 v68, v[65:66]
	s_waitcnt lgkmcnt(0)
	; wave barrier
	s_and_saveexec_b64 s[6:7], s[4:5]
	s_cbranch_execz .LBB95_10
; %bb.5:
	s_and_b64 vcc, exec, s[10:11]
	s_cbranch_vccz .LBB95_7
; %bb.6:
	buffer_load_dword v65, v69, s[0:3], 0 offen
	buffer_load_dword v66, v69, s[0:3], 0 offen offset:4
	ds_read_b64 v[70:71], v68
	s_waitcnt vmcnt(0) lgkmcnt(0)
	v_mul_f64 v[65:66], v[65:66], v[70:71]
	s_cbranch_execz .LBB95_8
	s_branch .LBB95_9
.LBB95_7:
                                        ; implicit-def: $vgpr65_vgpr66
.LBB95_8:
	ds_read_b64 v[65:66], v68
.LBB95_9:
	v_mov_b32_e32 v70, 0
	ds_read_b64 v[70:71], v70 offset:240
	s_waitcnt lgkmcnt(0)
	v_mul_f64 v[65:66], v[65:66], v[70:71]
	buffer_store_dword v66, off, s[0:3], 0 offset:244
	buffer_store_dword v65, off, s[0:3], 0 offset:240
.LBB95_10:
	s_or_b64 exec, exec, s[6:7]
	buffer_load_dword v65, off, s[0:3], 0 offset:232
	buffer_load_dword v66, off, s[0:3], 0 offset:236
	s_or_b32 s14, 0, 8
	s_mov_b32 s15, 16
	s_mov_b32 s16, 24
	;; [unrolled: 1-line block ×9, first 2 shown]
	v_cmp_lt_u32_e64 s[6:7], 29, v0
	s_waitcnt vmcnt(0)
	ds_write_b64 v68, v[65:66]
	s_waitcnt lgkmcnt(0)
	; wave barrier
	s_and_saveexec_b64 s[8:9], s[6:7]
	s_cbranch_execz .LBB95_16
; %bb.11:
	s_andn2_b64 vcc, exec, s[10:11]
	s_cbranch_vccnz .LBB95_13
; %bb.12:
	buffer_load_dword v65, v69, s[0:3], 0 offen
	buffer_load_dword v66, v69, s[0:3], 0 offen offset:4
	ds_read_b64 v[70:71], v68
	s_waitcnt vmcnt(0) lgkmcnt(0)
	v_mul_f64 v[65:66], v[65:66], v[70:71]
	s_cbranch_execz .LBB95_14
	s_branch .LBB95_15
.LBB95_13:
                                        ; implicit-def: $vgpr65_vgpr66
.LBB95_14:
	ds_read_b64 v[65:66], v68
.LBB95_15:
	buffer_load_dword v74, off, s[0:3], 0 offset:240
	buffer_load_dword v75, off, s[0:3], 0 offset:244
	v_mov_b32_e32 v70, 0
	ds_read2_b64 v[70:73], v70 offset0:29 offset1:62
	s_waitcnt vmcnt(0) lgkmcnt(0)
	v_fma_f64 v[72:73], v[74:75], v[72:73], v[65:66]
	v_cndmask_b32_e64 v66, v66, v73, s[4:5]
	v_cndmask_b32_e64 v65, v65, v72, s[4:5]
	v_mul_f64 v[65:66], v[65:66], v[70:71]
	buffer_store_dword v66, off, s[0:3], 0 offset:236
	buffer_store_dword v65, off, s[0:3], 0 offset:232
.LBB95_16:
	s_or_b64 exec, exec, s[8:9]
	buffer_load_dword v65, off, s[0:3], 0 offset:224
	buffer_load_dword v66, off, s[0:3], 0 offset:228
	v_cmp_lt_u32_e64 s[4:5], 28, v0
	s_waitcnt vmcnt(0)
	ds_write_b64 v68, v[65:66]
	s_waitcnt lgkmcnt(0)
	; wave barrier
	s_and_saveexec_b64 s[8:9], s[4:5]
	s_cbranch_execz .LBB95_26
; %bb.17:
	s_andn2_b64 vcc, exec, s[10:11]
	s_cbranch_vccnz .LBB95_19
; %bb.18:
	buffer_load_dword v65, v69, s[0:3], 0 offen
	buffer_load_dword v66, v69, s[0:3], 0 offen offset:4
	ds_read_b64 v[70:71], v68
	s_waitcnt vmcnt(0) lgkmcnt(0)
	v_mul_f64 v[65:66], v[65:66], v[70:71]
	s_cbranch_execz .LBB95_20
	s_branch .LBB95_21
.LBB95_19:
                                        ; implicit-def: $vgpr65_vgpr66
.LBB95_20:
	ds_read_b64 v[65:66], v68
.LBB95_21:
	s_and_saveexec_b64 s[12:13], s[6:7]
	s_cbranch_execz .LBB95_25
; %bb.22:
	v_subrev_u32_e32 v70, 29, v0
	s_movk_i32 s44, 0x1e8
	s_mov_b64 s[6:7], 0
.LBB95_23:                              ; =>This Inner Loop Header: Depth=1
	v_mov_b32_e32 v73, s43
	buffer_load_dword v71, v73, s[0:3], 0 offen
	buffer_load_dword v72, v73, s[0:3], 0 offen offset:4
	v_mov_b32_e32 v73, s44
	ds_read_b64 v[73:74], v73
	v_add_u32_e32 v70, -1, v70
	s_add_i32 s44, s44, 8
	s_add_i32 s43, s43, 8
	v_cmp_eq_u32_e32 vcc, 0, v70
	s_or_b64 s[6:7], vcc, s[6:7]
	s_waitcnt vmcnt(0) lgkmcnt(0)
	v_fma_f64 v[65:66], v[71:72], v[73:74], v[65:66]
	s_andn2_b64 exec, exec, s[6:7]
	s_cbranch_execnz .LBB95_23
; %bb.24:
	s_or_b64 exec, exec, s[6:7]
.LBB95_25:
	s_or_b64 exec, exec, s[12:13]
	v_mov_b32_e32 v70, 0
	ds_read_b64 v[70:71], v70 offset:224
	s_waitcnt lgkmcnt(0)
	v_mul_f64 v[65:66], v[65:66], v[70:71]
	buffer_store_dword v66, off, s[0:3], 0 offset:228
	buffer_store_dword v65, off, s[0:3], 0 offset:224
.LBB95_26:
	s_or_b64 exec, exec, s[8:9]
	buffer_load_dword v65, off, s[0:3], 0 offset:216
	buffer_load_dword v66, off, s[0:3], 0 offset:220
	v_cmp_lt_u32_e64 s[6:7], 27, v0
	s_waitcnt vmcnt(0)
	ds_write_b64 v68, v[65:66]
	s_waitcnt lgkmcnt(0)
	; wave barrier
	s_and_saveexec_b64 s[8:9], s[6:7]
	s_cbranch_execz .LBB95_36
; %bb.27:
	s_andn2_b64 vcc, exec, s[10:11]
	s_cbranch_vccnz .LBB95_29
; %bb.28:
	buffer_load_dword v65, v69, s[0:3], 0 offen
	buffer_load_dword v66, v69, s[0:3], 0 offen offset:4
	ds_read_b64 v[70:71], v68
	s_waitcnt vmcnt(0) lgkmcnt(0)
	v_mul_f64 v[65:66], v[65:66], v[70:71]
	s_cbranch_execz .LBB95_30
	s_branch .LBB95_31
.LBB95_29:
                                        ; implicit-def: $vgpr65_vgpr66
.LBB95_30:
	ds_read_b64 v[65:66], v68
.LBB95_31:
	s_and_saveexec_b64 s[12:13], s[4:5]
	s_cbranch_execz .LBB95_35
; %bb.32:
	v_subrev_u32_e32 v70, 28, v0
	s_movk_i32 s43, 0x1e0
	s_mov_b64 s[4:5], 0
.LBB95_33:                              ; =>This Inner Loop Header: Depth=1
	v_mov_b32_e32 v73, s42
	buffer_load_dword v71, v73, s[0:3], 0 offen
	buffer_load_dword v72, v73, s[0:3], 0 offen offset:4
	v_mov_b32_e32 v73, s43
	ds_read_b64 v[73:74], v73
	v_add_u32_e32 v70, -1, v70
	s_add_i32 s43, s43, 8
	s_add_i32 s42, s42, 8
	v_cmp_eq_u32_e32 vcc, 0, v70
	s_or_b64 s[4:5], vcc, s[4:5]
	s_waitcnt vmcnt(0) lgkmcnt(0)
	v_fma_f64 v[65:66], v[71:72], v[73:74], v[65:66]
	s_andn2_b64 exec, exec, s[4:5]
	s_cbranch_execnz .LBB95_33
; %bb.34:
	s_or_b64 exec, exec, s[4:5]
.LBB95_35:
	s_or_b64 exec, exec, s[12:13]
	v_mov_b32_e32 v70, 0
	ds_read_b64 v[70:71], v70 offset:216
	s_waitcnt lgkmcnt(0)
	v_mul_f64 v[65:66], v[65:66], v[70:71]
	buffer_store_dword v66, off, s[0:3], 0 offset:220
	buffer_store_dword v65, off, s[0:3], 0 offset:216
.LBB95_36:
	;; [unrolled: 58-line block ×8, first 2 shown]
	s_or_b64 exec, exec, s[8:9]
	buffer_load_dword v65, off, s[0:3], 0 offset:160
	buffer_load_dword v66, off, s[0:3], 0 offset:164
	v_cmp_lt_u32_e64 s[4:5], 20, v0
	s_waitcnt vmcnt(0)
	ds_write_b64 v68, v[65:66]
	s_waitcnt lgkmcnt(0)
	; wave barrier
	s_and_saveexec_b64 s[8:9], s[4:5]
	s_cbranch_execz .LBB95_106
; %bb.97:
	s_andn2_b64 vcc, exec, s[10:11]
	s_cbranch_vccnz .LBB95_99
; %bb.98:
	buffer_load_dword v65, v69, s[0:3], 0 offen
	buffer_load_dword v66, v69, s[0:3], 0 offen offset:4
	ds_read_b64 v[70:71], v68
	s_waitcnt vmcnt(0) lgkmcnt(0)
	v_mul_f64 v[65:66], v[65:66], v[70:71]
	s_cbranch_execz .LBB95_100
	s_branch .LBB95_101
.LBB95_99:
                                        ; implicit-def: $vgpr65_vgpr66
.LBB95_100:
	ds_read_b64 v[65:66], v68
.LBB95_101:
	s_and_saveexec_b64 s[12:13], s[6:7]
	s_cbranch_execz .LBB95_105
; %bb.102:
	v_subrev_u32_e32 v70, 21, v0
	s_movk_i32 s36, 0x1a8
	s_mov_b64 s[6:7], 0
.LBB95_103:                             ; =>This Inner Loop Header: Depth=1
	v_mov_b32_e32 v73, s35
	buffer_load_dword v71, v73, s[0:3], 0 offen
	buffer_load_dword v72, v73, s[0:3], 0 offen offset:4
	v_mov_b32_e32 v73, s36
	ds_read_b64 v[73:74], v73
	v_add_u32_e32 v70, -1, v70
	s_add_i32 s36, s36, 8
	s_add_i32 s35, s35, 8
	v_cmp_eq_u32_e32 vcc, 0, v70
	s_or_b64 s[6:7], vcc, s[6:7]
	s_waitcnt vmcnt(0) lgkmcnt(0)
	v_fma_f64 v[65:66], v[71:72], v[73:74], v[65:66]
	s_andn2_b64 exec, exec, s[6:7]
	s_cbranch_execnz .LBB95_103
; %bb.104:
	s_or_b64 exec, exec, s[6:7]
.LBB95_105:
	s_or_b64 exec, exec, s[12:13]
	v_mov_b32_e32 v70, 0
	ds_read_b64 v[70:71], v70 offset:160
	s_waitcnt lgkmcnt(0)
	v_mul_f64 v[65:66], v[65:66], v[70:71]
	buffer_store_dword v66, off, s[0:3], 0 offset:164
	buffer_store_dword v65, off, s[0:3], 0 offset:160
.LBB95_106:
	s_or_b64 exec, exec, s[8:9]
	buffer_load_dword v65, off, s[0:3], 0 offset:152
	buffer_load_dword v66, off, s[0:3], 0 offset:156
	v_cmp_lt_u32_e64 s[6:7], 19, v0
	s_waitcnt vmcnt(0)
	ds_write_b64 v68, v[65:66]
	s_waitcnt lgkmcnt(0)
	; wave barrier
	s_and_saveexec_b64 s[8:9], s[6:7]
	s_cbranch_execz .LBB95_116
; %bb.107:
	s_andn2_b64 vcc, exec, s[10:11]
	s_cbranch_vccnz .LBB95_109
; %bb.108:
	buffer_load_dword v65, v69, s[0:3], 0 offen
	buffer_load_dword v66, v69, s[0:3], 0 offen offset:4
	ds_read_b64 v[70:71], v68
	s_waitcnt vmcnt(0) lgkmcnt(0)
	v_mul_f64 v[65:66], v[65:66], v[70:71]
	s_cbranch_execz .LBB95_110
	s_branch .LBB95_111
.LBB95_109:
                                        ; implicit-def: $vgpr65_vgpr66
.LBB95_110:
	ds_read_b64 v[65:66], v68
.LBB95_111:
	s_and_saveexec_b64 s[12:13], s[4:5]
	s_cbranch_execz .LBB95_115
; %bb.112:
	v_subrev_u32_e32 v70, 20, v0
	s_movk_i32 s35, 0x1a0
	s_mov_b64 s[4:5], 0
.LBB95_113:                             ; =>This Inner Loop Header: Depth=1
	v_mov_b32_e32 v73, s34
	buffer_load_dword v71, v73, s[0:3], 0 offen
	buffer_load_dword v72, v73, s[0:3], 0 offen offset:4
	v_mov_b32_e32 v73, s35
	ds_read_b64 v[73:74], v73
	v_add_u32_e32 v70, -1, v70
	s_add_i32 s35, s35, 8
	s_add_i32 s34, s34, 8
	v_cmp_eq_u32_e32 vcc, 0, v70
	s_or_b64 s[4:5], vcc, s[4:5]
	s_waitcnt vmcnt(0) lgkmcnt(0)
	v_fma_f64 v[65:66], v[71:72], v[73:74], v[65:66]
	s_andn2_b64 exec, exec, s[4:5]
	s_cbranch_execnz .LBB95_113
; %bb.114:
	s_or_b64 exec, exec, s[4:5]
.LBB95_115:
	s_or_b64 exec, exec, s[12:13]
	v_mov_b32_e32 v70, 0
	ds_read_b64 v[70:71], v70 offset:152
	s_waitcnt lgkmcnt(0)
	v_mul_f64 v[65:66], v[65:66], v[70:71]
	buffer_store_dword v66, off, s[0:3], 0 offset:156
	buffer_store_dword v65, off, s[0:3], 0 offset:152
.LBB95_116:
	;; [unrolled: 58-line block ×5, first 2 shown]
	s_or_b64 exec, exec, s[8:9]
	buffer_load_dword v65, off, s[0:3], 0 offset:120
	buffer_load_dword v66, off, s[0:3], 0 offset:124
	v_cmp_lt_u32_e64 s[6:7], 15, v0
	s_waitcnt vmcnt(0)
	ds_write_b64 v68, v[65:66]
	s_waitcnt lgkmcnt(0)
	; wave barrier
	s_and_saveexec_b64 s[8:9], s[6:7]
	s_cbranch_execz .LBB95_156
; %bb.147:
	s_andn2_b64 vcc, exec, s[10:11]
	s_cbranch_vccnz .LBB95_149
; %bb.148:
	buffer_load_dword v65, v69, s[0:3], 0 offen
	buffer_load_dword v66, v69, s[0:3], 0 offen offset:4
	ds_read_b64 v[70:71], v68
	s_waitcnt vmcnt(0) lgkmcnt(0)
	v_mul_f64 v[65:66], v[65:66], v[70:71]
	s_cbranch_execz .LBB95_150
	s_branch .LBB95_151
.LBB95_149:
                                        ; implicit-def: $vgpr65_vgpr66
.LBB95_150:
	ds_read_b64 v[65:66], v68
.LBB95_151:
	s_and_saveexec_b64 s[12:13], s[4:5]
	s_cbranch_execz .LBB95_155
; %bb.152:
	v_add_u32_e32 v70, -16, v0
	s_movk_i32 s30, 0x180
	s_mov_b64 s[4:5], 0
.LBB95_153:                             ; =>This Inner Loop Header: Depth=1
	v_mov_b32_e32 v73, s29
	buffer_load_dword v71, v73, s[0:3], 0 offen
	buffer_load_dword v72, v73, s[0:3], 0 offen offset:4
	v_mov_b32_e32 v73, s30
	ds_read_b64 v[73:74], v73
	v_add_u32_e32 v70, -1, v70
	s_add_i32 s30, s30, 8
	s_add_i32 s29, s29, 8
	v_cmp_eq_u32_e32 vcc, 0, v70
	s_or_b64 s[4:5], vcc, s[4:5]
	s_waitcnt vmcnt(0) lgkmcnt(0)
	v_fma_f64 v[65:66], v[71:72], v[73:74], v[65:66]
	s_andn2_b64 exec, exec, s[4:5]
	s_cbranch_execnz .LBB95_153
; %bb.154:
	s_or_b64 exec, exec, s[4:5]
.LBB95_155:
	s_or_b64 exec, exec, s[12:13]
	v_mov_b32_e32 v70, 0
	ds_read_b64 v[70:71], v70 offset:120
	s_waitcnt lgkmcnt(0)
	v_mul_f64 v[65:66], v[65:66], v[70:71]
	buffer_store_dword v66, off, s[0:3], 0 offset:124
	buffer_store_dword v65, off, s[0:3], 0 offset:120
.LBB95_156:
	s_or_b64 exec, exec, s[8:9]
	buffer_load_dword v65, off, s[0:3], 0 offset:112
	buffer_load_dword v66, off, s[0:3], 0 offset:116
	v_cmp_lt_u32_e64 s[4:5], 14, v0
	s_waitcnt vmcnt(0)
	ds_write_b64 v68, v[65:66]
	s_waitcnt lgkmcnt(0)
	; wave barrier
	s_and_saveexec_b64 s[8:9], s[4:5]
	s_cbranch_execz .LBB95_166
; %bb.157:
	s_andn2_b64 vcc, exec, s[10:11]
	s_cbranch_vccnz .LBB95_159
; %bb.158:
	buffer_load_dword v65, v69, s[0:3], 0 offen
	buffer_load_dword v66, v69, s[0:3], 0 offen offset:4
	ds_read_b64 v[70:71], v68
	s_waitcnt vmcnt(0) lgkmcnt(0)
	v_mul_f64 v[65:66], v[65:66], v[70:71]
	s_cbranch_execz .LBB95_160
	s_branch .LBB95_161
.LBB95_159:
                                        ; implicit-def: $vgpr65_vgpr66
.LBB95_160:
	ds_read_b64 v[65:66], v68
.LBB95_161:
	s_and_saveexec_b64 s[12:13], s[6:7]
	s_cbranch_execz .LBB95_165
; %bb.162:
	v_add_u32_e32 v70, -15, v0
	s_movk_i32 s29, 0x178
	s_mov_b64 s[6:7], 0
.LBB95_163:                             ; =>This Inner Loop Header: Depth=1
	v_mov_b32_e32 v73, s28
	buffer_load_dword v71, v73, s[0:3], 0 offen
	buffer_load_dword v72, v73, s[0:3], 0 offen offset:4
	v_mov_b32_e32 v73, s29
	ds_read_b64 v[73:74], v73
	v_add_u32_e32 v70, -1, v70
	s_add_i32 s29, s29, 8
	s_add_i32 s28, s28, 8
	v_cmp_eq_u32_e32 vcc, 0, v70
	s_or_b64 s[6:7], vcc, s[6:7]
	s_waitcnt vmcnt(0) lgkmcnt(0)
	v_fma_f64 v[65:66], v[71:72], v[73:74], v[65:66]
	s_andn2_b64 exec, exec, s[6:7]
	s_cbranch_execnz .LBB95_163
; %bb.164:
	s_or_b64 exec, exec, s[6:7]
.LBB95_165:
	s_or_b64 exec, exec, s[12:13]
	v_mov_b32_e32 v70, 0
	ds_read_b64 v[70:71], v70 offset:112
	s_waitcnt lgkmcnt(0)
	v_mul_f64 v[65:66], v[65:66], v[70:71]
	buffer_store_dword v66, off, s[0:3], 0 offset:116
	buffer_store_dword v65, off, s[0:3], 0 offset:112
.LBB95_166:
	;; [unrolled: 58-line block ×15, first 2 shown]
	s_or_b64 exec, exec, s[8:9]
	buffer_load_dword v65, off, s[0:3], 0
	buffer_load_dword v66, off, s[0:3], 0 offset:4
	v_cmp_ne_u32_e32 vcc, 0, v0
	s_waitcnt vmcnt(0)
	ds_write_b64 v68, v[65:66]
	s_waitcnt lgkmcnt(0)
	; wave barrier
	s_and_saveexec_b64 s[4:5], vcc
	s_cbranch_execz .LBB95_306
; %bb.297:
	s_andn2_b64 vcc, exec, s[10:11]
	s_cbranch_vccnz .LBB95_299
; %bb.298:
	buffer_load_dword v65, v69, s[0:3], 0 offen
	buffer_load_dword v66, v69, s[0:3], 0 offen offset:4
	ds_read_b64 v[70:71], v68
	s_waitcnt vmcnt(0) lgkmcnt(0)
	v_mul_f64 v[65:66], v[65:66], v[70:71]
	s_cbranch_execz .LBB95_300
	s_branch .LBB95_301
.LBB95_299:
                                        ; implicit-def: $vgpr65_vgpr66
.LBB95_300:
	ds_read_b64 v[65:66], v68
.LBB95_301:
	s_and_saveexec_b64 s[8:9], s[6:7]
	s_cbranch_execz .LBB95_305
; %bb.302:
	v_add_u32_e32 v70, -1, v0
	s_movk_i32 s12, 0x108
	s_mov_b64 s[6:7], 0
.LBB95_303:                             ; =>This Inner Loop Header: Depth=1
	v_mov_b32_e32 v73, s14
	buffer_load_dword v71, v73, s[0:3], 0 offen
	buffer_load_dword v72, v73, s[0:3], 0 offen offset:4
	v_mov_b32_e32 v73, s12
	ds_read_b64 v[73:74], v73
	v_add_u32_e32 v70, -1, v70
	s_add_i32 s12, s12, 8
	s_add_i32 s14, s14, 8
	v_cmp_eq_u32_e32 vcc, 0, v70
	s_or_b64 s[6:7], vcc, s[6:7]
	s_waitcnt vmcnt(0) lgkmcnt(0)
	v_fma_f64 v[65:66], v[71:72], v[73:74], v[65:66]
	s_andn2_b64 exec, exec, s[6:7]
	s_cbranch_execnz .LBB95_303
; %bb.304:
	s_or_b64 exec, exec, s[6:7]
.LBB95_305:
	s_or_b64 exec, exec, s[8:9]
	v_mov_b32_e32 v70, 0
	ds_read_b64 v[70:71], v70
	s_waitcnt lgkmcnt(0)
	v_mul_f64 v[65:66], v[65:66], v[70:71]
	buffer_store_dword v66, off, s[0:3], 0 offset:4
	buffer_store_dword v65, off, s[0:3], 0
.LBB95_306:
	s_or_b64 exec, exec, s[4:5]
	s_mov_b64 s[4:5], 0
.LBB95_307:
	s_and_b64 vcc, exec, s[4:5]
	s_cbranch_vccz .LBB95_609
; %bb.308:
	buffer_load_dword v65, off, s[0:3], 0 offset:8
	buffer_load_dword v66, off, s[0:3], 0 offset:12
	v_cmp_eq_u32_e64 s[6:7], 0, v0
	s_waitcnt vmcnt(0)
	ds_write_b64 v68, v[65:66]
	s_waitcnt lgkmcnt(0)
	; wave barrier
	s_and_saveexec_b64 s[4:5], s[6:7]
	s_cbranch_execz .LBB95_314
; %bb.309:
	s_and_b64 vcc, exec, s[10:11]
	s_cbranch_vccz .LBB95_311
; %bb.310:
	buffer_load_dword v65, v69, s[0:3], 0 offen
	buffer_load_dword v66, v69, s[0:3], 0 offen offset:4
	ds_read_b64 v[70:71], v68
	s_waitcnt vmcnt(0) lgkmcnt(0)
	v_mul_f64 v[65:66], v[65:66], v[70:71]
	s_cbranch_execz .LBB95_312
	s_branch .LBB95_313
.LBB95_311:
                                        ; implicit-def: $vgpr65_vgpr66
.LBB95_312:
	ds_read_b64 v[65:66], v68
.LBB95_313:
	v_mov_b32_e32 v70, 0
	ds_read_b64 v[70:71], v70 offset:8
	s_waitcnt lgkmcnt(0)
	v_mul_f64 v[65:66], v[65:66], v[70:71]
	buffer_store_dword v66, off, s[0:3], 0 offset:12
	buffer_store_dword v65, off, s[0:3], 0 offset:8
.LBB95_314:
	s_or_b64 exec, exec, s[4:5]
	buffer_load_dword v65, off, s[0:3], 0 offset:16
	buffer_load_dword v66, off, s[0:3], 0 offset:20
	v_cndmask_b32_e64 v70, 0, 1, s[10:11]
	v_cmp_gt_u32_e32 vcc, 2, v0
	v_cmp_ne_u32_e64 s[4:5], 1, v70
	s_waitcnt vmcnt(0)
	ds_write_b64 v68, v[65:66]
	s_waitcnt lgkmcnt(0)
	; wave barrier
	s_and_saveexec_b64 s[8:9], vcc
	s_cbranch_execz .LBB95_320
; %bb.315:
	s_and_b64 vcc, exec, s[4:5]
	s_cbranch_vccnz .LBB95_317
; %bb.316:
	buffer_load_dword v65, v69, s[0:3], 0 offen
	buffer_load_dword v66, v69, s[0:3], 0 offen offset:4
	ds_read_b64 v[70:71], v68
	s_waitcnt vmcnt(0) lgkmcnt(0)
	v_mul_f64 v[65:66], v[65:66], v[70:71]
	s_cbranch_execz .LBB95_318
	s_branch .LBB95_319
.LBB95_317:
                                        ; implicit-def: $vgpr65_vgpr66
.LBB95_318:
	ds_read_b64 v[65:66], v68
.LBB95_319:
	buffer_load_dword v74, off, s[0:3], 0 offset:8
	buffer_load_dword v75, off, s[0:3], 0 offset:12
	v_mov_b32_e32 v70, 0
	ds_read2_b64 v[70:73], v70 offset0:2 offset1:33
	s_waitcnt vmcnt(0) lgkmcnt(0)
	v_fma_f64 v[72:73], v[74:75], v[72:73], v[65:66]
	v_cndmask_b32_e64 v66, v66, v73, s[6:7]
	v_cndmask_b32_e64 v65, v65, v72, s[6:7]
	v_mul_f64 v[65:66], v[65:66], v[70:71]
	buffer_store_dword v66, off, s[0:3], 0 offset:20
	buffer_store_dword v65, off, s[0:3], 0 offset:16
.LBB95_320:
	s_or_b64 exec, exec, s[8:9]
	buffer_load_dword v65, off, s[0:3], 0 offset:24
	buffer_load_dword v66, off, s[0:3], 0 offset:28
	v_cmp_gt_u32_e32 vcc, 3, v0
	s_waitcnt vmcnt(0)
	ds_write_b64 v68, v[65:66]
	s_waitcnt lgkmcnt(0)
	; wave barrier
	s_and_saveexec_b64 s[8:9], vcc
	s_cbranch_execz .LBB95_328
; %bb.321:
	s_and_b64 vcc, exec, s[4:5]
	s_cbranch_vccnz .LBB95_323
; %bb.322:
	buffer_load_dword v65, v69, s[0:3], 0 offen
	buffer_load_dword v66, v69, s[0:3], 0 offen offset:4
	ds_read_b64 v[70:71], v68
	s_waitcnt vmcnt(0) lgkmcnt(0)
	v_mul_f64 v[65:66], v[65:66], v[70:71]
	s_cbranch_execz .LBB95_324
	s_branch .LBB95_325
.LBB95_323:
                                        ; implicit-def: $vgpr65_vgpr66
.LBB95_324:
	ds_read_b64 v[65:66], v68
.LBB95_325:
	v_cmp_ne_u32_e32 vcc, 2, v0
	s_and_saveexec_b64 s[10:11], vcc
	s_cbranch_execz .LBB95_327
; %bb.326:
	buffer_load_dword v70, v69, s[0:3], 0 offen offset:8
	buffer_load_dword v71, v69, s[0:3], 0 offen offset:12
	buffer_load_dword v72, off, s[0:3], 0 offset:16
	buffer_load_dword v73, off, s[0:3], 0 offset:20
	ds_read_b64 v[74:75], v68 offset:8
	v_mov_b32_e32 v76, 0
	ds_read_b64 v[76:77], v76 offset:272
	s_waitcnt vmcnt(2) lgkmcnt(1)
	v_fma_f64 v[65:66], v[70:71], v[74:75], v[65:66]
	s_waitcnt vmcnt(0) lgkmcnt(0)
	v_fma_f64 v[70:71], v[72:73], v[76:77], v[65:66]
	v_cndmask_b32_e64 v66, v66, v71, s[6:7]
	v_cndmask_b32_e64 v65, v65, v70, s[6:7]
.LBB95_327:
	s_or_b64 exec, exec, s[10:11]
	v_mov_b32_e32 v70, 0
	ds_read_b64 v[70:71], v70 offset:24
	s_waitcnt lgkmcnt(0)
	v_mul_f64 v[65:66], v[65:66], v[70:71]
	buffer_store_dword v66, off, s[0:3], 0 offset:28
	buffer_store_dword v65, off, s[0:3], 0 offset:24
.LBB95_328:
	s_or_b64 exec, exec, s[8:9]
	buffer_load_dword v65, off, s[0:3], 0 offset:32
	buffer_load_dword v66, off, s[0:3], 0 offset:36
	v_cmp_gt_u32_e32 vcc, 4, v0
	s_waitcnt vmcnt(0)
	ds_write_b64 v68, v[65:66]
	s_waitcnt lgkmcnt(0)
	; wave barrier
	s_and_saveexec_b64 s[6:7], vcc
	s_cbranch_execz .LBB95_338
; %bb.329:
	s_and_b64 vcc, exec, s[4:5]
	s_cbranch_vccnz .LBB95_331
; %bb.330:
	buffer_load_dword v65, v69, s[0:3], 0 offen
	buffer_load_dword v66, v69, s[0:3], 0 offen offset:4
	ds_read_b64 v[70:71], v68
	s_waitcnt vmcnt(0) lgkmcnt(0)
	v_mul_f64 v[65:66], v[65:66], v[70:71]
	s_cbranch_execz .LBB95_332
	s_branch .LBB95_333
.LBB95_331:
                                        ; implicit-def: $vgpr65_vgpr66
.LBB95_332:
	ds_read_b64 v[65:66], v68
.LBB95_333:
	v_cmp_ne_u32_e32 vcc, 3, v0
	s_and_saveexec_b64 s[8:9], vcc
	s_cbranch_execz .LBB95_337
; %bb.334:
	s_mov_b32 s10, 0
	v_add_u32_e32 v70, 0x108, v67
	v_add3_u32 v71, v67, s10, 8
	s_mov_b64 s[10:11], 0
	v_mov_b32_e32 v72, v0
.LBB95_335:                             ; =>This Inner Loop Header: Depth=1
	buffer_load_dword v73, v71, s[0:3], 0 offen
	buffer_load_dword v74, v71, s[0:3], 0 offen offset:4
	ds_read_b64 v[75:76], v70
	v_add_u32_e32 v72, 1, v72
	v_cmp_lt_u32_e32 vcc, 2, v72
	v_add_u32_e32 v70, 8, v70
	s_or_b64 s[10:11], vcc, s[10:11]
	v_add_u32_e32 v71, 8, v71
	s_waitcnt vmcnt(0) lgkmcnt(0)
	v_fma_f64 v[65:66], v[73:74], v[75:76], v[65:66]
	s_andn2_b64 exec, exec, s[10:11]
	s_cbranch_execnz .LBB95_335
; %bb.336:
	s_or_b64 exec, exec, s[10:11]
.LBB95_337:
	s_or_b64 exec, exec, s[8:9]
	v_mov_b32_e32 v70, 0
	ds_read_b64 v[70:71], v70 offset:32
	s_waitcnt lgkmcnt(0)
	v_mul_f64 v[65:66], v[65:66], v[70:71]
	buffer_store_dword v66, off, s[0:3], 0 offset:36
	buffer_store_dword v65, off, s[0:3], 0 offset:32
.LBB95_338:
	s_or_b64 exec, exec, s[6:7]
	buffer_load_dword v65, off, s[0:3], 0 offset:40
	buffer_load_dword v66, off, s[0:3], 0 offset:44
	v_cmp_gt_u32_e32 vcc, 5, v0
	s_waitcnt vmcnt(0)
	ds_write_b64 v68, v[65:66]
	s_waitcnt lgkmcnt(0)
	; wave barrier
	s_and_saveexec_b64 s[6:7], vcc
	s_cbranch_execz .LBB95_348
; %bb.339:
	s_and_b64 vcc, exec, s[4:5]
	s_cbranch_vccnz .LBB95_341
; %bb.340:
	buffer_load_dword v65, v69, s[0:3], 0 offen
	buffer_load_dword v66, v69, s[0:3], 0 offen offset:4
	ds_read_b64 v[70:71], v68
	s_waitcnt vmcnt(0) lgkmcnt(0)
	v_mul_f64 v[65:66], v[65:66], v[70:71]
	s_cbranch_execz .LBB95_342
	s_branch .LBB95_343
.LBB95_341:
                                        ; implicit-def: $vgpr65_vgpr66
.LBB95_342:
	ds_read_b64 v[65:66], v68
.LBB95_343:
	v_cmp_ne_u32_e32 vcc, 4, v0
	s_and_saveexec_b64 s[8:9], vcc
	s_cbranch_execz .LBB95_347
; %bb.344:
	s_mov_b32 s10, 0
	v_add_u32_e32 v70, 0x108, v67
	v_add3_u32 v71, v67, s10, 8
	s_mov_b64 s[10:11], 0
	v_mov_b32_e32 v72, v0
.LBB95_345:                             ; =>This Inner Loop Header: Depth=1
	buffer_load_dword v73, v71, s[0:3], 0 offen
	buffer_load_dword v74, v71, s[0:3], 0 offen offset:4
	ds_read_b64 v[75:76], v70
	v_add_u32_e32 v72, 1, v72
	v_cmp_lt_u32_e32 vcc, 3, v72
	v_add_u32_e32 v70, 8, v70
	s_or_b64 s[10:11], vcc, s[10:11]
	v_add_u32_e32 v71, 8, v71
	s_waitcnt vmcnt(0) lgkmcnt(0)
	v_fma_f64 v[65:66], v[73:74], v[75:76], v[65:66]
	s_andn2_b64 exec, exec, s[10:11]
	s_cbranch_execnz .LBB95_345
; %bb.346:
	s_or_b64 exec, exec, s[10:11]
.LBB95_347:
	s_or_b64 exec, exec, s[8:9]
	v_mov_b32_e32 v70, 0
	ds_read_b64 v[70:71], v70 offset:40
	s_waitcnt lgkmcnt(0)
	v_mul_f64 v[65:66], v[65:66], v[70:71]
	buffer_store_dword v66, off, s[0:3], 0 offset:44
	buffer_store_dword v65, off, s[0:3], 0 offset:40
.LBB95_348:
	;; [unrolled: 59-line block ×26, first 2 shown]
	s_or_b64 exec, exec, s[6:7]
	buffer_load_dword v65, off, s[0:3], 0 offset:240
	buffer_load_dword v66, off, s[0:3], 0 offset:244
	v_cmp_gt_u32_e64 s[6:7], 30, v0
	s_waitcnt vmcnt(0)
	ds_write_b64 v68, v[65:66]
	s_waitcnt lgkmcnt(0)
	; wave barrier
	s_and_saveexec_b64 s[8:9], s[6:7]
	s_cbranch_execz .LBB95_598
; %bb.589:
	s_and_b64 vcc, exec, s[4:5]
	s_cbranch_vccnz .LBB95_591
; %bb.590:
	buffer_load_dword v65, v69, s[0:3], 0 offen
	buffer_load_dword v66, v69, s[0:3], 0 offen offset:4
	ds_read_b64 v[70:71], v68
	s_waitcnt vmcnt(0) lgkmcnt(0)
	v_mul_f64 v[65:66], v[65:66], v[70:71]
	s_cbranch_execz .LBB95_592
	s_branch .LBB95_593
.LBB95_591:
                                        ; implicit-def: $vgpr65_vgpr66
.LBB95_592:
	ds_read_b64 v[65:66], v68
.LBB95_593:
	v_cmp_ne_u32_e32 vcc, 29, v0
	s_and_saveexec_b64 s[10:11], vcc
	s_cbranch_execz .LBB95_597
; %bb.594:
	s_mov_b32 s12, 0
	v_add_u32_e32 v70, 0x108, v67
	v_add3_u32 v71, v67, s12, 8
	s_mov_b64 s[12:13], 0
	v_mov_b32_e32 v72, v0
.LBB95_595:                             ; =>This Inner Loop Header: Depth=1
	buffer_load_dword v73, v71, s[0:3], 0 offen
	buffer_load_dword v74, v71, s[0:3], 0 offen offset:4
	ds_read_b64 v[75:76], v70
	v_add_u32_e32 v72, 1, v72
	v_cmp_lt_u32_e32 vcc, 28, v72
	v_add_u32_e32 v70, 8, v70
	s_or_b64 s[12:13], vcc, s[12:13]
	v_add_u32_e32 v71, 8, v71
	s_waitcnt vmcnt(0) lgkmcnt(0)
	v_fma_f64 v[65:66], v[73:74], v[75:76], v[65:66]
	s_andn2_b64 exec, exec, s[12:13]
	s_cbranch_execnz .LBB95_595
; %bb.596:
	s_or_b64 exec, exec, s[12:13]
.LBB95_597:
	s_or_b64 exec, exec, s[10:11]
	v_mov_b32_e32 v70, 0
	ds_read_b64 v[70:71], v70 offset:240
	s_waitcnt lgkmcnt(0)
	v_mul_f64 v[65:66], v[65:66], v[70:71]
	buffer_store_dword v66, off, s[0:3], 0 offset:244
	buffer_store_dword v65, off, s[0:3], 0 offset:240
.LBB95_598:
	s_or_b64 exec, exec, s[8:9]
	buffer_load_dword v65, off, s[0:3], 0 offset:248
	buffer_load_dword v66, off, s[0:3], 0 offset:252
	v_cmp_ne_u32_e32 vcc, 31, v0
	s_waitcnt vmcnt(0)
	ds_write_b64 v68, v[65:66]
	s_waitcnt lgkmcnt(0)
	; wave barrier
	s_and_saveexec_b64 s[8:9], vcc
	s_cbranch_execz .LBB95_608
; %bb.599:
	s_and_b64 vcc, exec, s[4:5]
	s_cbranch_vccnz .LBB95_601
; %bb.600:
	buffer_load_dword v65, v69, s[0:3], 0 offen
	buffer_load_dword v66, v69, s[0:3], 0 offen offset:4
	ds_read_b64 v[69:70], v68
	s_waitcnt vmcnt(0) lgkmcnt(0)
	v_mul_f64 v[65:66], v[65:66], v[69:70]
	s_cbranch_execz .LBB95_602
	s_branch .LBB95_603
.LBB95_601:
                                        ; implicit-def: $vgpr65_vgpr66
.LBB95_602:
	ds_read_b64 v[65:66], v68
.LBB95_603:
	s_and_saveexec_b64 s[4:5], s[6:7]
	s_cbranch_execz .LBB95_607
; %bb.604:
	s_mov_b32 s6, 0
	v_add_u32_e32 v68, 0x108, v67
	v_add3_u32 v67, v67, s6, 8
	s_mov_b64 s[6:7], 0
.LBB95_605:                             ; =>This Inner Loop Header: Depth=1
	buffer_load_dword v69, v67, s[0:3], 0 offen
	buffer_load_dword v70, v67, s[0:3], 0 offen offset:4
	ds_read_b64 v[71:72], v68
	v_add_u32_e32 v0, 1, v0
	v_cmp_lt_u32_e32 vcc, 29, v0
	v_add_u32_e32 v68, 8, v68
	s_or_b64 s[6:7], vcc, s[6:7]
	v_add_u32_e32 v67, 8, v67
	s_waitcnt vmcnt(0) lgkmcnt(0)
	v_fma_f64 v[65:66], v[69:70], v[71:72], v[65:66]
	s_andn2_b64 exec, exec, s[6:7]
	s_cbranch_execnz .LBB95_605
; %bb.606:
	s_or_b64 exec, exec, s[6:7]
.LBB95_607:
	s_or_b64 exec, exec, s[4:5]
	v_mov_b32_e32 v0, 0
	ds_read_b64 v[67:68], v0 offset:248
	s_waitcnt lgkmcnt(0)
	v_mul_f64 v[65:66], v[65:66], v[67:68]
	buffer_store_dword v66, off, s[0:3], 0 offset:252
	buffer_store_dword v65, off, s[0:3], 0 offset:248
.LBB95_608:
	s_or_b64 exec, exec, s[8:9]
.LBB95_609:
	buffer_load_dword v65, off, s[0:3], 0
	buffer_load_dword v66, off, s[0:3], 0 offset:4
	s_waitcnt vmcnt(0)
	flat_store_dwordx2 v[1:2], v[65:66]
	buffer_load_dword v0, off, s[0:3], 0 offset:8
	s_nop 0
	buffer_load_dword v1, off, s[0:3], 0 offset:12
	s_waitcnt vmcnt(0)
	flat_store_dwordx2 v[3:4], v[0:1]
	buffer_load_dword v0, off, s[0:3], 0 offset:16
	s_nop 0
	;; [unrolled: 5-line block ×31, first 2 shown]
	buffer_load_dword v1, off, s[0:3], 0 offset:252
	s_waitcnt vmcnt(0)
	flat_store_dwordx2 v[63:64], v[0:1]
.LBB95_610:
	s_endpgm
	.section	.rodata,"a",@progbits
	.p2align	6, 0x0
	.amdhsa_kernel _ZN9rocsolver6v33100L18trti2_kernel_smallILi32EdPKPdEEv13rocblas_fill_17rocblas_diagonal_T1_iil
		.amdhsa_group_segment_fixed_size 512
		.amdhsa_private_segment_fixed_size 272
		.amdhsa_kernarg_size 32
		.amdhsa_user_sgpr_count 6
		.amdhsa_user_sgpr_private_segment_buffer 1
		.amdhsa_user_sgpr_dispatch_ptr 0
		.amdhsa_user_sgpr_queue_ptr 0
		.amdhsa_user_sgpr_kernarg_segment_ptr 1
		.amdhsa_user_sgpr_dispatch_id 0
		.amdhsa_user_sgpr_flat_scratch_init 0
		.amdhsa_user_sgpr_private_segment_size 0
		.amdhsa_uses_dynamic_stack 0
		.amdhsa_system_sgpr_private_segment_wavefront_offset 1
		.amdhsa_system_sgpr_workgroup_id_x 1
		.amdhsa_system_sgpr_workgroup_id_y 0
		.amdhsa_system_sgpr_workgroup_id_z 0
		.amdhsa_system_sgpr_workgroup_info 0
		.amdhsa_system_vgpr_workitem_id 0
		.amdhsa_next_free_vgpr 78
		.amdhsa_next_free_sgpr 45
		.amdhsa_reserve_vcc 1
		.amdhsa_reserve_flat_scratch 0
		.amdhsa_float_round_mode_32 0
		.amdhsa_float_round_mode_16_64 0
		.amdhsa_float_denorm_mode_32 3
		.amdhsa_float_denorm_mode_16_64 3
		.amdhsa_dx10_clamp 1
		.amdhsa_ieee_mode 1
		.amdhsa_fp16_overflow 0
		.amdhsa_exception_fp_ieee_invalid_op 0
		.amdhsa_exception_fp_denorm_src 0
		.amdhsa_exception_fp_ieee_div_zero 0
		.amdhsa_exception_fp_ieee_overflow 0
		.amdhsa_exception_fp_ieee_underflow 0
		.amdhsa_exception_fp_ieee_inexact 0
		.amdhsa_exception_int_div_zero 0
	.end_amdhsa_kernel
	.section	.text._ZN9rocsolver6v33100L18trti2_kernel_smallILi32EdPKPdEEv13rocblas_fill_17rocblas_diagonal_T1_iil,"axG",@progbits,_ZN9rocsolver6v33100L18trti2_kernel_smallILi32EdPKPdEEv13rocblas_fill_17rocblas_diagonal_T1_iil,comdat
.Lfunc_end95:
	.size	_ZN9rocsolver6v33100L18trti2_kernel_smallILi32EdPKPdEEv13rocblas_fill_17rocblas_diagonal_T1_iil, .Lfunc_end95-_ZN9rocsolver6v33100L18trti2_kernel_smallILi32EdPKPdEEv13rocblas_fill_17rocblas_diagonal_T1_iil
                                        ; -- End function
	.set _ZN9rocsolver6v33100L18trti2_kernel_smallILi32EdPKPdEEv13rocblas_fill_17rocblas_diagonal_T1_iil.num_vgpr, 78
	.set _ZN9rocsolver6v33100L18trti2_kernel_smallILi32EdPKPdEEv13rocblas_fill_17rocblas_diagonal_T1_iil.num_agpr, 0
	.set _ZN9rocsolver6v33100L18trti2_kernel_smallILi32EdPKPdEEv13rocblas_fill_17rocblas_diagonal_T1_iil.numbered_sgpr, 45
	.set _ZN9rocsolver6v33100L18trti2_kernel_smallILi32EdPKPdEEv13rocblas_fill_17rocblas_diagonal_T1_iil.num_named_barrier, 0
	.set _ZN9rocsolver6v33100L18trti2_kernel_smallILi32EdPKPdEEv13rocblas_fill_17rocblas_diagonal_T1_iil.private_seg_size, 272
	.set _ZN9rocsolver6v33100L18trti2_kernel_smallILi32EdPKPdEEv13rocblas_fill_17rocblas_diagonal_T1_iil.uses_vcc, 1
	.set _ZN9rocsolver6v33100L18trti2_kernel_smallILi32EdPKPdEEv13rocblas_fill_17rocblas_diagonal_T1_iil.uses_flat_scratch, 0
	.set _ZN9rocsolver6v33100L18trti2_kernel_smallILi32EdPKPdEEv13rocblas_fill_17rocblas_diagonal_T1_iil.has_dyn_sized_stack, 0
	.set _ZN9rocsolver6v33100L18trti2_kernel_smallILi32EdPKPdEEv13rocblas_fill_17rocblas_diagonal_T1_iil.has_recursion, 0
	.set _ZN9rocsolver6v33100L18trti2_kernel_smallILi32EdPKPdEEv13rocblas_fill_17rocblas_diagonal_T1_iil.has_indirect_call, 0
	.section	.AMDGPU.csdata,"",@progbits
; Kernel info:
; codeLenInByte = 18764
; TotalNumSgprs: 49
; NumVgprs: 78
; ScratchSize: 272
; MemoryBound: 0
; FloatMode: 240
; IeeeMode: 1
; LDSByteSize: 512 bytes/workgroup (compile time only)
; SGPRBlocks: 6
; VGPRBlocks: 19
; NumSGPRsForWavesPerEU: 49
; NumVGPRsForWavesPerEU: 78
; Occupancy: 3
; WaveLimiterHint : 1
; COMPUTE_PGM_RSRC2:SCRATCH_EN: 1
; COMPUTE_PGM_RSRC2:USER_SGPR: 6
; COMPUTE_PGM_RSRC2:TRAP_HANDLER: 0
; COMPUTE_PGM_RSRC2:TGID_X_EN: 1
; COMPUTE_PGM_RSRC2:TGID_Y_EN: 0
; COMPUTE_PGM_RSRC2:TGID_Z_EN: 0
; COMPUTE_PGM_RSRC2:TIDIG_COMP_CNT: 0
	.section	.text._ZN9rocsolver6v33100L18trti2_kernel_smallILi33EdPKPdEEv13rocblas_fill_17rocblas_diagonal_T1_iil,"axG",@progbits,_ZN9rocsolver6v33100L18trti2_kernel_smallILi33EdPKPdEEv13rocblas_fill_17rocblas_diagonal_T1_iil,comdat
	.globl	_ZN9rocsolver6v33100L18trti2_kernel_smallILi33EdPKPdEEv13rocblas_fill_17rocblas_diagonal_T1_iil ; -- Begin function _ZN9rocsolver6v33100L18trti2_kernel_smallILi33EdPKPdEEv13rocblas_fill_17rocblas_diagonal_T1_iil
	.p2align	8
	.type	_ZN9rocsolver6v33100L18trti2_kernel_smallILi33EdPKPdEEv13rocblas_fill_17rocblas_diagonal_T1_iil,@function
_ZN9rocsolver6v33100L18trti2_kernel_smallILi33EdPKPdEEv13rocblas_fill_17rocblas_diagonal_T1_iil: ; @_ZN9rocsolver6v33100L18trti2_kernel_smallILi33EdPKPdEEv13rocblas_fill_17rocblas_diagonal_T1_iil
; %bb.0:
	s_add_u32 s0, s0, s7
	s_addc_u32 s1, s1, 0
	v_cmp_gt_u32_e32 vcc, 33, v0
	s_and_saveexec_b64 s[8:9], vcc
	s_cbranch_execz .LBB96_630
; %bb.1:
	s_load_dwordx2 s[12:13], s[4:5], 0x10
	s_load_dwordx4 s[8:11], s[4:5], 0x0
	s_ashr_i32 s7, s6, 31
	s_lshl_b64 s[6:7], s[6:7], 3
	v_lshlrev_b32_e32 v69, 3, v0
	s_waitcnt lgkmcnt(0)
	s_ashr_i32 s5, s12, 31
	s_add_u32 s6, s10, s6
	s_addc_u32 s7, s11, s7
	s_load_dwordx2 s[6:7], s[6:7], 0x0
	s_mov_b32 s4, s12
	s_lshl_b64 s[4:5], s[4:5], 3
	s_waitcnt lgkmcnt(0)
	s_add_u32 s4, s6, s4
	s_addc_u32 s5, s7, s5
	v_mov_b32_e32 v2, s5
	v_add_co_u32_e32 v1, vcc, s4, v69
	v_addc_co_u32_e32 v2, vcc, 0, v2, vcc
	flat_load_dwordx2 v[5:6], v[1:2]
	s_mov_b32 s6, s13
	s_ashr_i32 s7, s13, 31
	s_lshl_b64 s[6:7], s[6:7], 3
	v_mov_b32_e32 v4, s7
	v_add_co_u32_e32 v3, vcc, s6, v1
	v_addc_co_u32_e32 v4, vcc, v2, v4, vcc
	s_add_i32 s6, s13, s13
	v_add_u32_e32 v9, s6, v0
	v_ashrrev_i32_e32 v10, 31, v9
	v_mov_b32_e32 v11, s5
	v_add_u32_e32 v12, s13, v9
	v_ashrrev_i32_e32 v13, 31, v12
	v_mov_b32_e32 v14, s5
	v_mov_b32_e32 v15, s5
	;; [unrolled: 1-line block ×29, first 2 shown]
	s_cmpk_lg_i32 s9, 0x84
	s_cselect_b64 s[10:11], -1, 0
	s_cmpk_eq_i32 s9, 0x84
	s_waitcnt vmcnt(0) lgkmcnt(0)
	buffer_store_dword v6, off, s[0:3], 0 offset:4
	buffer_store_dword v5, off, s[0:3], 0
	flat_load_dwordx2 v[7:8], v[3:4]
	v_lshlrev_b64 v[5:6], 3, v[9:10]
	s_waitcnt vmcnt(0) lgkmcnt(0)
	buffer_store_dword v8, off, s[0:3], 0 offset:12
	buffer_store_dword v7, off, s[0:3], 0 offset:8
	v_add_co_u32_e32 v5, vcc, s4, v5
	v_addc_co_u32_e32 v6, vcc, v11, v6, vcc
	flat_load_dwordx2 v[10:11], v[5:6]
	v_lshlrev_b64 v[7:8], 3, v[12:13]
	s_waitcnt vmcnt(0) lgkmcnt(0)
	buffer_store_dword v11, off, s[0:3], 0 offset:20
	buffer_store_dword v10, off, s[0:3], 0 offset:16
	v_add_co_u32_e32 v7, vcc, s4, v7
	v_addc_co_u32_e32 v8, vcc, v14, v8, vcc
	flat_load_dwordx2 v[13:14], v[7:8]
	v_add_u32_e32 v11, s13, v12
	v_ashrrev_i32_e32 v12, 31, v11
	v_lshlrev_b64 v[9:10], 3, v[11:12]
	s_waitcnt vmcnt(0) lgkmcnt(0)
	buffer_store_dword v14, off, s[0:3], 0 offset:28
	buffer_store_dword v13, off, s[0:3], 0 offset:24
	v_add_co_u32_e32 v9, vcc, s4, v9
	v_addc_co_u32_e32 v10, vcc, v15, v10, vcc
	flat_load_dwordx2 v[13:14], v[9:10]
	v_add_u32_e32 v15, s13, v11
	v_ashrrev_i32_e32 v16, 31, v15
	v_lshlrev_b64 v[11:12], 3, v[15:16]
	v_add_u32_e32 v18, s13, v15
	v_add_co_u32_e32 v11, vcc, s4, v11
	v_addc_co_u32_e32 v12, vcc, v17, v12, vcc
	v_ashrrev_i32_e32 v19, 31, v18
	s_waitcnt vmcnt(0) lgkmcnt(0)
	buffer_store_dword v14, off, s[0:3], 0 offset:36
	buffer_store_dword v13, off, s[0:3], 0 offset:32
	flat_load_dwordx2 v[16:17], v[11:12]
	v_lshlrev_b64 v[13:14], 3, v[18:19]
	s_waitcnt vmcnt(0) lgkmcnt(0)
	buffer_store_dword v17, off, s[0:3], 0 offset:44
	buffer_store_dword v16, off, s[0:3], 0 offset:40
	v_add_co_u32_e32 v13, vcc, s4, v13
	v_addc_co_u32_e32 v14, vcc, v20, v14, vcc
	flat_load_dwordx2 v[19:20], v[13:14]
	v_add_u32_e32 v17, s13, v18
	v_ashrrev_i32_e32 v18, 31, v17
	v_lshlrev_b64 v[15:16], 3, v[17:18]
	s_waitcnt vmcnt(0) lgkmcnt(0)
	buffer_store_dword v20, off, s[0:3], 0 offset:52
	buffer_store_dword v19, off, s[0:3], 0 offset:48
	v_add_co_u32_e32 v15, vcc, s4, v15
	v_addc_co_u32_e32 v16, vcc, v21, v16, vcc
	flat_load_dwordx2 v[19:20], v[15:16]
	v_add_u32_e32 v21, s13, v17
	v_ashrrev_i32_e32 v22, 31, v21
	v_lshlrev_b64 v[17:18], 3, v[21:22]
	v_add_u32_e32 v24, s13, v21
	v_add_co_u32_e32 v17, vcc, s4, v17
	v_addc_co_u32_e32 v18, vcc, v23, v18, vcc
	v_ashrrev_i32_e32 v25, 31, v24
	s_waitcnt vmcnt(0) lgkmcnt(0)
	buffer_store_dword v20, off, s[0:3], 0 offset:60
	buffer_store_dword v19, off, s[0:3], 0 offset:56
	;; [unrolled: 27-line block ×7, first 2 shown]
	flat_load_dwordx2 v[52:53], v[47:48]
	v_lshlrev_b64 v[49:50], 3, v[54:55]
	s_waitcnt vmcnt(0) lgkmcnt(0)
	buffer_store_dword v53, off, s[0:3], 0 offset:188
	buffer_store_dword v52, off, s[0:3], 0 offset:184
	v_add_co_u32_e32 v49, vcc, s4, v49
	v_addc_co_u32_e32 v50, vcc, v56, v50, vcc
	flat_load_dwordx2 v[55:56], v[49:50]
	v_add_u32_e32 v53, s13, v54
	v_ashrrev_i32_e32 v54, 31, v53
	v_lshlrev_b64 v[51:52], 3, v[53:54]
	s_waitcnt vmcnt(0) lgkmcnt(0)
	buffer_store_dword v56, off, s[0:3], 0 offset:196
	buffer_store_dword v55, off, s[0:3], 0 offset:192
	v_add_co_u32_e32 v51, vcc, s4, v51
	v_addc_co_u32_e32 v52, vcc, v57, v52, vcc
	flat_load_dwordx2 v[55:56], v[51:52]
	v_add_u32_e32 v57, s13, v53
	v_ashrrev_i32_e32 v58, 31, v57
	v_lshlrev_b64 v[53:54], 3, v[57:58]
	v_add_u32_e32 v60, s13, v57
	v_add_co_u32_e32 v53, vcc, s4, v53
	v_addc_co_u32_e32 v54, vcc, v59, v54, vcc
	s_waitcnt vmcnt(0) lgkmcnt(0)
	buffer_store_dword v56, off, s[0:3], 0 offset:204
	buffer_store_dword v55, off, s[0:3], 0 offset:200
	flat_load_dwordx2 v[58:59], v[53:54]
	v_ashrrev_i32_e32 v61, 31, v60
	v_lshlrev_b64 v[55:56], 3, v[60:61]
	s_waitcnt vmcnt(0) lgkmcnt(0)
	buffer_store_dword v59, off, s[0:3], 0 offset:212
	buffer_store_dword v58, off, s[0:3], 0 offset:208
	v_add_co_u32_e32 v55, vcc, s4, v55
	v_addc_co_u32_e32 v56, vcc, v62, v56, vcc
	flat_load_dwordx2 v[61:62], v[55:56]
	v_add_u32_e32 v59, s13, v60
	v_ashrrev_i32_e32 v60, 31, v59
	v_lshlrev_b64 v[57:58], 3, v[59:60]
	s_waitcnt vmcnt(0) lgkmcnt(0)
	buffer_store_dword v62, off, s[0:3], 0 offset:220
	buffer_store_dword v61, off, s[0:3], 0 offset:216
	v_add_co_u32_e32 v57, vcc, s4, v57
	v_addc_co_u32_e32 v58, vcc, v63, v58, vcc
	flat_load_dwordx2 v[61:62], v[57:58]
	v_add_u32_e32 v63, s13, v59
	;; [unrolled: 9-line block ×5, first 2 shown]
	v_ashrrev_i32_e32 v66, 31, v65
	v_lshlrev_b64 v[65:66], 3, v[65:66]
	s_waitcnt vmcnt(0) lgkmcnt(0)
	buffer_store_dword v68, off, s[0:3], 0 offset:252
	buffer_store_dword v67, off, s[0:3], 0 offset:248
	v_add_co_u32_e32 v65, vcc, s4, v65
	v_addc_co_u32_e32 v66, vcc, v70, v66, vcc
	flat_load_dwordx2 v[70:71], v[65:66]
	v_mov_b32_e32 v67, 0
	v_mov_b32_e32 v68, 0xbff00000
	s_waitcnt vmcnt(0) lgkmcnt(0)
	buffer_store_dword v71, off, s[0:3], 0 offset:260
	buffer_store_dword v70, off, s[0:3], 0 offset:256
	s_cbranch_scc1 .LBB96_3
; %bb.2:
	v_mov_b32_e32 v67, 0
	v_lshl_add_u32 v78, v0, 3, v67
	buffer_load_dword v67, v78, s[0:3], 0 offen
	buffer_load_dword v68, v78, s[0:3], 0 offen offset:4
	s_waitcnt vmcnt(0)
	v_div_scale_f64 v[70:71], s[4:5], v[67:68], v[67:68], 1.0
	v_rcp_f64_e32 v[72:73], v[70:71]
	v_fma_f64 v[74:75], -v[70:71], v[72:73], 1.0
	v_fma_f64 v[72:73], v[72:73], v[74:75], v[72:73]
	v_div_scale_f64 v[74:75], vcc, 1.0, v[67:68], 1.0
	v_fma_f64 v[76:77], -v[70:71], v[72:73], 1.0
	v_fma_f64 v[72:73], v[72:73], v[76:77], v[72:73]
	v_mul_f64 v[76:77], v[74:75], v[72:73]
	v_fma_f64 v[70:71], -v[70:71], v[76:77], v[74:75]
	v_div_fmas_f64 v[70:71], v[70:71], v[72:73], v[76:77]
	v_div_fixup_f64 v[67:68], v[70:71], v[67:68], 1.0
	buffer_store_dword v67, v78, s[0:3], 0 offen
	buffer_store_dword v68, v78, s[0:3], 0 offen offset:4
	v_xor_b32_e32 v68, 0x80000000, v68
.LBB96_3:
	s_cmpk_eq_i32 s8, 0x79
	v_add_u32_e32 v70, 0x110, v69
	v_mov_b32_e32 v71, v69
	s_mov_b64 s[4:5], -1
	ds_write_b64 v69, v[67:68]
	s_cbranch_scc1 .LBB96_317
; %bb.4:
	buffer_load_dword v67, off, s[0:3], 0 offset:248
	buffer_load_dword v68, off, s[0:3], 0 offset:252
	s_movk_i32 s12, 0x48
	s_movk_i32 s13, 0x50
	;; [unrolled: 1-line block ×22, first 2 shown]
	v_cmp_eq_u32_e64 s[4:5], 32, v0
	s_waitcnt vmcnt(0)
	ds_write_b64 v70, v[67:68]
	s_waitcnt lgkmcnt(0)
	; wave barrier
	s_and_saveexec_b64 s[6:7], s[4:5]
	s_cbranch_execz .LBB96_10
; %bb.5:
	s_and_b64 vcc, exec, s[10:11]
	s_cbranch_vccz .LBB96_7
; %bb.6:
	buffer_load_dword v67, v71, s[0:3], 0 offen
	buffer_load_dword v68, v71, s[0:3], 0 offen offset:4
	ds_read_b64 v[72:73], v70
	s_waitcnt vmcnt(0) lgkmcnt(0)
	v_mul_f64 v[67:68], v[67:68], v[72:73]
	s_cbranch_execz .LBB96_8
	s_branch .LBB96_9
.LBB96_7:
                                        ; implicit-def: $vgpr67_vgpr68
.LBB96_8:
	ds_read_b64 v[67:68], v70
.LBB96_9:
	v_mov_b32_e32 v72, 0
	ds_read_b64 v[72:73], v72 offset:248
	s_waitcnt lgkmcnt(0)
	v_mul_f64 v[67:68], v[67:68], v[72:73]
	buffer_store_dword v68, off, s[0:3], 0 offset:252
	buffer_store_dword v67, off, s[0:3], 0 offset:248
.LBB96_10:
	s_or_b64 exec, exec, s[6:7]
	buffer_load_dword v67, off, s[0:3], 0 offset:240
	buffer_load_dword v68, off, s[0:3], 0 offset:244
	s_or_b32 s14, 0, 8
	s_mov_b32 s15, 16
	s_mov_b32 s16, 24
	;; [unrolled: 1-line block ×9, first 2 shown]
	v_cmp_lt_u32_e64 s[6:7], 30, v0
	s_waitcnt vmcnt(0)
	ds_write_b64 v70, v[67:68]
	s_waitcnt lgkmcnt(0)
	; wave barrier
	s_and_saveexec_b64 s[8:9], s[6:7]
	s_cbranch_execz .LBB96_16
; %bb.11:
	s_andn2_b64 vcc, exec, s[10:11]
	s_cbranch_vccnz .LBB96_13
; %bb.12:
	buffer_load_dword v67, v71, s[0:3], 0 offen
	buffer_load_dword v68, v71, s[0:3], 0 offen offset:4
	ds_read_b64 v[72:73], v70
	s_waitcnt vmcnt(0) lgkmcnt(0)
	v_mul_f64 v[67:68], v[67:68], v[72:73]
	s_cbranch_execz .LBB96_14
	s_branch .LBB96_15
.LBB96_13:
                                        ; implicit-def: $vgpr67_vgpr68
.LBB96_14:
	ds_read_b64 v[67:68], v70
.LBB96_15:
	buffer_load_dword v76, off, s[0:3], 0 offset:248
	buffer_load_dword v77, off, s[0:3], 0 offset:252
	v_mov_b32_e32 v72, 0
	ds_read2_b64 v[72:75], v72 offset0:30 offset1:65
	s_waitcnt vmcnt(0) lgkmcnt(0)
	v_fma_f64 v[74:75], v[76:77], v[74:75], v[67:68]
	v_cndmask_b32_e64 v68, v68, v75, s[4:5]
	v_cndmask_b32_e64 v67, v67, v74, s[4:5]
	v_mul_f64 v[67:68], v[67:68], v[72:73]
	buffer_store_dword v68, off, s[0:3], 0 offset:244
	buffer_store_dword v67, off, s[0:3], 0 offset:240
.LBB96_16:
	s_or_b64 exec, exec, s[8:9]
	buffer_load_dword v67, off, s[0:3], 0 offset:232
	buffer_load_dword v68, off, s[0:3], 0 offset:236
	v_cmp_lt_u32_e64 s[4:5], 29, v0
	s_waitcnt vmcnt(0)
	ds_write_b64 v70, v[67:68]
	s_waitcnt lgkmcnt(0)
	; wave barrier
	s_and_saveexec_b64 s[8:9], s[4:5]
	s_cbranch_execz .LBB96_26
; %bb.17:
	s_andn2_b64 vcc, exec, s[10:11]
	s_cbranch_vccnz .LBB96_19
; %bb.18:
	buffer_load_dword v67, v71, s[0:3], 0 offen
	buffer_load_dword v68, v71, s[0:3], 0 offen offset:4
	ds_read_b64 v[72:73], v70
	s_waitcnt vmcnt(0) lgkmcnt(0)
	v_mul_f64 v[67:68], v[67:68], v[72:73]
	s_cbranch_execz .LBB96_20
	s_branch .LBB96_21
.LBB96_19:
                                        ; implicit-def: $vgpr67_vgpr68
.LBB96_20:
	ds_read_b64 v[67:68], v70
.LBB96_21:
	s_and_saveexec_b64 s[12:13], s[6:7]
	s_cbranch_execz .LBB96_25
; %bb.22:
	v_subrev_u32_e32 v72, 30, v0
	s_movk_i32 s45, 0x200
	s_mov_b64 s[6:7], 0
.LBB96_23:                              ; =>This Inner Loop Header: Depth=1
	v_mov_b32_e32 v75, s44
	buffer_load_dword v73, v75, s[0:3], 0 offen
	buffer_load_dword v74, v75, s[0:3], 0 offen offset:4
	v_mov_b32_e32 v75, s45
	ds_read_b64 v[75:76], v75
	v_add_u32_e32 v72, -1, v72
	s_add_i32 s45, s45, 8
	s_add_i32 s44, s44, 8
	v_cmp_eq_u32_e32 vcc, 0, v72
	s_or_b64 s[6:7], vcc, s[6:7]
	s_waitcnt vmcnt(0) lgkmcnt(0)
	v_fma_f64 v[67:68], v[73:74], v[75:76], v[67:68]
	s_andn2_b64 exec, exec, s[6:7]
	s_cbranch_execnz .LBB96_23
; %bb.24:
	s_or_b64 exec, exec, s[6:7]
.LBB96_25:
	s_or_b64 exec, exec, s[12:13]
	v_mov_b32_e32 v72, 0
	ds_read_b64 v[72:73], v72 offset:232
	s_waitcnt lgkmcnt(0)
	v_mul_f64 v[67:68], v[67:68], v[72:73]
	buffer_store_dword v68, off, s[0:3], 0 offset:236
	buffer_store_dword v67, off, s[0:3], 0 offset:232
.LBB96_26:
	s_or_b64 exec, exec, s[8:9]
	buffer_load_dword v67, off, s[0:3], 0 offset:224
	buffer_load_dword v68, off, s[0:3], 0 offset:228
	v_cmp_lt_u32_e64 s[6:7], 28, v0
	s_waitcnt vmcnt(0)
	ds_write_b64 v70, v[67:68]
	s_waitcnt lgkmcnt(0)
	; wave barrier
	s_and_saveexec_b64 s[8:9], s[6:7]
	s_cbranch_execz .LBB96_36
; %bb.27:
	s_andn2_b64 vcc, exec, s[10:11]
	s_cbranch_vccnz .LBB96_29
; %bb.28:
	buffer_load_dword v67, v71, s[0:3], 0 offen
	buffer_load_dword v68, v71, s[0:3], 0 offen offset:4
	ds_read_b64 v[72:73], v70
	s_waitcnt vmcnt(0) lgkmcnt(0)
	v_mul_f64 v[67:68], v[67:68], v[72:73]
	s_cbranch_execz .LBB96_30
	s_branch .LBB96_31
.LBB96_29:
                                        ; implicit-def: $vgpr67_vgpr68
.LBB96_30:
	ds_read_b64 v[67:68], v70
.LBB96_31:
	s_and_saveexec_b64 s[12:13], s[4:5]
	s_cbranch_execz .LBB96_35
; %bb.32:
	v_subrev_u32_e32 v72, 29, v0
	s_movk_i32 s44, 0x1f8
	s_mov_b64 s[4:5], 0
.LBB96_33:                              ; =>This Inner Loop Header: Depth=1
	v_mov_b32_e32 v75, s43
	buffer_load_dword v73, v75, s[0:3], 0 offen
	buffer_load_dword v74, v75, s[0:3], 0 offen offset:4
	v_mov_b32_e32 v75, s44
	ds_read_b64 v[75:76], v75
	v_add_u32_e32 v72, -1, v72
	s_add_i32 s44, s44, 8
	s_add_i32 s43, s43, 8
	v_cmp_eq_u32_e32 vcc, 0, v72
	s_or_b64 s[4:5], vcc, s[4:5]
	s_waitcnt vmcnt(0) lgkmcnt(0)
	v_fma_f64 v[67:68], v[73:74], v[75:76], v[67:68]
	s_andn2_b64 exec, exec, s[4:5]
	s_cbranch_execnz .LBB96_33
; %bb.34:
	s_or_b64 exec, exec, s[4:5]
.LBB96_35:
	s_or_b64 exec, exec, s[12:13]
	v_mov_b32_e32 v72, 0
	ds_read_b64 v[72:73], v72 offset:224
	s_waitcnt lgkmcnt(0)
	v_mul_f64 v[67:68], v[67:68], v[72:73]
	buffer_store_dword v68, off, s[0:3], 0 offset:228
	buffer_store_dword v67, off, s[0:3], 0 offset:224
.LBB96_36:
	;; [unrolled: 58-line block ×8, first 2 shown]
	s_or_b64 exec, exec, s[8:9]
	buffer_load_dword v67, off, s[0:3], 0 offset:168
	buffer_load_dword v68, off, s[0:3], 0 offset:172
	v_cmp_lt_u32_e64 s[4:5], 21, v0
	s_waitcnt vmcnt(0)
	ds_write_b64 v70, v[67:68]
	s_waitcnt lgkmcnt(0)
	; wave barrier
	s_and_saveexec_b64 s[8:9], s[4:5]
	s_cbranch_execz .LBB96_106
; %bb.97:
	s_andn2_b64 vcc, exec, s[10:11]
	s_cbranch_vccnz .LBB96_99
; %bb.98:
	buffer_load_dword v67, v71, s[0:3], 0 offen
	buffer_load_dword v68, v71, s[0:3], 0 offen offset:4
	ds_read_b64 v[72:73], v70
	s_waitcnt vmcnt(0) lgkmcnt(0)
	v_mul_f64 v[67:68], v[67:68], v[72:73]
	s_cbranch_execz .LBB96_100
	s_branch .LBB96_101
.LBB96_99:
                                        ; implicit-def: $vgpr67_vgpr68
.LBB96_100:
	ds_read_b64 v[67:68], v70
.LBB96_101:
	s_and_saveexec_b64 s[12:13], s[6:7]
	s_cbranch_execz .LBB96_105
; %bb.102:
	v_subrev_u32_e32 v72, 22, v0
	s_movk_i32 s37, 0x1c0
	s_mov_b64 s[6:7], 0
.LBB96_103:                             ; =>This Inner Loop Header: Depth=1
	v_mov_b32_e32 v75, s36
	buffer_load_dword v73, v75, s[0:3], 0 offen
	buffer_load_dword v74, v75, s[0:3], 0 offen offset:4
	v_mov_b32_e32 v75, s37
	ds_read_b64 v[75:76], v75
	v_add_u32_e32 v72, -1, v72
	s_add_i32 s37, s37, 8
	s_add_i32 s36, s36, 8
	v_cmp_eq_u32_e32 vcc, 0, v72
	s_or_b64 s[6:7], vcc, s[6:7]
	s_waitcnt vmcnt(0) lgkmcnt(0)
	v_fma_f64 v[67:68], v[73:74], v[75:76], v[67:68]
	s_andn2_b64 exec, exec, s[6:7]
	s_cbranch_execnz .LBB96_103
; %bb.104:
	s_or_b64 exec, exec, s[6:7]
.LBB96_105:
	s_or_b64 exec, exec, s[12:13]
	v_mov_b32_e32 v72, 0
	ds_read_b64 v[72:73], v72 offset:168
	s_waitcnt lgkmcnt(0)
	v_mul_f64 v[67:68], v[67:68], v[72:73]
	buffer_store_dword v68, off, s[0:3], 0 offset:172
	buffer_store_dword v67, off, s[0:3], 0 offset:168
.LBB96_106:
	s_or_b64 exec, exec, s[8:9]
	buffer_load_dword v67, off, s[0:3], 0 offset:160
	buffer_load_dword v68, off, s[0:3], 0 offset:164
	v_cmp_lt_u32_e64 s[6:7], 20, v0
	s_waitcnt vmcnt(0)
	ds_write_b64 v70, v[67:68]
	s_waitcnt lgkmcnt(0)
	; wave barrier
	s_and_saveexec_b64 s[8:9], s[6:7]
	s_cbranch_execz .LBB96_116
; %bb.107:
	s_andn2_b64 vcc, exec, s[10:11]
	s_cbranch_vccnz .LBB96_109
; %bb.108:
	buffer_load_dword v67, v71, s[0:3], 0 offen
	buffer_load_dword v68, v71, s[0:3], 0 offen offset:4
	ds_read_b64 v[72:73], v70
	s_waitcnt vmcnt(0) lgkmcnt(0)
	v_mul_f64 v[67:68], v[67:68], v[72:73]
	s_cbranch_execz .LBB96_110
	s_branch .LBB96_111
.LBB96_109:
                                        ; implicit-def: $vgpr67_vgpr68
.LBB96_110:
	ds_read_b64 v[67:68], v70
.LBB96_111:
	s_and_saveexec_b64 s[12:13], s[4:5]
	s_cbranch_execz .LBB96_115
; %bb.112:
	v_subrev_u32_e32 v72, 21, v0
	s_movk_i32 s36, 0x1b8
	s_mov_b64 s[4:5], 0
.LBB96_113:                             ; =>This Inner Loop Header: Depth=1
	v_mov_b32_e32 v75, s35
	buffer_load_dword v73, v75, s[0:3], 0 offen
	buffer_load_dword v74, v75, s[0:3], 0 offen offset:4
	v_mov_b32_e32 v75, s36
	ds_read_b64 v[75:76], v75
	v_add_u32_e32 v72, -1, v72
	s_add_i32 s36, s36, 8
	s_add_i32 s35, s35, 8
	v_cmp_eq_u32_e32 vcc, 0, v72
	s_or_b64 s[4:5], vcc, s[4:5]
	s_waitcnt vmcnt(0) lgkmcnt(0)
	v_fma_f64 v[67:68], v[73:74], v[75:76], v[67:68]
	s_andn2_b64 exec, exec, s[4:5]
	s_cbranch_execnz .LBB96_113
; %bb.114:
	s_or_b64 exec, exec, s[4:5]
.LBB96_115:
	s_or_b64 exec, exec, s[12:13]
	v_mov_b32_e32 v72, 0
	ds_read_b64 v[72:73], v72 offset:160
	s_waitcnt lgkmcnt(0)
	v_mul_f64 v[67:68], v[67:68], v[72:73]
	buffer_store_dword v68, off, s[0:3], 0 offset:164
	buffer_store_dword v67, off, s[0:3], 0 offset:160
.LBB96_116:
	;; [unrolled: 58-line block ×6, first 2 shown]
	s_or_b64 exec, exec, s[8:9]
	buffer_load_dword v67, off, s[0:3], 0 offset:120
	buffer_load_dword v68, off, s[0:3], 0 offset:124
	v_cmp_lt_u32_e64 s[4:5], 15, v0
	s_waitcnt vmcnt(0)
	ds_write_b64 v70, v[67:68]
	s_waitcnt lgkmcnt(0)
	; wave barrier
	s_and_saveexec_b64 s[8:9], s[4:5]
	s_cbranch_execz .LBB96_166
; %bb.157:
	s_andn2_b64 vcc, exec, s[10:11]
	s_cbranch_vccnz .LBB96_159
; %bb.158:
	buffer_load_dword v67, v71, s[0:3], 0 offen
	buffer_load_dword v68, v71, s[0:3], 0 offen offset:4
	ds_read_b64 v[72:73], v70
	s_waitcnt vmcnt(0) lgkmcnt(0)
	v_mul_f64 v[67:68], v[67:68], v[72:73]
	s_cbranch_execz .LBB96_160
	s_branch .LBB96_161
.LBB96_159:
                                        ; implicit-def: $vgpr67_vgpr68
.LBB96_160:
	ds_read_b64 v[67:68], v70
.LBB96_161:
	s_and_saveexec_b64 s[12:13], s[6:7]
	s_cbranch_execz .LBB96_165
; %bb.162:
	v_add_u32_e32 v72, -16, v0
	s_movk_i32 s30, 0x190
	s_mov_b64 s[6:7], 0
.LBB96_163:                             ; =>This Inner Loop Header: Depth=1
	v_mov_b32_e32 v75, s29
	buffer_load_dword v73, v75, s[0:3], 0 offen
	buffer_load_dword v74, v75, s[0:3], 0 offen offset:4
	v_mov_b32_e32 v75, s30
	ds_read_b64 v[75:76], v75
	v_add_u32_e32 v72, -1, v72
	s_add_i32 s30, s30, 8
	s_add_i32 s29, s29, 8
	v_cmp_eq_u32_e32 vcc, 0, v72
	s_or_b64 s[6:7], vcc, s[6:7]
	s_waitcnt vmcnt(0) lgkmcnt(0)
	v_fma_f64 v[67:68], v[73:74], v[75:76], v[67:68]
	s_andn2_b64 exec, exec, s[6:7]
	s_cbranch_execnz .LBB96_163
; %bb.164:
	s_or_b64 exec, exec, s[6:7]
.LBB96_165:
	s_or_b64 exec, exec, s[12:13]
	v_mov_b32_e32 v72, 0
	ds_read_b64 v[72:73], v72 offset:120
	s_waitcnt lgkmcnt(0)
	v_mul_f64 v[67:68], v[67:68], v[72:73]
	buffer_store_dword v68, off, s[0:3], 0 offset:124
	buffer_store_dword v67, off, s[0:3], 0 offset:120
.LBB96_166:
	s_or_b64 exec, exec, s[8:9]
	buffer_load_dword v67, off, s[0:3], 0 offset:112
	buffer_load_dword v68, off, s[0:3], 0 offset:116
	v_cmp_lt_u32_e64 s[6:7], 14, v0
	s_waitcnt vmcnt(0)
	ds_write_b64 v70, v[67:68]
	s_waitcnt lgkmcnt(0)
	; wave barrier
	s_and_saveexec_b64 s[8:9], s[6:7]
	s_cbranch_execz .LBB96_176
; %bb.167:
	s_andn2_b64 vcc, exec, s[10:11]
	s_cbranch_vccnz .LBB96_169
; %bb.168:
	buffer_load_dword v67, v71, s[0:3], 0 offen
	buffer_load_dword v68, v71, s[0:3], 0 offen offset:4
	ds_read_b64 v[72:73], v70
	s_waitcnt vmcnt(0) lgkmcnt(0)
	v_mul_f64 v[67:68], v[67:68], v[72:73]
	s_cbranch_execz .LBB96_170
	s_branch .LBB96_171
.LBB96_169:
                                        ; implicit-def: $vgpr67_vgpr68
.LBB96_170:
	ds_read_b64 v[67:68], v70
.LBB96_171:
	s_and_saveexec_b64 s[12:13], s[4:5]
	s_cbranch_execz .LBB96_175
; %bb.172:
	v_add_u32_e32 v72, -15, v0
	s_movk_i32 s29, 0x188
	s_mov_b64 s[4:5], 0
.LBB96_173:                             ; =>This Inner Loop Header: Depth=1
	v_mov_b32_e32 v75, s28
	buffer_load_dword v73, v75, s[0:3], 0 offen
	buffer_load_dword v74, v75, s[0:3], 0 offen offset:4
	v_mov_b32_e32 v75, s29
	ds_read_b64 v[75:76], v75
	v_add_u32_e32 v72, -1, v72
	s_add_i32 s29, s29, 8
	s_add_i32 s28, s28, 8
	v_cmp_eq_u32_e32 vcc, 0, v72
	s_or_b64 s[4:5], vcc, s[4:5]
	s_waitcnt vmcnt(0) lgkmcnt(0)
	v_fma_f64 v[67:68], v[73:74], v[75:76], v[67:68]
	s_andn2_b64 exec, exec, s[4:5]
	s_cbranch_execnz .LBB96_173
; %bb.174:
	s_or_b64 exec, exec, s[4:5]
.LBB96_175:
	s_or_b64 exec, exec, s[12:13]
	v_mov_b32_e32 v72, 0
	ds_read_b64 v[72:73], v72 offset:112
	s_waitcnt lgkmcnt(0)
	v_mul_f64 v[67:68], v[67:68], v[72:73]
	buffer_store_dword v68, off, s[0:3], 0 offset:116
	buffer_store_dword v67, off, s[0:3], 0 offset:112
.LBB96_176:
	s_or_b64 exec, exec, s[8:9]
	buffer_load_dword v67, off, s[0:3], 0 offset:104
	buffer_load_dword v68, off, s[0:3], 0 offset:108
	v_cmp_lt_u32_e64 s[4:5], 13, v0
	s_waitcnt vmcnt(0)
	ds_write_b64 v70, v[67:68]
	s_waitcnt lgkmcnt(0)
	; wave barrier
	s_and_saveexec_b64 s[8:9], s[4:5]
	s_cbranch_execz .LBB96_186
; %bb.177:
	s_andn2_b64 vcc, exec, s[10:11]
	s_cbranch_vccnz .LBB96_179
; %bb.178:
	buffer_load_dword v67, v71, s[0:3], 0 offen
	buffer_load_dword v68, v71, s[0:3], 0 offen offset:4
	ds_read_b64 v[72:73], v70
	s_waitcnt vmcnt(0) lgkmcnt(0)
	v_mul_f64 v[67:68], v[67:68], v[72:73]
	s_cbranch_execz .LBB96_180
	s_branch .LBB96_181
.LBB96_179:
                                        ; implicit-def: $vgpr67_vgpr68
.LBB96_180:
	ds_read_b64 v[67:68], v70
.LBB96_181:
	s_and_saveexec_b64 s[12:13], s[6:7]
	s_cbranch_execz .LBB96_185
; %bb.182:
	v_add_u32_e32 v72, -14, v0
	s_movk_i32 s28, 0x180
	s_mov_b64 s[6:7], 0
.LBB96_183:                             ; =>This Inner Loop Header: Depth=1
	v_mov_b32_e32 v75, s27
	buffer_load_dword v73, v75, s[0:3], 0 offen
	buffer_load_dword v74, v75, s[0:3], 0 offen offset:4
	v_mov_b32_e32 v75, s28
	ds_read_b64 v[75:76], v75
	v_add_u32_e32 v72, -1, v72
	s_add_i32 s28, s28, 8
	s_add_i32 s27, s27, 8
	v_cmp_eq_u32_e32 vcc, 0, v72
	s_or_b64 s[6:7], vcc, s[6:7]
	s_waitcnt vmcnt(0) lgkmcnt(0)
	v_fma_f64 v[67:68], v[73:74], v[75:76], v[67:68]
	s_andn2_b64 exec, exec, s[6:7]
	s_cbranch_execnz .LBB96_183
; %bb.184:
	s_or_b64 exec, exec, s[6:7]
.LBB96_185:
	s_or_b64 exec, exec, s[12:13]
	v_mov_b32_e32 v72, 0
	ds_read_b64 v[72:73], v72 offset:104
	s_waitcnt lgkmcnt(0)
	v_mul_f64 v[67:68], v[67:68], v[72:73]
	buffer_store_dword v68, off, s[0:3], 0 offset:108
	buffer_store_dword v67, off, s[0:3], 0 offset:104
.LBB96_186:
	s_or_b64 exec, exec, s[8:9]
	buffer_load_dword v67, off, s[0:3], 0 offset:96
	buffer_load_dword v68, off, s[0:3], 0 offset:100
	v_cmp_lt_u32_e64 s[6:7], 12, v0
	s_waitcnt vmcnt(0)
	ds_write_b64 v70, v[67:68]
	s_waitcnt lgkmcnt(0)
	; wave barrier
	s_and_saveexec_b64 s[8:9], s[6:7]
	s_cbranch_execz .LBB96_196
; %bb.187:
	s_andn2_b64 vcc, exec, s[10:11]
	s_cbranch_vccnz .LBB96_189
; %bb.188:
	buffer_load_dword v67, v71, s[0:3], 0 offen
	buffer_load_dword v68, v71, s[0:3], 0 offen offset:4
	ds_read_b64 v[72:73], v70
	s_waitcnt vmcnt(0) lgkmcnt(0)
	v_mul_f64 v[67:68], v[67:68], v[72:73]
	s_cbranch_execz .LBB96_190
	s_branch .LBB96_191
.LBB96_189:
                                        ; implicit-def: $vgpr67_vgpr68
.LBB96_190:
	ds_read_b64 v[67:68], v70
.LBB96_191:
	s_and_saveexec_b64 s[12:13], s[4:5]
	s_cbranch_execz .LBB96_195
; %bb.192:
	v_add_u32_e32 v72, -13, v0
	s_movk_i32 s27, 0x178
	s_mov_b64 s[4:5], 0
.LBB96_193:                             ; =>This Inner Loop Header: Depth=1
	v_mov_b32_e32 v75, s26
	buffer_load_dword v73, v75, s[0:3], 0 offen
	buffer_load_dword v74, v75, s[0:3], 0 offen offset:4
	v_mov_b32_e32 v75, s27
	ds_read_b64 v[75:76], v75
	v_add_u32_e32 v72, -1, v72
	s_add_i32 s27, s27, 8
	s_add_i32 s26, s26, 8
	v_cmp_eq_u32_e32 vcc, 0, v72
	s_or_b64 s[4:5], vcc, s[4:5]
	s_waitcnt vmcnt(0) lgkmcnt(0)
	v_fma_f64 v[67:68], v[73:74], v[75:76], v[67:68]
	s_andn2_b64 exec, exec, s[4:5]
	s_cbranch_execnz .LBB96_193
; %bb.194:
	s_or_b64 exec, exec, s[4:5]
.LBB96_195:
	s_or_b64 exec, exec, s[12:13]
	v_mov_b32_e32 v72, 0
	ds_read_b64 v[72:73], v72 offset:96
	s_waitcnt lgkmcnt(0)
	v_mul_f64 v[67:68], v[67:68], v[72:73]
	buffer_store_dword v68, off, s[0:3], 0 offset:100
	buffer_store_dword v67, off, s[0:3], 0 offset:96
.LBB96_196:
	s_or_b64 exec, exec, s[8:9]
	buffer_load_dword v67, off, s[0:3], 0 offset:88
	buffer_load_dword v68, off, s[0:3], 0 offset:92
	v_cmp_lt_u32_e64 s[4:5], 11, v0
	s_waitcnt vmcnt(0)
	ds_write_b64 v70, v[67:68]
	s_waitcnt lgkmcnt(0)
	; wave barrier
	s_and_saveexec_b64 s[8:9], s[4:5]
	s_cbranch_execz .LBB96_206
; %bb.197:
	s_andn2_b64 vcc, exec, s[10:11]
	s_cbranch_vccnz .LBB96_199
; %bb.198:
	buffer_load_dword v67, v71, s[0:3], 0 offen
	buffer_load_dword v68, v71, s[0:3], 0 offen offset:4
	ds_read_b64 v[72:73], v70
	s_waitcnt vmcnt(0) lgkmcnt(0)
	v_mul_f64 v[67:68], v[67:68], v[72:73]
	s_cbranch_execz .LBB96_200
	s_branch .LBB96_201
.LBB96_199:
                                        ; implicit-def: $vgpr67_vgpr68
.LBB96_200:
	ds_read_b64 v[67:68], v70
.LBB96_201:
	s_and_saveexec_b64 s[12:13], s[6:7]
	s_cbranch_execz .LBB96_205
; %bb.202:
	v_add_u32_e32 v72, -12, v0
	s_movk_i32 s26, 0x170
	s_mov_b64 s[6:7], 0
.LBB96_203:                             ; =>This Inner Loop Header: Depth=1
	v_mov_b32_e32 v75, s25
	buffer_load_dword v73, v75, s[0:3], 0 offen
	buffer_load_dword v74, v75, s[0:3], 0 offen offset:4
	v_mov_b32_e32 v75, s26
	ds_read_b64 v[75:76], v75
	v_add_u32_e32 v72, -1, v72
	s_add_i32 s26, s26, 8
	s_add_i32 s25, s25, 8
	v_cmp_eq_u32_e32 vcc, 0, v72
	s_or_b64 s[6:7], vcc, s[6:7]
	s_waitcnt vmcnt(0) lgkmcnt(0)
	v_fma_f64 v[67:68], v[73:74], v[75:76], v[67:68]
	s_andn2_b64 exec, exec, s[6:7]
	s_cbranch_execnz .LBB96_203
; %bb.204:
	s_or_b64 exec, exec, s[6:7]
.LBB96_205:
	s_or_b64 exec, exec, s[12:13]
	v_mov_b32_e32 v72, 0
	ds_read_b64 v[72:73], v72 offset:88
	s_waitcnt lgkmcnt(0)
	v_mul_f64 v[67:68], v[67:68], v[72:73]
	buffer_store_dword v68, off, s[0:3], 0 offset:92
	buffer_store_dword v67, off, s[0:3], 0 offset:88
.LBB96_206:
	s_or_b64 exec, exec, s[8:9]
	buffer_load_dword v67, off, s[0:3], 0 offset:80
	buffer_load_dword v68, off, s[0:3], 0 offset:84
	v_cmp_lt_u32_e64 s[6:7], 10, v0
	s_waitcnt vmcnt(0)
	ds_write_b64 v70, v[67:68]
	s_waitcnt lgkmcnt(0)
	; wave barrier
	s_and_saveexec_b64 s[8:9], s[6:7]
	s_cbranch_execz .LBB96_216
; %bb.207:
	s_andn2_b64 vcc, exec, s[10:11]
	s_cbranch_vccnz .LBB96_209
; %bb.208:
	buffer_load_dword v67, v71, s[0:3], 0 offen
	buffer_load_dword v68, v71, s[0:3], 0 offen offset:4
	ds_read_b64 v[72:73], v70
	s_waitcnt vmcnt(0) lgkmcnt(0)
	v_mul_f64 v[67:68], v[67:68], v[72:73]
	s_cbranch_execz .LBB96_210
	s_branch .LBB96_211
.LBB96_209:
                                        ; implicit-def: $vgpr67_vgpr68
.LBB96_210:
	ds_read_b64 v[67:68], v70
.LBB96_211:
	s_and_saveexec_b64 s[12:13], s[4:5]
	s_cbranch_execz .LBB96_215
; %bb.212:
	v_add_u32_e32 v72, -11, v0
	s_movk_i32 s25, 0x168
	s_mov_b64 s[4:5], 0
.LBB96_213:                             ; =>This Inner Loop Header: Depth=1
	v_mov_b32_e32 v75, s24
	buffer_load_dword v73, v75, s[0:3], 0 offen
	buffer_load_dword v74, v75, s[0:3], 0 offen offset:4
	v_mov_b32_e32 v75, s25
	ds_read_b64 v[75:76], v75
	v_add_u32_e32 v72, -1, v72
	s_add_i32 s25, s25, 8
	s_add_i32 s24, s24, 8
	v_cmp_eq_u32_e32 vcc, 0, v72
	s_or_b64 s[4:5], vcc, s[4:5]
	s_waitcnt vmcnt(0) lgkmcnt(0)
	v_fma_f64 v[67:68], v[73:74], v[75:76], v[67:68]
	s_andn2_b64 exec, exec, s[4:5]
	s_cbranch_execnz .LBB96_213
; %bb.214:
	s_or_b64 exec, exec, s[4:5]
.LBB96_215:
	s_or_b64 exec, exec, s[12:13]
	v_mov_b32_e32 v72, 0
	ds_read_b64 v[72:73], v72 offset:80
	s_waitcnt lgkmcnt(0)
	v_mul_f64 v[67:68], v[67:68], v[72:73]
	buffer_store_dword v68, off, s[0:3], 0 offset:84
	buffer_store_dword v67, off, s[0:3], 0 offset:80
.LBB96_216:
	s_or_b64 exec, exec, s[8:9]
	buffer_load_dword v67, off, s[0:3], 0 offset:72
	buffer_load_dword v68, off, s[0:3], 0 offset:76
	v_cmp_lt_u32_e64 s[4:5], 9, v0
	s_waitcnt vmcnt(0)
	ds_write_b64 v70, v[67:68]
	s_waitcnt lgkmcnt(0)
	; wave barrier
	s_and_saveexec_b64 s[8:9], s[4:5]
	s_cbranch_execz .LBB96_226
; %bb.217:
	s_andn2_b64 vcc, exec, s[10:11]
	s_cbranch_vccnz .LBB96_219
; %bb.218:
	buffer_load_dword v67, v71, s[0:3], 0 offen
	buffer_load_dword v68, v71, s[0:3], 0 offen offset:4
	ds_read_b64 v[72:73], v70
	s_waitcnt vmcnt(0) lgkmcnt(0)
	v_mul_f64 v[67:68], v[67:68], v[72:73]
	s_cbranch_execz .LBB96_220
	s_branch .LBB96_221
.LBB96_219:
                                        ; implicit-def: $vgpr67_vgpr68
.LBB96_220:
	ds_read_b64 v[67:68], v70
.LBB96_221:
	s_and_saveexec_b64 s[12:13], s[6:7]
	s_cbranch_execz .LBB96_225
; %bb.222:
	v_add_u32_e32 v72, -10, v0
	s_movk_i32 s24, 0x160
	s_mov_b64 s[6:7], 0
.LBB96_223:                             ; =>This Inner Loop Header: Depth=1
	v_mov_b32_e32 v75, s23
	buffer_load_dword v73, v75, s[0:3], 0 offen
	buffer_load_dword v74, v75, s[0:3], 0 offen offset:4
	v_mov_b32_e32 v75, s24
	ds_read_b64 v[75:76], v75
	v_add_u32_e32 v72, -1, v72
	s_add_i32 s24, s24, 8
	s_add_i32 s23, s23, 8
	v_cmp_eq_u32_e32 vcc, 0, v72
	s_or_b64 s[6:7], vcc, s[6:7]
	s_waitcnt vmcnt(0) lgkmcnt(0)
	v_fma_f64 v[67:68], v[73:74], v[75:76], v[67:68]
	s_andn2_b64 exec, exec, s[6:7]
	s_cbranch_execnz .LBB96_223
; %bb.224:
	s_or_b64 exec, exec, s[6:7]
.LBB96_225:
	s_or_b64 exec, exec, s[12:13]
	v_mov_b32_e32 v72, 0
	ds_read_b64 v[72:73], v72 offset:72
	s_waitcnt lgkmcnt(0)
	v_mul_f64 v[67:68], v[67:68], v[72:73]
	buffer_store_dword v68, off, s[0:3], 0 offset:76
	buffer_store_dword v67, off, s[0:3], 0 offset:72
.LBB96_226:
	s_or_b64 exec, exec, s[8:9]
	buffer_load_dword v67, off, s[0:3], 0 offset:64
	buffer_load_dword v68, off, s[0:3], 0 offset:68
	v_cmp_lt_u32_e64 s[6:7], 8, v0
	s_waitcnt vmcnt(0)
	ds_write_b64 v70, v[67:68]
	s_waitcnt lgkmcnt(0)
	; wave barrier
	s_and_saveexec_b64 s[8:9], s[6:7]
	s_cbranch_execz .LBB96_236
; %bb.227:
	s_andn2_b64 vcc, exec, s[10:11]
	s_cbranch_vccnz .LBB96_229
; %bb.228:
	buffer_load_dword v67, v71, s[0:3], 0 offen
	buffer_load_dword v68, v71, s[0:3], 0 offen offset:4
	ds_read_b64 v[72:73], v70
	s_waitcnt vmcnt(0) lgkmcnt(0)
	v_mul_f64 v[67:68], v[67:68], v[72:73]
	s_cbranch_execz .LBB96_230
	s_branch .LBB96_231
.LBB96_229:
                                        ; implicit-def: $vgpr67_vgpr68
.LBB96_230:
	ds_read_b64 v[67:68], v70
.LBB96_231:
	s_and_saveexec_b64 s[12:13], s[4:5]
	s_cbranch_execz .LBB96_235
; %bb.232:
	v_add_u32_e32 v72, -9, v0
	s_movk_i32 s23, 0x158
	s_mov_b64 s[4:5], 0
.LBB96_233:                             ; =>This Inner Loop Header: Depth=1
	v_mov_b32_e32 v75, s22
	buffer_load_dword v73, v75, s[0:3], 0 offen
	buffer_load_dword v74, v75, s[0:3], 0 offen offset:4
	v_mov_b32_e32 v75, s23
	ds_read_b64 v[75:76], v75
	v_add_u32_e32 v72, -1, v72
	s_add_i32 s23, s23, 8
	s_add_i32 s22, s22, 8
	v_cmp_eq_u32_e32 vcc, 0, v72
	s_or_b64 s[4:5], vcc, s[4:5]
	s_waitcnt vmcnt(0) lgkmcnt(0)
	v_fma_f64 v[67:68], v[73:74], v[75:76], v[67:68]
	s_andn2_b64 exec, exec, s[4:5]
	s_cbranch_execnz .LBB96_233
; %bb.234:
	s_or_b64 exec, exec, s[4:5]
.LBB96_235:
	s_or_b64 exec, exec, s[12:13]
	v_mov_b32_e32 v72, 0
	ds_read_b64 v[72:73], v72 offset:64
	s_waitcnt lgkmcnt(0)
	v_mul_f64 v[67:68], v[67:68], v[72:73]
	buffer_store_dword v68, off, s[0:3], 0 offset:68
	buffer_store_dword v67, off, s[0:3], 0 offset:64
.LBB96_236:
	s_or_b64 exec, exec, s[8:9]
	buffer_load_dword v67, off, s[0:3], 0 offset:56
	buffer_load_dword v68, off, s[0:3], 0 offset:60
	v_cmp_lt_u32_e64 s[4:5], 7, v0
	s_waitcnt vmcnt(0)
	ds_write_b64 v70, v[67:68]
	s_waitcnt lgkmcnt(0)
	; wave barrier
	s_and_saveexec_b64 s[8:9], s[4:5]
	s_cbranch_execz .LBB96_246
; %bb.237:
	s_andn2_b64 vcc, exec, s[10:11]
	s_cbranch_vccnz .LBB96_239
; %bb.238:
	buffer_load_dword v67, v71, s[0:3], 0 offen
	buffer_load_dword v68, v71, s[0:3], 0 offen offset:4
	ds_read_b64 v[72:73], v70
	s_waitcnt vmcnt(0) lgkmcnt(0)
	v_mul_f64 v[67:68], v[67:68], v[72:73]
	s_cbranch_execz .LBB96_240
	s_branch .LBB96_241
.LBB96_239:
                                        ; implicit-def: $vgpr67_vgpr68
.LBB96_240:
	ds_read_b64 v[67:68], v70
.LBB96_241:
	s_and_saveexec_b64 s[12:13], s[6:7]
	s_cbranch_execz .LBB96_245
; %bb.242:
	v_add_u32_e32 v72, -8, v0
	s_movk_i32 s22, 0x150
	s_mov_b64 s[6:7], 0
.LBB96_243:                             ; =>This Inner Loop Header: Depth=1
	v_mov_b32_e32 v75, s21
	buffer_load_dword v73, v75, s[0:3], 0 offen
	buffer_load_dword v74, v75, s[0:3], 0 offen offset:4
	v_mov_b32_e32 v75, s22
	ds_read_b64 v[75:76], v75
	v_add_u32_e32 v72, -1, v72
	s_add_i32 s22, s22, 8
	s_add_i32 s21, s21, 8
	v_cmp_eq_u32_e32 vcc, 0, v72
	s_or_b64 s[6:7], vcc, s[6:7]
	s_waitcnt vmcnt(0) lgkmcnt(0)
	v_fma_f64 v[67:68], v[73:74], v[75:76], v[67:68]
	s_andn2_b64 exec, exec, s[6:7]
	s_cbranch_execnz .LBB96_243
; %bb.244:
	s_or_b64 exec, exec, s[6:7]
.LBB96_245:
	s_or_b64 exec, exec, s[12:13]
	v_mov_b32_e32 v72, 0
	ds_read_b64 v[72:73], v72 offset:56
	s_waitcnt lgkmcnt(0)
	v_mul_f64 v[67:68], v[67:68], v[72:73]
	buffer_store_dword v68, off, s[0:3], 0 offset:60
	buffer_store_dword v67, off, s[0:3], 0 offset:56
.LBB96_246:
	s_or_b64 exec, exec, s[8:9]
	buffer_load_dword v67, off, s[0:3], 0 offset:48
	buffer_load_dword v68, off, s[0:3], 0 offset:52
	v_cmp_lt_u32_e64 s[6:7], 6, v0
	s_waitcnt vmcnt(0)
	ds_write_b64 v70, v[67:68]
	s_waitcnt lgkmcnt(0)
	; wave barrier
	s_and_saveexec_b64 s[8:9], s[6:7]
	s_cbranch_execz .LBB96_256
; %bb.247:
	s_andn2_b64 vcc, exec, s[10:11]
	s_cbranch_vccnz .LBB96_249
; %bb.248:
	buffer_load_dword v67, v71, s[0:3], 0 offen
	buffer_load_dword v68, v71, s[0:3], 0 offen offset:4
	ds_read_b64 v[72:73], v70
	s_waitcnt vmcnt(0) lgkmcnt(0)
	v_mul_f64 v[67:68], v[67:68], v[72:73]
	s_cbranch_execz .LBB96_250
	s_branch .LBB96_251
.LBB96_249:
                                        ; implicit-def: $vgpr67_vgpr68
.LBB96_250:
	ds_read_b64 v[67:68], v70
.LBB96_251:
	s_and_saveexec_b64 s[12:13], s[4:5]
	s_cbranch_execz .LBB96_255
; %bb.252:
	v_add_u32_e32 v72, -7, v0
	s_movk_i32 s21, 0x148
	s_mov_b64 s[4:5], 0
.LBB96_253:                             ; =>This Inner Loop Header: Depth=1
	v_mov_b32_e32 v75, s20
	buffer_load_dword v73, v75, s[0:3], 0 offen
	buffer_load_dword v74, v75, s[0:3], 0 offen offset:4
	v_mov_b32_e32 v75, s21
	ds_read_b64 v[75:76], v75
	v_add_u32_e32 v72, -1, v72
	s_add_i32 s21, s21, 8
	s_add_i32 s20, s20, 8
	v_cmp_eq_u32_e32 vcc, 0, v72
	s_or_b64 s[4:5], vcc, s[4:5]
	s_waitcnt vmcnt(0) lgkmcnt(0)
	v_fma_f64 v[67:68], v[73:74], v[75:76], v[67:68]
	s_andn2_b64 exec, exec, s[4:5]
	s_cbranch_execnz .LBB96_253
; %bb.254:
	s_or_b64 exec, exec, s[4:5]
.LBB96_255:
	s_or_b64 exec, exec, s[12:13]
	v_mov_b32_e32 v72, 0
	ds_read_b64 v[72:73], v72 offset:48
	s_waitcnt lgkmcnt(0)
	v_mul_f64 v[67:68], v[67:68], v[72:73]
	buffer_store_dword v68, off, s[0:3], 0 offset:52
	buffer_store_dword v67, off, s[0:3], 0 offset:48
.LBB96_256:
	s_or_b64 exec, exec, s[8:9]
	buffer_load_dword v67, off, s[0:3], 0 offset:40
	buffer_load_dword v68, off, s[0:3], 0 offset:44
	v_cmp_lt_u32_e64 s[4:5], 5, v0
	s_waitcnt vmcnt(0)
	ds_write_b64 v70, v[67:68]
	s_waitcnt lgkmcnt(0)
	; wave barrier
	s_and_saveexec_b64 s[8:9], s[4:5]
	s_cbranch_execz .LBB96_266
; %bb.257:
	s_andn2_b64 vcc, exec, s[10:11]
	s_cbranch_vccnz .LBB96_259
; %bb.258:
	buffer_load_dword v67, v71, s[0:3], 0 offen
	buffer_load_dword v68, v71, s[0:3], 0 offen offset:4
	ds_read_b64 v[72:73], v70
	s_waitcnt vmcnt(0) lgkmcnt(0)
	v_mul_f64 v[67:68], v[67:68], v[72:73]
	s_cbranch_execz .LBB96_260
	s_branch .LBB96_261
.LBB96_259:
                                        ; implicit-def: $vgpr67_vgpr68
.LBB96_260:
	ds_read_b64 v[67:68], v70
.LBB96_261:
	s_and_saveexec_b64 s[12:13], s[6:7]
	s_cbranch_execz .LBB96_265
; %bb.262:
	v_add_u32_e32 v72, -6, v0
	s_movk_i32 s20, 0x140
	s_mov_b64 s[6:7], 0
.LBB96_263:                             ; =>This Inner Loop Header: Depth=1
	v_mov_b32_e32 v75, s19
	buffer_load_dword v73, v75, s[0:3], 0 offen
	buffer_load_dword v74, v75, s[0:3], 0 offen offset:4
	v_mov_b32_e32 v75, s20
	ds_read_b64 v[75:76], v75
	v_add_u32_e32 v72, -1, v72
	s_add_i32 s20, s20, 8
	s_add_i32 s19, s19, 8
	v_cmp_eq_u32_e32 vcc, 0, v72
	s_or_b64 s[6:7], vcc, s[6:7]
	s_waitcnt vmcnt(0) lgkmcnt(0)
	v_fma_f64 v[67:68], v[73:74], v[75:76], v[67:68]
	s_andn2_b64 exec, exec, s[6:7]
	s_cbranch_execnz .LBB96_263
; %bb.264:
	s_or_b64 exec, exec, s[6:7]
.LBB96_265:
	s_or_b64 exec, exec, s[12:13]
	v_mov_b32_e32 v72, 0
	ds_read_b64 v[72:73], v72 offset:40
	s_waitcnt lgkmcnt(0)
	v_mul_f64 v[67:68], v[67:68], v[72:73]
	buffer_store_dword v68, off, s[0:3], 0 offset:44
	buffer_store_dword v67, off, s[0:3], 0 offset:40
.LBB96_266:
	s_or_b64 exec, exec, s[8:9]
	buffer_load_dword v67, off, s[0:3], 0 offset:32
	buffer_load_dword v68, off, s[0:3], 0 offset:36
	v_cmp_lt_u32_e64 s[6:7], 4, v0
	s_waitcnt vmcnt(0)
	ds_write_b64 v70, v[67:68]
	s_waitcnt lgkmcnt(0)
	; wave barrier
	s_and_saveexec_b64 s[8:9], s[6:7]
	s_cbranch_execz .LBB96_276
; %bb.267:
	s_andn2_b64 vcc, exec, s[10:11]
	s_cbranch_vccnz .LBB96_269
; %bb.268:
	buffer_load_dword v67, v71, s[0:3], 0 offen
	buffer_load_dword v68, v71, s[0:3], 0 offen offset:4
	ds_read_b64 v[72:73], v70
	s_waitcnt vmcnt(0) lgkmcnt(0)
	v_mul_f64 v[67:68], v[67:68], v[72:73]
	s_cbranch_execz .LBB96_270
	s_branch .LBB96_271
.LBB96_269:
                                        ; implicit-def: $vgpr67_vgpr68
.LBB96_270:
	ds_read_b64 v[67:68], v70
.LBB96_271:
	s_and_saveexec_b64 s[12:13], s[4:5]
	s_cbranch_execz .LBB96_275
; %bb.272:
	v_add_u32_e32 v72, -5, v0
	s_movk_i32 s19, 0x138
	s_mov_b64 s[4:5], 0
.LBB96_273:                             ; =>This Inner Loop Header: Depth=1
	v_mov_b32_e32 v75, s18
	buffer_load_dword v73, v75, s[0:3], 0 offen
	buffer_load_dword v74, v75, s[0:3], 0 offen offset:4
	v_mov_b32_e32 v75, s19
	ds_read_b64 v[75:76], v75
	v_add_u32_e32 v72, -1, v72
	s_add_i32 s19, s19, 8
	s_add_i32 s18, s18, 8
	v_cmp_eq_u32_e32 vcc, 0, v72
	s_or_b64 s[4:5], vcc, s[4:5]
	s_waitcnt vmcnt(0) lgkmcnt(0)
	v_fma_f64 v[67:68], v[73:74], v[75:76], v[67:68]
	s_andn2_b64 exec, exec, s[4:5]
	s_cbranch_execnz .LBB96_273
; %bb.274:
	s_or_b64 exec, exec, s[4:5]
.LBB96_275:
	s_or_b64 exec, exec, s[12:13]
	v_mov_b32_e32 v72, 0
	ds_read_b64 v[72:73], v72 offset:32
	s_waitcnt lgkmcnt(0)
	v_mul_f64 v[67:68], v[67:68], v[72:73]
	buffer_store_dword v68, off, s[0:3], 0 offset:36
	buffer_store_dword v67, off, s[0:3], 0 offset:32
.LBB96_276:
	s_or_b64 exec, exec, s[8:9]
	buffer_load_dword v67, off, s[0:3], 0 offset:24
	buffer_load_dword v68, off, s[0:3], 0 offset:28
	v_cmp_lt_u32_e64 s[4:5], 3, v0
	s_waitcnt vmcnt(0)
	ds_write_b64 v70, v[67:68]
	s_waitcnt lgkmcnt(0)
	; wave barrier
	s_and_saveexec_b64 s[8:9], s[4:5]
	s_cbranch_execz .LBB96_286
; %bb.277:
	s_andn2_b64 vcc, exec, s[10:11]
	s_cbranch_vccnz .LBB96_279
; %bb.278:
	buffer_load_dword v67, v71, s[0:3], 0 offen
	buffer_load_dword v68, v71, s[0:3], 0 offen offset:4
	ds_read_b64 v[72:73], v70
	s_waitcnt vmcnt(0) lgkmcnt(0)
	v_mul_f64 v[67:68], v[67:68], v[72:73]
	s_cbranch_execz .LBB96_280
	s_branch .LBB96_281
.LBB96_279:
                                        ; implicit-def: $vgpr67_vgpr68
.LBB96_280:
	ds_read_b64 v[67:68], v70
.LBB96_281:
	s_and_saveexec_b64 s[12:13], s[6:7]
	s_cbranch_execz .LBB96_285
; %bb.282:
	v_add_u32_e32 v72, -4, v0
	s_movk_i32 s18, 0x130
	s_mov_b64 s[6:7], 0
.LBB96_283:                             ; =>This Inner Loop Header: Depth=1
	v_mov_b32_e32 v75, s17
	buffer_load_dword v73, v75, s[0:3], 0 offen
	buffer_load_dword v74, v75, s[0:3], 0 offen offset:4
	v_mov_b32_e32 v75, s18
	ds_read_b64 v[75:76], v75
	v_add_u32_e32 v72, -1, v72
	s_add_i32 s18, s18, 8
	s_add_i32 s17, s17, 8
	v_cmp_eq_u32_e32 vcc, 0, v72
	s_or_b64 s[6:7], vcc, s[6:7]
	s_waitcnt vmcnt(0) lgkmcnt(0)
	v_fma_f64 v[67:68], v[73:74], v[75:76], v[67:68]
	s_andn2_b64 exec, exec, s[6:7]
	s_cbranch_execnz .LBB96_283
; %bb.284:
	s_or_b64 exec, exec, s[6:7]
.LBB96_285:
	s_or_b64 exec, exec, s[12:13]
	v_mov_b32_e32 v72, 0
	ds_read_b64 v[72:73], v72 offset:24
	s_waitcnt lgkmcnt(0)
	v_mul_f64 v[67:68], v[67:68], v[72:73]
	buffer_store_dword v68, off, s[0:3], 0 offset:28
	buffer_store_dword v67, off, s[0:3], 0 offset:24
.LBB96_286:
	s_or_b64 exec, exec, s[8:9]
	buffer_load_dword v67, off, s[0:3], 0 offset:16
	buffer_load_dword v68, off, s[0:3], 0 offset:20
	v_cmp_lt_u32_e64 s[6:7], 2, v0
	s_waitcnt vmcnt(0)
	ds_write_b64 v70, v[67:68]
	s_waitcnt lgkmcnt(0)
	; wave barrier
	s_and_saveexec_b64 s[8:9], s[6:7]
	s_cbranch_execz .LBB96_296
; %bb.287:
	s_andn2_b64 vcc, exec, s[10:11]
	s_cbranch_vccnz .LBB96_289
; %bb.288:
	buffer_load_dword v67, v71, s[0:3], 0 offen
	buffer_load_dword v68, v71, s[0:3], 0 offen offset:4
	ds_read_b64 v[72:73], v70
	s_waitcnt vmcnt(0) lgkmcnt(0)
	v_mul_f64 v[67:68], v[67:68], v[72:73]
	s_cbranch_execz .LBB96_290
	s_branch .LBB96_291
.LBB96_289:
                                        ; implicit-def: $vgpr67_vgpr68
.LBB96_290:
	ds_read_b64 v[67:68], v70
.LBB96_291:
	s_and_saveexec_b64 s[12:13], s[4:5]
	s_cbranch_execz .LBB96_295
; %bb.292:
	v_add_u32_e32 v72, -3, v0
	s_movk_i32 s17, 0x128
	s_mov_b64 s[4:5], 0
.LBB96_293:                             ; =>This Inner Loop Header: Depth=1
	v_mov_b32_e32 v75, s16
	buffer_load_dword v73, v75, s[0:3], 0 offen
	buffer_load_dword v74, v75, s[0:3], 0 offen offset:4
	v_mov_b32_e32 v75, s17
	ds_read_b64 v[75:76], v75
	v_add_u32_e32 v72, -1, v72
	s_add_i32 s17, s17, 8
	s_add_i32 s16, s16, 8
	v_cmp_eq_u32_e32 vcc, 0, v72
	s_or_b64 s[4:5], vcc, s[4:5]
	s_waitcnt vmcnt(0) lgkmcnt(0)
	v_fma_f64 v[67:68], v[73:74], v[75:76], v[67:68]
	s_andn2_b64 exec, exec, s[4:5]
	s_cbranch_execnz .LBB96_293
; %bb.294:
	s_or_b64 exec, exec, s[4:5]
.LBB96_295:
	s_or_b64 exec, exec, s[12:13]
	v_mov_b32_e32 v72, 0
	ds_read_b64 v[72:73], v72 offset:16
	s_waitcnt lgkmcnt(0)
	v_mul_f64 v[67:68], v[67:68], v[72:73]
	buffer_store_dword v68, off, s[0:3], 0 offset:20
	buffer_store_dword v67, off, s[0:3], 0 offset:16
.LBB96_296:
	s_or_b64 exec, exec, s[8:9]
	buffer_load_dword v67, off, s[0:3], 0 offset:8
	buffer_load_dword v68, off, s[0:3], 0 offset:12
	v_cmp_lt_u32_e64 s[4:5], 1, v0
	s_waitcnt vmcnt(0)
	ds_write_b64 v70, v[67:68]
	s_waitcnt lgkmcnt(0)
	; wave barrier
	s_and_saveexec_b64 s[8:9], s[4:5]
	s_cbranch_execz .LBB96_306
; %bb.297:
	s_andn2_b64 vcc, exec, s[10:11]
	s_cbranch_vccnz .LBB96_299
; %bb.298:
	buffer_load_dword v67, v71, s[0:3], 0 offen
	buffer_load_dword v68, v71, s[0:3], 0 offen offset:4
	ds_read_b64 v[72:73], v70
	s_waitcnt vmcnt(0) lgkmcnt(0)
	v_mul_f64 v[67:68], v[67:68], v[72:73]
	s_cbranch_execz .LBB96_300
	s_branch .LBB96_301
.LBB96_299:
                                        ; implicit-def: $vgpr67_vgpr68
.LBB96_300:
	ds_read_b64 v[67:68], v70
.LBB96_301:
	s_and_saveexec_b64 s[12:13], s[6:7]
	s_cbranch_execz .LBB96_305
; %bb.302:
	v_add_u32_e32 v72, -2, v0
	s_movk_i32 s16, 0x120
	s_mov_b64 s[6:7], 0
.LBB96_303:                             ; =>This Inner Loop Header: Depth=1
	v_mov_b32_e32 v75, s15
	buffer_load_dword v73, v75, s[0:3], 0 offen
	buffer_load_dword v74, v75, s[0:3], 0 offen offset:4
	v_mov_b32_e32 v75, s16
	ds_read_b64 v[75:76], v75
	v_add_u32_e32 v72, -1, v72
	s_add_i32 s16, s16, 8
	s_add_i32 s15, s15, 8
	v_cmp_eq_u32_e32 vcc, 0, v72
	s_or_b64 s[6:7], vcc, s[6:7]
	s_waitcnt vmcnt(0) lgkmcnt(0)
	v_fma_f64 v[67:68], v[73:74], v[75:76], v[67:68]
	s_andn2_b64 exec, exec, s[6:7]
	s_cbranch_execnz .LBB96_303
; %bb.304:
	s_or_b64 exec, exec, s[6:7]
.LBB96_305:
	s_or_b64 exec, exec, s[12:13]
	v_mov_b32_e32 v72, 0
	ds_read_b64 v[72:73], v72 offset:8
	s_waitcnt lgkmcnt(0)
	v_mul_f64 v[67:68], v[67:68], v[72:73]
	buffer_store_dword v68, off, s[0:3], 0 offset:12
	buffer_store_dword v67, off, s[0:3], 0 offset:8
.LBB96_306:
	s_or_b64 exec, exec, s[8:9]
	buffer_load_dword v67, off, s[0:3], 0
	buffer_load_dword v68, off, s[0:3], 0 offset:4
	v_cmp_ne_u32_e32 vcc, 0, v0
	s_waitcnt vmcnt(0)
	ds_write_b64 v70, v[67:68]
	s_waitcnt lgkmcnt(0)
	; wave barrier
	s_and_saveexec_b64 s[6:7], vcc
	s_cbranch_execz .LBB96_316
; %bb.307:
	s_andn2_b64 vcc, exec, s[10:11]
	s_cbranch_vccnz .LBB96_309
; %bb.308:
	buffer_load_dword v67, v71, s[0:3], 0 offen
	buffer_load_dword v68, v71, s[0:3], 0 offen offset:4
	ds_read_b64 v[72:73], v70
	s_waitcnt vmcnt(0) lgkmcnt(0)
	v_mul_f64 v[67:68], v[67:68], v[72:73]
	s_cbranch_execz .LBB96_310
	s_branch .LBB96_311
.LBB96_309:
                                        ; implicit-def: $vgpr67_vgpr68
.LBB96_310:
	ds_read_b64 v[67:68], v70
.LBB96_311:
	s_and_saveexec_b64 s[8:9], s[4:5]
	s_cbranch_execz .LBB96_315
; %bb.312:
	v_add_u32_e32 v72, -1, v0
	s_movk_i32 s12, 0x118
	s_mov_b64 s[4:5], 0
.LBB96_313:                             ; =>This Inner Loop Header: Depth=1
	v_mov_b32_e32 v75, s14
	buffer_load_dword v73, v75, s[0:3], 0 offen
	buffer_load_dword v74, v75, s[0:3], 0 offen offset:4
	v_mov_b32_e32 v75, s12
	ds_read_b64 v[75:76], v75
	v_add_u32_e32 v72, -1, v72
	s_add_i32 s12, s12, 8
	s_add_i32 s14, s14, 8
	v_cmp_eq_u32_e32 vcc, 0, v72
	s_or_b64 s[4:5], vcc, s[4:5]
	s_waitcnt vmcnt(0) lgkmcnt(0)
	v_fma_f64 v[67:68], v[73:74], v[75:76], v[67:68]
	s_andn2_b64 exec, exec, s[4:5]
	s_cbranch_execnz .LBB96_313
; %bb.314:
	s_or_b64 exec, exec, s[4:5]
.LBB96_315:
	s_or_b64 exec, exec, s[8:9]
	v_mov_b32_e32 v72, 0
	ds_read_b64 v[72:73], v72
	s_waitcnt lgkmcnt(0)
	v_mul_f64 v[67:68], v[67:68], v[72:73]
	buffer_store_dword v68, off, s[0:3], 0 offset:4
	buffer_store_dword v67, off, s[0:3], 0
.LBB96_316:
	s_or_b64 exec, exec, s[6:7]
	s_mov_b64 s[4:5], 0
.LBB96_317:
	s_and_b64 vcc, exec, s[4:5]
	s_cbranch_vccz .LBB96_629
; %bb.318:
	buffer_load_dword v67, off, s[0:3], 0 offset:8
	buffer_load_dword v68, off, s[0:3], 0 offset:12
	v_cmp_eq_u32_e64 s[6:7], 0, v0
	s_waitcnt vmcnt(0)
	ds_write_b64 v70, v[67:68]
	s_waitcnt lgkmcnt(0)
	; wave barrier
	s_and_saveexec_b64 s[4:5], s[6:7]
	s_cbranch_execz .LBB96_324
; %bb.319:
	s_and_b64 vcc, exec, s[10:11]
	s_cbranch_vccz .LBB96_321
; %bb.320:
	buffer_load_dword v67, v71, s[0:3], 0 offen
	buffer_load_dword v68, v71, s[0:3], 0 offen offset:4
	ds_read_b64 v[72:73], v70
	s_waitcnt vmcnt(0) lgkmcnt(0)
	v_mul_f64 v[67:68], v[67:68], v[72:73]
	s_cbranch_execz .LBB96_322
	s_branch .LBB96_323
.LBB96_321:
                                        ; implicit-def: $vgpr67_vgpr68
.LBB96_322:
	ds_read_b64 v[67:68], v70
.LBB96_323:
	v_mov_b32_e32 v72, 0
	ds_read_b64 v[72:73], v72 offset:8
	s_waitcnt lgkmcnt(0)
	v_mul_f64 v[67:68], v[67:68], v[72:73]
	buffer_store_dword v68, off, s[0:3], 0 offset:12
	buffer_store_dword v67, off, s[0:3], 0 offset:8
.LBB96_324:
	s_or_b64 exec, exec, s[4:5]
	buffer_load_dword v67, off, s[0:3], 0 offset:16
	buffer_load_dword v68, off, s[0:3], 0 offset:20
	v_cndmask_b32_e64 v72, 0, 1, s[10:11]
	v_cmp_gt_u32_e32 vcc, 2, v0
	v_cmp_ne_u32_e64 s[4:5], 1, v72
	s_waitcnt vmcnt(0)
	ds_write_b64 v70, v[67:68]
	s_waitcnt lgkmcnt(0)
	; wave barrier
	s_and_saveexec_b64 s[8:9], vcc
	s_cbranch_execz .LBB96_330
; %bb.325:
	s_and_b64 vcc, exec, s[4:5]
	s_cbranch_vccnz .LBB96_327
; %bb.326:
	buffer_load_dword v67, v71, s[0:3], 0 offen
	buffer_load_dword v68, v71, s[0:3], 0 offen offset:4
	ds_read_b64 v[72:73], v70
	s_waitcnt vmcnt(0) lgkmcnt(0)
	v_mul_f64 v[67:68], v[67:68], v[72:73]
	s_cbranch_execz .LBB96_328
	s_branch .LBB96_329
.LBB96_327:
                                        ; implicit-def: $vgpr67_vgpr68
.LBB96_328:
	ds_read_b64 v[67:68], v70
.LBB96_329:
	buffer_load_dword v76, off, s[0:3], 0 offset:8
	buffer_load_dword v77, off, s[0:3], 0 offset:12
	v_mov_b32_e32 v72, 0
	ds_read2_b64 v[72:75], v72 offset0:2 offset1:35
	s_waitcnt vmcnt(0) lgkmcnt(0)
	v_fma_f64 v[74:75], v[76:77], v[74:75], v[67:68]
	v_cndmask_b32_e64 v68, v68, v75, s[6:7]
	v_cndmask_b32_e64 v67, v67, v74, s[6:7]
	v_mul_f64 v[67:68], v[67:68], v[72:73]
	buffer_store_dword v68, off, s[0:3], 0 offset:20
	buffer_store_dword v67, off, s[0:3], 0 offset:16
.LBB96_330:
	s_or_b64 exec, exec, s[8:9]
	buffer_load_dword v67, off, s[0:3], 0 offset:24
	buffer_load_dword v68, off, s[0:3], 0 offset:28
	v_cmp_gt_u32_e32 vcc, 3, v0
	s_waitcnt vmcnt(0)
	ds_write_b64 v70, v[67:68]
	s_waitcnt lgkmcnt(0)
	; wave barrier
	s_and_saveexec_b64 s[8:9], vcc
	s_cbranch_execz .LBB96_338
; %bb.331:
	s_and_b64 vcc, exec, s[4:5]
	s_cbranch_vccnz .LBB96_333
; %bb.332:
	buffer_load_dword v67, v71, s[0:3], 0 offen
	buffer_load_dword v68, v71, s[0:3], 0 offen offset:4
	ds_read_b64 v[72:73], v70
	s_waitcnt vmcnt(0) lgkmcnt(0)
	v_mul_f64 v[67:68], v[67:68], v[72:73]
	s_cbranch_execz .LBB96_334
	s_branch .LBB96_335
.LBB96_333:
                                        ; implicit-def: $vgpr67_vgpr68
.LBB96_334:
	ds_read_b64 v[67:68], v70
.LBB96_335:
	v_cmp_ne_u32_e32 vcc, 2, v0
	s_and_saveexec_b64 s[10:11], vcc
	s_cbranch_execz .LBB96_337
; %bb.336:
	buffer_load_dword v72, v71, s[0:3], 0 offen offset:8
	buffer_load_dword v73, v71, s[0:3], 0 offen offset:12
	buffer_load_dword v74, off, s[0:3], 0 offset:16
	buffer_load_dword v75, off, s[0:3], 0 offset:20
	ds_read_b64 v[76:77], v70 offset:8
	v_mov_b32_e32 v78, 0
	ds_read_b64 v[78:79], v78 offset:288
	s_waitcnt vmcnt(2) lgkmcnt(1)
	v_fma_f64 v[67:68], v[72:73], v[76:77], v[67:68]
	s_waitcnt vmcnt(0) lgkmcnt(0)
	v_fma_f64 v[72:73], v[74:75], v[78:79], v[67:68]
	v_cndmask_b32_e64 v68, v68, v73, s[6:7]
	v_cndmask_b32_e64 v67, v67, v72, s[6:7]
.LBB96_337:
	s_or_b64 exec, exec, s[10:11]
	v_mov_b32_e32 v72, 0
	ds_read_b64 v[72:73], v72 offset:24
	s_waitcnt lgkmcnt(0)
	v_mul_f64 v[67:68], v[67:68], v[72:73]
	buffer_store_dword v68, off, s[0:3], 0 offset:28
	buffer_store_dword v67, off, s[0:3], 0 offset:24
.LBB96_338:
	s_or_b64 exec, exec, s[8:9]
	buffer_load_dword v67, off, s[0:3], 0 offset:32
	buffer_load_dword v68, off, s[0:3], 0 offset:36
	v_cmp_gt_u32_e32 vcc, 4, v0
	s_waitcnt vmcnt(0)
	ds_write_b64 v70, v[67:68]
	s_waitcnt lgkmcnt(0)
	; wave barrier
	s_and_saveexec_b64 s[6:7], vcc
	s_cbranch_execz .LBB96_348
; %bb.339:
	s_and_b64 vcc, exec, s[4:5]
	s_cbranch_vccnz .LBB96_341
; %bb.340:
	buffer_load_dword v67, v71, s[0:3], 0 offen
	buffer_load_dword v68, v71, s[0:3], 0 offen offset:4
	ds_read_b64 v[72:73], v70
	s_waitcnt vmcnt(0) lgkmcnt(0)
	v_mul_f64 v[67:68], v[67:68], v[72:73]
	s_cbranch_execz .LBB96_342
	s_branch .LBB96_343
.LBB96_341:
                                        ; implicit-def: $vgpr67_vgpr68
.LBB96_342:
	ds_read_b64 v[67:68], v70
.LBB96_343:
	v_cmp_ne_u32_e32 vcc, 3, v0
	s_and_saveexec_b64 s[8:9], vcc
	s_cbranch_execz .LBB96_347
; %bb.344:
	s_mov_b32 s10, 0
	v_add_u32_e32 v72, 0x118, v69
	v_add3_u32 v73, v69, s10, 8
	s_mov_b64 s[10:11], 0
	v_mov_b32_e32 v74, v0
.LBB96_345:                             ; =>This Inner Loop Header: Depth=1
	buffer_load_dword v75, v73, s[0:3], 0 offen
	buffer_load_dword v76, v73, s[0:3], 0 offen offset:4
	ds_read_b64 v[77:78], v72
	v_add_u32_e32 v74, 1, v74
	v_cmp_lt_u32_e32 vcc, 2, v74
	v_add_u32_e32 v72, 8, v72
	s_or_b64 s[10:11], vcc, s[10:11]
	v_add_u32_e32 v73, 8, v73
	s_waitcnt vmcnt(0) lgkmcnt(0)
	v_fma_f64 v[67:68], v[75:76], v[77:78], v[67:68]
	s_andn2_b64 exec, exec, s[10:11]
	s_cbranch_execnz .LBB96_345
; %bb.346:
	s_or_b64 exec, exec, s[10:11]
.LBB96_347:
	s_or_b64 exec, exec, s[8:9]
	v_mov_b32_e32 v72, 0
	ds_read_b64 v[72:73], v72 offset:32
	s_waitcnt lgkmcnt(0)
	v_mul_f64 v[67:68], v[67:68], v[72:73]
	buffer_store_dword v68, off, s[0:3], 0 offset:36
	buffer_store_dword v67, off, s[0:3], 0 offset:32
.LBB96_348:
	s_or_b64 exec, exec, s[6:7]
	buffer_load_dword v67, off, s[0:3], 0 offset:40
	buffer_load_dword v68, off, s[0:3], 0 offset:44
	v_cmp_gt_u32_e32 vcc, 5, v0
	s_waitcnt vmcnt(0)
	ds_write_b64 v70, v[67:68]
	s_waitcnt lgkmcnt(0)
	; wave barrier
	s_and_saveexec_b64 s[6:7], vcc
	s_cbranch_execz .LBB96_358
; %bb.349:
	s_and_b64 vcc, exec, s[4:5]
	s_cbranch_vccnz .LBB96_351
; %bb.350:
	buffer_load_dword v67, v71, s[0:3], 0 offen
	buffer_load_dword v68, v71, s[0:3], 0 offen offset:4
	ds_read_b64 v[72:73], v70
	s_waitcnt vmcnt(0) lgkmcnt(0)
	v_mul_f64 v[67:68], v[67:68], v[72:73]
	s_cbranch_execz .LBB96_352
	s_branch .LBB96_353
.LBB96_351:
                                        ; implicit-def: $vgpr67_vgpr68
.LBB96_352:
	ds_read_b64 v[67:68], v70
.LBB96_353:
	v_cmp_ne_u32_e32 vcc, 4, v0
	s_and_saveexec_b64 s[8:9], vcc
	s_cbranch_execz .LBB96_357
; %bb.354:
	s_mov_b32 s10, 0
	v_add_u32_e32 v72, 0x118, v69
	v_add3_u32 v73, v69, s10, 8
	s_mov_b64 s[10:11], 0
	v_mov_b32_e32 v74, v0
.LBB96_355:                             ; =>This Inner Loop Header: Depth=1
	buffer_load_dword v75, v73, s[0:3], 0 offen
	buffer_load_dword v76, v73, s[0:3], 0 offen offset:4
	ds_read_b64 v[77:78], v72
	v_add_u32_e32 v74, 1, v74
	v_cmp_lt_u32_e32 vcc, 3, v74
	v_add_u32_e32 v72, 8, v72
	s_or_b64 s[10:11], vcc, s[10:11]
	v_add_u32_e32 v73, 8, v73
	s_waitcnt vmcnt(0) lgkmcnt(0)
	v_fma_f64 v[67:68], v[75:76], v[77:78], v[67:68]
	s_andn2_b64 exec, exec, s[10:11]
	s_cbranch_execnz .LBB96_355
; %bb.356:
	s_or_b64 exec, exec, s[10:11]
.LBB96_357:
	s_or_b64 exec, exec, s[8:9]
	v_mov_b32_e32 v72, 0
	ds_read_b64 v[72:73], v72 offset:40
	s_waitcnt lgkmcnt(0)
	v_mul_f64 v[67:68], v[67:68], v[72:73]
	buffer_store_dword v68, off, s[0:3], 0 offset:44
	buffer_store_dword v67, off, s[0:3], 0 offset:40
.LBB96_358:
	;; [unrolled: 59-line block ×27, first 2 shown]
	s_or_b64 exec, exec, s[6:7]
	buffer_load_dword v67, off, s[0:3], 0 offset:248
	buffer_load_dword v68, off, s[0:3], 0 offset:252
	v_cmp_gt_u32_e64 s[6:7], 31, v0
	s_waitcnt vmcnt(0)
	ds_write_b64 v70, v[67:68]
	s_waitcnt lgkmcnt(0)
	; wave barrier
	s_and_saveexec_b64 s[8:9], s[6:7]
	s_cbranch_execz .LBB96_618
; %bb.609:
	s_and_b64 vcc, exec, s[4:5]
	s_cbranch_vccnz .LBB96_611
; %bb.610:
	buffer_load_dword v67, v71, s[0:3], 0 offen
	buffer_load_dword v68, v71, s[0:3], 0 offen offset:4
	ds_read_b64 v[72:73], v70
	s_waitcnt vmcnt(0) lgkmcnt(0)
	v_mul_f64 v[67:68], v[67:68], v[72:73]
	s_cbranch_execz .LBB96_612
	s_branch .LBB96_613
.LBB96_611:
                                        ; implicit-def: $vgpr67_vgpr68
.LBB96_612:
	ds_read_b64 v[67:68], v70
.LBB96_613:
	v_cmp_ne_u32_e32 vcc, 30, v0
	s_and_saveexec_b64 s[10:11], vcc
	s_cbranch_execz .LBB96_617
; %bb.614:
	s_mov_b32 s12, 0
	v_add_u32_e32 v72, 0x118, v69
	v_add3_u32 v73, v69, s12, 8
	s_mov_b64 s[12:13], 0
	v_mov_b32_e32 v74, v0
.LBB96_615:                             ; =>This Inner Loop Header: Depth=1
	buffer_load_dword v75, v73, s[0:3], 0 offen
	buffer_load_dword v76, v73, s[0:3], 0 offen offset:4
	ds_read_b64 v[77:78], v72
	v_add_u32_e32 v74, 1, v74
	v_cmp_lt_u32_e32 vcc, 29, v74
	v_add_u32_e32 v72, 8, v72
	s_or_b64 s[12:13], vcc, s[12:13]
	v_add_u32_e32 v73, 8, v73
	s_waitcnt vmcnt(0) lgkmcnt(0)
	v_fma_f64 v[67:68], v[75:76], v[77:78], v[67:68]
	s_andn2_b64 exec, exec, s[12:13]
	s_cbranch_execnz .LBB96_615
; %bb.616:
	s_or_b64 exec, exec, s[12:13]
.LBB96_617:
	s_or_b64 exec, exec, s[10:11]
	v_mov_b32_e32 v72, 0
	ds_read_b64 v[72:73], v72 offset:248
	s_waitcnt lgkmcnt(0)
	v_mul_f64 v[67:68], v[67:68], v[72:73]
	buffer_store_dword v68, off, s[0:3], 0 offset:252
	buffer_store_dword v67, off, s[0:3], 0 offset:248
.LBB96_618:
	s_or_b64 exec, exec, s[8:9]
	buffer_load_dword v67, off, s[0:3], 0 offset:256
	buffer_load_dword v68, off, s[0:3], 0 offset:260
	v_cmp_ne_u32_e32 vcc, 32, v0
	s_waitcnt vmcnt(0)
	ds_write_b64 v70, v[67:68]
	s_waitcnt lgkmcnt(0)
	; wave barrier
	s_and_saveexec_b64 s[8:9], vcc
	s_cbranch_execz .LBB96_628
; %bb.619:
	s_and_b64 vcc, exec, s[4:5]
	s_cbranch_vccnz .LBB96_621
; %bb.620:
	buffer_load_dword v67, v71, s[0:3], 0 offen
	buffer_load_dword v68, v71, s[0:3], 0 offen offset:4
	ds_read_b64 v[71:72], v70
	s_waitcnt vmcnt(0) lgkmcnt(0)
	v_mul_f64 v[67:68], v[67:68], v[71:72]
	s_cbranch_execz .LBB96_622
	s_branch .LBB96_623
.LBB96_621:
                                        ; implicit-def: $vgpr67_vgpr68
.LBB96_622:
	ds_read_b64 v[67:68], v70
.LBB96_623:
	s_and_saveexec_b64 s[4:5], s[6:7]
	s_cbranch_execz .LBB96_627
; %bb.624:
	s_mov_b32 s6, 0
	v_add_u32_e32 v70, 0x118, v69
	v_add3_u32 v69, v69, s6, 8
	s_mov_b64 s[6:7], 0
.LBB96_625:                             ; =>This Inner Loop Header: Depth=1
	buffer_load_dword v71, v69, s[0:3], 0 offen
	buffer_load_dword v72, v69, s[0:3], 0 offen offset:4
	ds_read_b64 v[73:74], v70
	v_add_u32_e32 v0, 1, v0
	v_cmp_lt_u32_e32 vcc, 30, v0
	v_add_u32_e32 v70, 8, v70
	s_or_b64 s[6:7], vcc, s[6:7]
	v_add_u32_e32 v69, 8, v69
	s_waitcnt vmcnt(0) lgkmcnt(0)
	v_fma_f64 v[67:68], v[71:72], v[73:74], v[67:68]
	s_andn2_b64 exec, exec, s[6:7]
	s_cbranch_execnz .LBB96_625
; %bb.626:
	s_or_b64 exec, exec, s[6:7]
.LBB96_627:
	s_or_b64 exec, exec, s[4:5]
	v_mov_b32_e32 v0, 0
	ds_read_b64 v[69:70], v0 offset:256
	s_waitcnt lgkmcnt(0)
	v_mul_f64 v[67:68], v[67:68], v[69:70]
	buffer_store_dword v68, off, s[0:3], 0 offset:260
	buffer_store_dword v67, off, s[0:3], 0 offset:256
.LBB96_628:
	s_or_b64 exec, exec, s[8:9]
.LBB96_629:
	buffer_load_dword v67, off, s[0:3], 0
	buffer_load_dword v68, off, s[0:3], 0 offset:4
	s_waitcnt vmcnt(0)
	flat_store_dwordx2 v[1:2], v[67:68]
	buffer_load_dword v0, off, s[0:3], 0 offset:8
	s_nop 0
	buffer_load_dword v1, off, s[0:3], 0 offset:12
	s_waitcnt vmcnt(0)
	flat_store_dwordx2 v[3:4], v[0:1]
	buffer_load_dword v0, off, s[0:3], 0 offset:16
	s_nop 0
	;; [unrolled: 5-line block ×32, first 2 shown]
	buffer_load_dword v1, off, s[0:3], 0 offset:260
	s_waitcnt vmcnt(0)
	flat_store_dwordx2 v[65:66], v[0:1]
.LBB96_630:
	s_endpgm
	.section	.rodata,"a",@progbits
	.p2align	6, 0x0
	.amdhsa_kernel _ZN9rocsolver6v33100L18trti2_kernel_smallILi33EdPKPdEEv13rocblas_fill_17rocblas_diagonal_T1_iil
		.amdhsa_group_segment_fixed_size 536
		.amdhsa_private_segment_fixed_size 272
		.amdhsa_kernarg_size 32
		.amdhsa_user_sgpr_count 6
		.amdhsa_user_sgpr_private_segment_buffer 1
		.amdhsa_user_sgpr_dispatch_ptr 0
		.amdhsa_user_sgpr_queue_ptr 0
		.amdhsa_user_sgpr_kernarg_segment_ptr 1
		.amdhsa_user_sgpr_dispatch_id 0
		.amdhsa_user_sgpr_flat_scratch_init 0
		.amdhsa_user_sgpr_private_segment_size 0
		.amdhsa_uses_dynamic_stack 0
		.amdhsa_system_sgpr_private_segment_wavefront_offset 1
		.amdhsa_system_sgpr_workgroup_id_x 1
		.amdhsa_system_sgpr_workgroup_id_y 0
		.amdhsa_system_sgpr_workgroup_id_z 0
		.amdhsa_system_sgpr_workgroup_info 0
		.amdhsa_system_vgpr_workitem_id 0
		.amdhsa_next_free_vgpr 80
		.amdhsa_next_free_sgpr 46
		.amdhsa_reserve_vcc 1
		.amdhsa_reserve_flat_scratch 0
		.amdhsa_float_round_mode_32 0
		.amdhsa_float_round_mode_16_64 0
		.amdhsa_float_denorm_mode_32 3
		.amdhsa_float_denorm_mode_16_64 3
		.amdhsa_dx10_clamp 1
		.amdhsa_ieee_mode 1
		.amdhsa_fp16_overflow 0
		.amdhsa_exception_fp_ieee_invalid_op 0
		.amdhsa_exception_fp_denorm_src 0
		.amdhsa_exception_fp_ieee_div_zero 0
		.amdhsa_exception_fp_ieee_overflow 0
		.amdhsa_exception_fp_ieee_underflow 0
		.amdhsa_exception_fp_ieee_inexact 0
		.amdhsa_exception_int_div_zero 0
	.end_amdhsa_kernel
	.section	.text._ZN9rocsolver6v33100L18trti2_kernel_smallILi33EdPKPdEEv13rocblas_fill_17rocblas_diagonal_T1_iil,"axG",@progbits,_ZN9rocsolver6v33100L18trti2_kernel_smallILi33EdPKPdEEv13rocblas_fill_17rocblas_diagonal_T1_iil,comdat
.Lfunc_end96:
	.size	_ZN9rocsolver6v33100L18trti2_kernel_smallILi33EdPKPdEEv13rocblas_fill_17rocblas_diagonal_T1_iil, .Lfunc_end96-_ZN9rocsolver6v33100L18trti2_kernel_smallILi33EdPKPdEEv13rocblas_fill_17rocblas_diagonal_T1_iil
                                        ; -- End function
	.set _ZN9rocsolver6v33100L18trti2_kernel_smallILi33EdPKPdEEv13rocblas_fill_17rocblas_diagonal_T1_iil.num_vgpr, 80
	.set _ZN9rocsolver6v33100L18trti2_kernel_smallILi33EdPKPdEEv13rocblas_fill_17rocblas_diagonal_T1_iil.num_agpr, 0
	.set _ZN9rocsolver6v33100L18trti2_kernel_smallILi33EdPKPdEEv13rocblas_fill_17rocblas_diagonal_T1_iil.numbered_sgpr, 46
	.set _ZN9rocsolver6v33100L18trti2_kernel_smallILi33EdPKPdEEv13rocblas_fill_17rocblas_diagonal_T1_iil.num_named_barrier, 0
	.set _ZN9rocsolver6v33100L18trti2_kernel_smallILi33EdPKPdEEv13rocblas_fill_17rocblas_diagonal_T1_iil.private_seg_size, 272
	.set _ZN9rocsolver6v33100L18trti2_kernel_smallILi33EdPKPdEEv13rocblas_fill_17rocblas_diagonal_T1_iil.uses_vcc, 1
	.set _ZN9rocsolver6v33100L18trti2_kernel_smallILi33EdPKPdEEv13rocblas_fill_17rocblas_diagonal_T1_iil.uses_flat_scratch, 0
	.set _ZN9rocsolver6v33100L18trti2_kernel_smallILi33EdPKPdEEv13rocblas_fill_17rocblas_diagonal_T1_iil.has_dyn_sized_stack, 0
	.set _ZN9rocsolver6v33100L18trti2_kernel_smallILi33EdPKPdEEv13rocblas_fill_17rocblas_diagonal_T1_iil.has_recursion, 0
	.set _ZN9rocsolver6v33100L18trti2_kernel_smallILi33EdPKPdEEv13rocblas_fill_17rocblas_diagonal_T1_iil.has_indirect_call, 0
	.section	.AMDGPU.csdata,"",@progbits
; Kernel info:
; codeLenInByte = 19364
; TotalNumSgprs: 50
; NumVgprs: 80
; ScratchSize: 272
; MemoryBound: 0
; FloatMode: 240
; IeeeMode: 1
; LDSByteSize: 536 bytes/workgroup (compile time only)
; SGPRBlocks: 6
; VGPRBlocks: 19
; NumSGPRsForWavesPerEU: 50
; NumVGPRsForWavesPerEU: 80
; Occupancy: 3
; WaveLimiterHint : 1
; COMPUTE_PGM_RSRC2:SCRATCH_EN: 1
; COMPUTE_PGM_RSRC2:USER_SGPR: 6
; COMPUTE_PGM_RSRC2:TRAP_HANDLER: 0
; COMPUTE_PGM_RSRC2:TGID_X_EN: 1
; COMPUTE_PGM_RSRC2:TGID_Y_EN: 0
; COMPUTE_PGM_RSRC2:TGID_Z_EN: 0
; COMPUTE_PGM_RSRC2:TIDIG_COMP_CNT: 0
	.section	.text._ZN9rocsolver6v33100L18trti2_kernel_smallILi34EdPKPdEEv13rocblas_fill_17rocblas_diagonal_T1_iil,"axG",@progbits,_ZN9rocsolver6v33100L18trti2_kernel_smallILi34EdPKPdEEv13rocblas_fill_17rocblas_diagonal_T1_iil,comdat
	.globl	_ZN9rocsolver6v33100L18trti2_kernel_smallILi34EdPKPdEEv13rocblas_fill_17rocblas_diagonal_T1_iil ; -- Begin function _ZN9rocsolver6v33100L18trti2_kernel_smallILi34EdPKPdEEv13rocblas_fill_17rocblas_diagonal_T1_iil
	.p2align	8
	.type	_ZN9rocsolver6v33100L18trti2_kernel_smallILi34EdPKPdEEv13rocblas_fill_17rocblas_diagonal_T1_iil,@function
_ZN9rocsolver6v33100L18trti2_kernel_smallILi34EdPKPdEEv13rocblas_fill_17rocblas_diagonal_T1_iil: ; @_ZN9rocsolver6v33100L18trti2_kernel_smallILi34EdPKPdEEv13rocblas_fill_17rocblas_diagonal_T1_iil
; %bb.0:
	s_add_u32 s0, s0, s7
	s_addc_u32 s1, s1, 0
	v_cmp_gt_u32_e32 vcc, 34, v0
	s_and_saveexec_b64 s[8:9], vcc
	s_cbranch_execz .LBB97_650
; %bb.1:
	s_load_dwordx2 s[12:13], s[4:5], 0x10
	s_load_dwordx4 s[8:11], s[4:5], 0x0
	s_ashr_i32 s7, s6, 31
	s_lshl_b64 s[6:7], s[6:7], 3
	v_lshlrev_b32_e32 v71, 3, v0
	s_waitcnt lgkmcnt(0)
	s_ashr_i32 s5, s12, 31
	s_add_u32 s6, s10, s6
	s_addc_u32 s7, s11, s7
	s_load_dwordx2 s[6:7], s[6:7], 0x0
	s_mov_b32 s4, s12
	s_lshl_b64 s[4:5], s[4:5], 3
	s_waitcnt lgkmcnt(0)
	s_add_u32 s4, s6, s4
	s_addc_u32 s5, s7, s5
	v_mov_b32_e32 v2, s5
	v_add_co_u32_e32 v1, vcc, s4, v71
	v_addc_co_u32_e32 v2, vcc, 0, v2, vcc
	flat_load_dwordx2 v[5:6], v[1:2]
	s_mov_b32 s6, s13
	s_ashr_i32 s7, s13, 31
	s_lshl_b64 s[6:7], s[6:7], 3
	v_mov_b32_e32 v4, s7
	v_add_co_u32_e32 v3, vcc, s6, v1
	v_addc_co_u32_e32 v4, vcc, v2, v4, vcc
	s_add_i32 s6, s13, s13
	v_add_u32_e32 v9, s6, v0
	v_ashrrev_i32_e32 v10, 31, v9
	v_mov_b32_e32 v11, s5
	v_add_u32_e32 v12, s13, v9
	v_ashrrev_i32_e32 v13, 31, v12
	v_mov_b32_e32 v14, s5
	v_mov_b32_e32 v15, s5
	;; [unrolled: 1-line block ×30, first 2 shown]
	s_cmpk_lg_i32 s9, 0x84
	s_cselect_b64 s[10:11], -1, 0
	s_cmpk_eq_i32 s9, 0x84
	s_waitcnt vmcnt(0) lgkmcnt(0)
	buffer_store_dword v6, off, s[0:3], 0 offset:4
	buffer_store_dword v5, off, s[0:3], 0
	flat_load_dwordx2 v[7:8], v[3:4]
	v_lshlrev_b64 v[5:6], 3, v[9:10]
	s_waitcnt vmcnt(0) lgkmcnt(0)
	buffer_store_dword v8, off, s[0:3], 0 offset:12
	buffer_store_dword v7, off, s[0:3], 0 offset:8
	v_add_co_u32_e32 v5, vcc, s4, v5
	v_addc_co_u32_e32 v6, vcc, v11, v6, vcc
	flat_load_dwordx2 v[10:11], v[5:6]
	v_lshlrev_b64 v[7:8], 3, v[12:13]
	s_waitcnt vmcnt(0) lgkmcnt(0)
	buffer_store_dword v11, off, s[0:3], 0 offset:20
	buffer_store_dword v10, off, s[0:3], 0 offset:16
	v_add_co_u32_e32 v7, vcc, s4, v7
	v_addc_co_u32_e32 v8, vcc, v14, v8, vcc
	flat_load_dwordx2 v[13:14], v[7:8]
	v_add_u32_e32 v11, s13, v12
	v_ashrrev_i32_e32 v12, 31, v11
	v_lshlrev_b64 v[9:10], 3, v[11:12]
	s_waitcnt vmcnt(0) lgkmcnt(0)
	buffer_store_dword v14, off, s[0:3], 0 offset:28
	buffer_store_dword v13, off, s[0:3], 0 offset:24
	v_add_co_u32_e32 v9, vcc, s4, v9
	v_addc_co_u32_e32 v10, vcc, v15, v10, vcc
	flat_load_dwordx2 v[13:14], v[9:10]
	v_add_u32_e32 v15, s13, v11
	v_ashrrev_i32_e32 v16, 31, v15
	v_lshlrev_b64 v[11:12], 3, v[15:16]
	v_add_u32_e32 v18, s13, v15
	v_add_co_u32_e32 v11, vcc, s4, v11
	v_addc_co_u32_e32 v12, vcc, v17, v12, vcc
	v_ashrrev_i32_e32 v19, 31, v18
	s_waitcnt vmcnt(0) lgkmcnt(0)
	buffer_store_dword v14, off, s[0:3], 0 offset:36
	buffer_store_dword v13, off, s[0:3], 0 offset:32
	flat_load_dwordx2 v[16:17], v[11:12]
	v_lshlrev_b64 v[13:14], 3, v[18:19]
	s_waitcnt vmcnt(0) lgkmcnt(0)
	buffer_store_dword v17, off, s[0:3], 0 offset:44
	buffer_store_dword v16, off, s[0:3], 0 offset:40
	v_add_co_u32_e32 v13, vcc, s4, v13
	v_addc_co_u32_e32 v14, vcc, v20, v14, vcc
	flat_load_dwordx2 v[19:20], v[13:14]
	v_add_u32_e32 v17, s13, v18
	v_ashrrev_i32_e32 v18, 31, v17
	v_lshlrev_b64 v[15:16], 3, v[17:18]
	s_waitcnt vmcnt(0) lgkmcnt(0)
	buffer_store_dword v20, off, s[0:3], 0 offset:52
	buffer_store_dword v19, off, s[0:3], 0 offset:48
	v_add_co_u32_e32 v15, vcc, s4, v15
	v_addc_co_u32_e32 v16, vcc, v21, v16, vcc
	flat_load_dwordx2 v[19:20], v[15:16]
	v_add_u32_e32 v21, s13, v17
	v_ashrrev_i32_e32 v22, 31, v21
	v_lshlrev_b64 v[17:18], 3, v[21:22]
	v_add_u32_e32 v24, s13, v21
	v_add_co_u32_e32 v17, vcc, s4, v17
	v_addc_co_u32_e32 v18, vcc, v23, v18, vcc
	v_ashrrev_i32_e32 v25, 31, v24
	s_waitcnt vmcnt(0) lgkmcnt(0)
	buffer_store_dword v20, off, s[0:3], 0 offset:60
	buffer_store_dword v19, off, s[0:3], 0 offset:56
	;; [unrolled: 27-line block ×7, first 2 shown]
	flat_load_dwordx2 v[52:53], v[47:48]
	v_lshlrev_b64 v[49:50], 3, v[54:55]
	s_waitcnt vmcnt(0) lgkmcnt(0)
	buffer_store_dword v53, off, s[0:3], 0 offset:188
	buffer_store_dword v52, off, s[0:3], 0 offset:184
	v_add_co_u32_e32 v49, vcc, s4, v49
	v_addc_co_u32_e32 v50, vcc, v56, v50, vcc
	flat_load_dwordx2 v[55:56], v[49:50]
	v_add_u32_e32 v53, s13, v54
	v_ashrrev_i32_e32 v54, 31, v53
	v_lshlrev_b64 v[51:52], 3, v[53:54]
	s_waitcnt vmcnt(0) lgkmcnt(0)
	buffer_store_dword v56, off, s[0:3], 0 offset:196
	buffer_store_dword v55, off, s[0:3], 0 offset:192
	v_add_co_u32_e32 v51, vcc, s4, v51
	v_addc_co_u32_e32 v52, vcc, v57, v52, vcc
	flat_load_dwordx2 v[55:56], v[51:52]
	v_add_u32_e32 v57, s13, v53
	v_ashrrev_i32_e32 v58, 31, v57
	v_lshlrev_b64 v[53:54], 3, v[57:58]
	v_add_u32_e32 v60, s13, v57
	v_add_co_u32_e32 v53, vcc, s4, v53
	v_addc_co_u32_e32 v54, vcc, v59, v54, vcc
	s_waitcnt vmcnt(0) lgkmcnt(0)
	buffer_store_dword v56, off, s[0:3], 0 offset:204
	buffer_store_dword v55, off, s[0:3], 0 offset:200
	flat_load_dwordx2 v[58:59], v[53:54]
	v_ashrrev_i32_e32 v61, 31, v60
	v_lshlrev_b64 v[55:56], 3, v[60:61]
	s_waitcnt vmcnt(0) lgkmcnt(0)
	buffer_store_dword v59, off, s[0:3], 0 offset:212
	buffer_store_dword v58, off, s[0:3], 0 offset:208
	v_add_co_u32_e32 v55, vcc, s4, v55
	v_addc_co_u32_e32 v56, vcc, v62, v56, vcc
	flat_load_dwordx2 v[61:62], v[55:56]
	v_add_u32_e32 v59, s13, v60
	v_ashrrev_i32_e32 v60, 31, v59
	v_lshlrev_b64 v[57:58], 3, v[59:60]
	s_waitcnt vmcnt(0) lgkmcnt(0)
	buffer_store_dword v62, off, s[0:3], 0 offset:220
	buffer_store_dword v61, off, s[0:3], 0 offset:216
	v_add_co_u32_e32 v57, vcc, s4, v57
	v_addc_co_u32_e32 v58, vcc, v63, v58, vcc
	flat_load_dwordx2 v[61:62], v[57:58]
	v_add_u32_e32 v63, s13, v59
	;; [unrolled: 9-line block ×6, first 2 shown]
	v_ashrrev_i32_e32 v68, 31, v67
	v_lshlrev_b64 v[67:68], 3, v[67:68]
	v_mov_b32_e32 v70, s5
	v_add_co_u32_e32 v67, vcc, s4, v67
	v_addc_co_u32_e32 v68, vcc, v70, v68, vcc
	s_waitcnt vmcnt(0) lgkmcnt(0)
	buffer_store_dword v73, off, s[0:3], 0 offset:260
	buffer_store_dword v72, off, s[0:3], 0 offset:256
	flat_load_dwordx2 v[72:73], v[67:68]
	v_mov_b32_e32 v69, 0
	v_mov_b32_e32 v70, 0xbff00000
	s_waitcnt vmcnt(0) lgkmcnt(0)
	buffer_store_dword v73, off, s[0:3], 0 offset:268
	buffer_store_dword v72, off, s[0:3], 0 offset:264
	s_cbranch_scc1 .LBB97_3
; %bb.2:
	v_mov_b32_e32 v69, 0
	v_lshl_add_u32 v80, v0, 3, v69
	buffer_load_dword v69, v80, s[0:3], 0 offen
	buffer_load_dword v70, v80, s[0:3], 0 offen offset:4
	s_waitcnt vmcnt(0)
	v_div_scale_f64 v[72:73], s[4:5], v[69:70], v[69:70], 1.0
	v_rcp_f64_e32 v[74:75], v[72:73]
	v_fma_f64 v[76:77], -v[72:73], v[74:75], 1.0
	v_fma_f64 v[74:75], v[74:75], v[76:77], v[74:75]
	v_div_scale_f64 v[76:77], vcc, 1.0, v[69:70], 1.0
	v_fma_f64 v[78:79], -v[72:73], v[74:75], 1.0
	v_fma_f64 v[74:75], v[74:75], v[78:79], v[74:75]
	v_mul_f64 v[78:79], v[76:77], v[74:75]
	v_fma_f64 v[72:73], -v[72:73], v[78:79], v[76:77]
	v_div_fmas_f64 v[72:73], v[72:73], v[74:75], v[78:79]
	v_div_fixup_f64 v[69:70], v[72:73], v[69:70], 1.0
	buffer_store_dword v69, v80, s[0:3], 0 offen
	buffer_store_dword v70, v80, s[0:3], 0 offen offset:4
	v_xor_b32_e32 v70, 0x80000000, v70
.LBB97_3:
	s_cmpk_eq_i32 s8, 0x79
	v_add_u32_e32 v72, 0x110, v71
	v_mov_b32_e32 v73, v71
	s_mov_b64 s[4:5], -1
	ds_write_b64 v71, v[69:70]
	s_cbranch_scc1 .LBB97_327
; %bb.4:
	buffer_load_dword v69, off, s[0:3], 0 offset:256
	buffer_load_dword v70, off, s[0:3], 0 offset:260
	s_movk_i32 s12, 0x48
	s_movk_i32 s13, 0x50
	;; [unrolled: 1-line block ×23, first 2 shown]
	v_cmp_eq_u32_e64 s[4:5], 33, v0
	s_waitcnt vmcnt(0)
	ds_write_b64 v72, v[69:70]
	s_waitcnt lgkmcnt(0)
	; wave barrier
	s_and_saveexec_b64 s[6:7], s[4:5]
	s_cbranch_execz .LBB97_10
; %bb.5:
	s_and_b64 vcc, exec, s[10:11]
	s_cbranch_vccz .LBB97_7
; %bb.6:
	buffer_load_dword v69, v73, s[0:3], 0 offen
	buffer_load_dword v70, v73, s[0:3], 0 offen offset:4
	ds_read_b64 v[74:75], v72
	s_waitcnt vmcnt(0) lgkmcnt(0)
	v_mul_f64 v[69:70], v[69:70], v[74:75]
	s_cbranch_execz .LBB97_8
	s_branch .LBB97_9
.LBB97_7:
                                        ; implicit-def: $vgpr69_vgpr70
.LBB97_8:
	ds_read_b64 v[69:70], v72
.LBB97_9:
	v_mov_b32_e32 v74, 0
	ds_read_b64 v[74:75], v74 offset:256
	s_waitcnt lgkmcnt(0)
	v_mul_f64 v[69:70], v[69:70], v[74:75]
	buffer_store_dword v70, off, s[0:3], 0 offset:260
	buffer_store_dword v69, off, s[0:3], 0 offset:256
.LBB97_10:
	s_or_b64 exec, exec, s[6:7]
	buffer_load_dword v69, off, s[0:3], 0 offset:248
	buffer_load_dword v70, off, s[0:3], 0 offset:252
	s_or_b32 s14, 0, 8
	s_mov_b32 s15, 16
	s_mov_b32 s16, 24
	;; [unrolled: 1-line block ×9, first 2 shown]
	v_cmp_lt_u32_e64 s[6:7], 31, v0
	s_waitcnt vmcnt(0)
	ds_write_b64 v72, v[69:70]
	s_waitcnt lgkmcnt(0)
	; wave barrier
	s_and_saveexec_b64 s[8:9], s[6:7]
	s_cbranch_execz .LBB97_16
; %bb.11:
	s_andn2_b64 vcc, exec, s[10:11]
	s_cbranch_vccnz .LBB97_13
; %bb.12:
	buffer_load_dword v69, v73, s[0:3], 0 offen
	buffer_load_dword v70, v73, s[0:3], 0 offen offset:4
	ds_read_b64 v[74:75], v72
	s_waitcnt vmcnt(0) lgkmcnt(0)
	v_mul_f64 v[69:70], v[69:70], v[74:75]
	s_cbranch_execz .LBB97_14
	s_branch .LBB97_15
.LBB97_13:
                                        ; implicit-def: $vgpr69_vgpr70
.LBB97_14:
	ds_read_b64 v[69:70], v72
.LBB97_15:
	buffer_load_dword v78, off, s[0:3], 0 offset:256
	buffer_load_dword v79, off, s[0:3], 0 offset:260
	v_mov_b32_e32 v74, 0
	ds_read2_b64 v[74:77], v74 offset0:31 offset1:66
	s_waitcnt vmcnt(0) lgkmcnt(0)
	v_fma_f64 v[76:77], v[78:79], v[76:77], v[69:70]
	v_cndmask_b32_e64 v70, v70, v77, s[4:5]
	v_cndmask_b32_e64 v69, v69, v76, s[4:5]
	v_mul_f64 v[69:70], v[69:70], v[74:75]
	buffer_store_dword v70, off, s[0:3], 0 offset:252
	buffer_store_dword v69, off, s[0:3], 0 offset:248
.LBB97_16:
	s_or_b64 exec, exec, s[8:9]
	buffer_load_dword v69, off, s[0:3], 0 offset:240
	buffer_load_dword v70, off, s[0:3], 0 offset:244
	v_cmp_lt_u32_e64 s[4:5], 30, v0
	s_waitcnt vmcnt(0)
	ds_write_b64 v72, v[69:70]
	s_waitcnt lgkmcnt(0)
	; wave barrier
	s_and_saveexec_b64 s[8:9], s[4:5]
	s_cbranch_execz .LBB97_26
; %bb.17:
	s_andn2_b64 vcc, exec, s[10:11]
	s_cbranch_vccnz .LBB97_19
; %bb.18:
	buffer_load_dword v69, v73, s[0:3], 0 offen
	buffer_load_dword v70, v73, s[0:3], 0 offen offset:4
	ds_read_b64 v[74:75], v72
	s_waitcnt vmcnt(0) lgkmcnt(0)
	v_mul_f64 v[69:70], v[69:70], v[74:75]
	s_cbranch_execz .LBB97_20
	s_branch .LBB97_21
.LBB97_19:
                                        ; implicit-def: $vgpr69_vgpr70
.LBB97_20:
	ds_read_b64 v[69:70], v72
.LBB97_21:
	s_and_saveexec_b64 s[12:13], s[6:7]
	s_cbranch_execz .LBB97_25
; %bb.22:
	v_subrev_u32_e32 v74, 31, v0
	s_movk_i32 s46, 0x208
	s_mov_b64 s[6:7], 0
.LBB97_23:                              ; =>This Inner Loop Header: Depth=1
	v_mov_b32_e32 v77, s45
	buffer_load_dword v75, v77, s[0:3], 0 offen
	buffer_load_dword v76, v77, s[0:3], 0 offen offset:4
	v_mov_b32_e32 v77, s46
	ds_read_b64 v[77:78], v77
	v_add_u32_e32 v74, -1, v74
	s_add_i32 s46, s46, 8
	s_add_i32 s45, s45, 8
	v_cmp_eq_u32_e32 vcc, 0, v74
	s_or_b64 s[6:7], vcc, s[6:7]
	s_waitcnt vmcnt(0) lgkmcnt(0)
	v_fma_f64 v[69:70], v[75:76], v[77:78], v[69:70]
	s_andn2_b64 exec, exec, s[6:7]
	s_cbranch_execnz .LBB97_23
; %bb.24:
	s_or_b64 exec, exec, s[6:7]
.LBB97_25:
	s_or_b64 exec, exec, s[12:13]
	v_mov_b32_e32 v74, 0
	ds_read_b64 v[74:75], v74 offset:240
	s_waitcnt lgkmcnt(0)
	v_mul_f64 v[69:70], v[69:70], v[74:75]
	buffer_store_dword v70, off, s[0:3], 0 offset:244
	buffer_store_dword v69, off, s[0:3], 0 offset:240
.LBB97_26:
	s_or_b64 exec, exec, s[8:9]
	buffer_load_dword v69, off, s[0:3], 0 offset:232
	buffer_load_dword v70, off, s[0:3], 0 offset:236
	v_cmp_lt_u32_e64 s[6:7], 29, v0
	s_waitcnt vmcnt(0)
	ds_write_b64 v72, v[69:70]
	s_waitcnt lgkmcnt(0)
	; wave barrier
	s_and_saveexec_b64 s[8:9], s[6:7]
	s_cbranch_execz .LBB97_36
; %bb.27:
	s_andn2_b64 vcc, exec, s[10:11]
	s_cbranch_vccnz .LBB97_29
; %bb.28:
	buffer_load_dword v69, v73, s[0:3], 0 offen
	buffer_load_dword v70, v73, s[0:3], 0 offen offset:4
	ds_read_b64 v[74:75], v72
	s_waitcnt vmcnt(0) lgkmcnt(0)
	v_mul_f64 v[69:70], v[69:70], v[74:75]
	s_cbranch_execz .LBB97_30
	s_branch .LBB97_31
.LBB97_29:
                                        ; implicit-def: $vgpr69_vgpr70
.LBB97_30:
	ds_read_b64 v[69:70], v72
.LBB97_31:
	s_and_saveexec_b64 s[12:13], s[4:5]
	s_cbranch_execz .LBB97_35
; %bb.32:
	v_subrev_u32_e32 v74, 30, v0
	s_movk_i32 s45, 0x200
	s_mov_b64 s[4:5], 0
.LBB97_33:                              ; =>This Inner Loop Header: Depth=1
	v_mov_b32_e32 v77, s44
	buffer_load_dword v75, v77, s[0:3], 0 offen
	buffer_load_dword v76, v77, s[0:3], 0 offen offset:4
	v_mov_b32_e32 v77, s45
	ds_read_b64 v[77:78], v77
	v_add_u32_e32 v74, -1, v74
	s_add_i32 s45, s45, 8
	s_add_i32 s44, s44, 8
	v_cmp_eq_u32_e32 vcc, 0, v74
	s_or_b64 s[4:5], vcc, s[4:5]
	s_waitcnt vmcnt(0) lgkmcnt(0)
	v_fma_f64 v[69:70], v[75:76], v[77:78], v[69:70]
	s_andn2_b64 exec, exec, s[4:5]
	s_cbranch_execnz .LBB97_33
; %bb.34:
	s_or_b64 exec, exec, s[4:5]
.LBB97_35:
	s_or_b64 exec, exec, s[12:13]
	v_mov_b32_e32 v74, 0
	ds_read_b64 v[74:75], v74 offset:232
	s_waitcnt lgkmcnt(0)
	v_mul_f64 v[69:70], v[69:70], v[74:75]
	buffer_store_dword v70, off, s[0:3], 0 offset:236
	buffer_store_dword v69, off, s[0:3], 0 offset:232
.LBB97_36:
	;; [unrolled: 58-line block ×8, first 2 shown]
	s_or_b64 exec, exec, s[8:9]
	buffer_load_dword v69, off, s[0:3], 0 offset:176
	buffer_load_dword v70, off, s[0:3], 0 offset:180
	v_cmp_lt_u32_e64 s[4:5], 22, v0
	s_waitcnt vmcnt(0)
	ds_write_b64 v72, v[69:70]
	s_waitcnt lgkmcnt(0)
	; wave barrier
	s_and_saveexec_b64 s[8:9], s[4:5]
	s_cbranch_execz .LBB97_106
; %bb.97:
	s_andn2_b64 vcc, exec, s[10:11]
	s_cbranch_vccnz .LBB97_99
; %bb.98:
	buffer_load_dword v69, v73, s[0:3], 0 offen
	buffer_load_dword v70, v73, s[0:3], 0 offen offset:4
	ds_read_b64 v[74:75], v72
	s_waitcnt vmcnt(0) lgkmcnt(0)
	v_mul_f64 v[69:70], v[69:70], v[74:75]
	s_cbranch_execz .LBB97_100
	s_branch .LBB97_101
.LBB97_99:
                                        ; implicit-def: $vgpr69_vgpr70
.LBB97_100:
	ds_read_b64 v[69:70], v72
.LBB97_101:
	s_and_saveexec_b64 s[12:13], s[6:7]
	s_cbranch_execz .LBB97_105
; %bb.102:
	v_subrev_u32_e32 v74, 23, v0
	s_movk_i32 s38, 0x1c8
	s_mov_b64 s[6:7], 0
.LBB97_103:                             ; =>This Inner Loop Header: Depth=1
	v_mov_b32_e32 v77, s37
	buffer_load_dword v75, v77, s[0:3], 0 offen
	buffer_load_dword v76, v77, s[0:3], 0 offen offset:4
	v_mov_b32_e32 v77, s38
	ds_read_b64 v[77:78], v77
	v_add_u32_e32 v74, -1, v74
	s_add_i32 s38, s38, 8
	s_add_i32 s37, s37, 8
	v_cmp_eq_u32_e32 vcc, 0, v74
	s_or_b64 s[6:7], vcc, s[6:7]
	s_waitcnt vmcnt(0) lgkmcnt(0)
	v_fma_f64 v[69:70], v[75:76], v[77:78], v[69:70]
	s_andn2_b64 exec, exec, s[6:7]
	s_cbranch_execnz .LBB97_103
; %bb.104:
	s_or_b64 exec, exec, s[6:7]
.LBB97_105:
	s_or_b64 exec, exec, s[12:13]
	v_mov_b32_e32 v74, 0
	ds_read_b64 v[74:75], v74 offset:176
	s_waitcnt lgkmcnt(0)
	v_mul_f64 v[69:70], v[69:70], v[74:75]
	buffer_store_dword v70, off, s[0:3], 0 offset:180
	buffer_store_dword v69, off, s[0:3], 0 offset:176
.LBB97_106:
	s_or_b64 exec, exec, s[8:9]
	buffer_load_dword v69, off, s[0:3], 0 offset:168
	buffer_load_dword v70, off, s[0:3], 0 offset:172
	v_cmp_lt_u32_e64 s[6:7], 21, v0
	s_waitcnt vmcnt(0)
	ds_write_b64 v72, v[69:70]
	s_waitcnt lgkmcnt(0)
	; wave barrier
	s_and_saveexec_b64 s[8:9], s[6:7]
	s_cbranch_execz .LBB97_116
; %bb.107:
	s_andn2_b64 vcc, exec, s[10:11]
	s_cbranch_vccnz .LBB97_109
; %bb.108:
	buffer_load_dword v69, v73, s[0:3], 0 offen
	buffer_load_dword v70, v73, s[0:3], 0 offen offset:4
	ds_read_b64 v[74:75], v72
	s_waitcnt vmcnt(0) lgkmcnt(0)
	v_mul_f64 v[69:70], v[69:70], v[74:75]
	s_cbranch_execz .LBB97_110
	s_branch .LBB97_111
.LBB97_109:
                                        ; implicit-def: $vgpr69_vgpr70
.LBB97_110:
	ds_read_b64 v[69:70], v72
.LBB97_111:
	s_and_saveexec_b64 s[12:13], s[4:5]
	s_cbranch_execz .LBB97_115
; %bb.112:
	v_subrev_u32_e32 v74, 22, v0
	s_movk_i32 s37, 0x1c0
	s_mov_b64 s[4:5], 0
.LBB97_113:                             ; =>This Inner Loop Header: Depth=1
	v_mov_b32_e32 v77, s36
	buffer_load_dword v75, v77, s[0:3], 0 offen
	buffer_load_dword v76, v77, s[0:3], 0 offen offset:4
	v_mov_b32_e32 v77, s37
	ds_read_b64 v[77:78], v77
	v_add_u32_e32 v74, -1, v74
	s_add_i32 s37, s37, 8
	s_add_i32 s36, s36, 8
	v_cmp_eq_u32_e32 vcc, 0, v74
	s_or_b64 s[4:5], vcc, s[4:5]
	s_waitcnt vmcnt(0) lgkmcnt(0)
	v_fma_f64 v[69:70], v[75:76], v[77:78], v[69:70]
	s_andn2_b64 exec, exec, s[4:5]
	s_cbranch_execnz .LBB97_113
; %bb.114:
	s_or_b64 exec, exec, s[4:5]
.LBB97_115:
	s_or_b64 exec, exec, s[12:13]
	v_mov_b32_e32 v74, 0
	ds_read_b64 v[74:75], v74 offset:168
	s_waitcnt lgkmcnt(0)
	v_mul_f64 v[69:70], v[69:70], v[74:75]
	buffer_store_dword v70, off, s[0:3], 0 offset:172
	buffer_store_dword v69, off, s[0:3], 0 offset:168
.LBB97_116:
	;; [unrolled: 58-line block ×7, first 2 shown]
	s_or_b64 exec, exec, s[8:9]
	buffer_load_dword v69, off, s[0:3], 0 offset:120
	buffer_load_dword v70, off, s[0:3], 0 offset:124
	v_cmp_lt_u32_e64 s[6:7], 15, v0
	s_waitcnt vmcnt(0)
	ds_write_b64 v72, v[69:70]
	s_waitcnt lgkmcnt(0)
	; wave barrier
	s_and_saveexec_b64 s[8:9], s[6:7]
	s_cbranch_execz .LBB97_176
; %bb.167:
	s_andn2_b64 vcc, exec, s[10:11]
	s_cbranch_vccnz .LBB97_169
; %bb.168:
	buffer_load_dword v69, v73, s[0:3], 0 offen
	buffer_load_dword v70, v73, s[0:3], 0 offen offset:4
	ds_read_b64 v[74:75], v72
	s_waitcnt vmcnt(0) lgkmcnt(0)
	v_mul_f64 v[69:70], v[69:70], v[74:75]
	s_cbranch_execz .LBB97_170
	s_branch .LBB97_171
.LBB97_169:
                                        ; implicit-def: $vgpr69_vgpr70
.LBB97_170:
	ds_read_b64 v[69:70], v72
.LBB97_171:
	s_and_saveexec_b64 s[12:13], s[4:5]
	s_cbranch_execz .LBB97_175
; %bb.172:
	v_add_u32_e32 v74, -16, v0
	s_movk_i32 s30, 0x190
	s_mov_b64 s[4:5], 0
.LBB97_173:                             ; =>This Inner Loop Header: Depth=1
	v_mov_b32_e32 v77, s29
	buffer_load_dword v75, v77, s[0:3], 0 offen
	buffer_load_dword v76, v77, s[0:3], 0 offen offset:4
	v_mov_b32_e32 v77, s30
	ds_read_b64 v[77:78], v77
	v_add_u32_e32 v74, -1, v74
	s_add_i32 s30, s30, 8
	s_add_i32 s29, s29, 8
	v_cmp_eq_u32_e32 vcc, 0, v74
	s_or_b64 s[4:5], vcc, s[4:5]
	s_waitcnt vmcnt(0) lgkmcnt(0)
	v_fma_f64 v[69:70], v[75:76], v[77:78], v[69:70]
	s_andn2_b64 exec, exec, s[4:5]
	s_cbranch_execnz .LBB97_173
; %bb.174:
	s_or_b64 exec, exec, s[4:5]
.LBB97_175:
	s_or_b64 exec, exec, s[12:13]
	v_mov_b32_e32 v74, 0
	ds_read_b64 v[74:75], v74 offset:120
	s_waitcnt lgkmcnt(0)
	v_mul_f64 v[69:70], v[69:70], v[74:75]
	buffer_store_dword v70, off, s[0:3], 0 offset:124
	buffer_store_dword v69, off, s[0:3], 0 offset:120
.LBB97_176:
	s_or_b64 exec, exec, s[8:9]
	buffer_load_dword v69, off, s[0:3], 0 offset:112
	buffer_load_dword v70, off, s[0:3], 0 offset:116
	v_cmp_lt_u32_e64 s[4:5], 14, v0
	s_waitcnt vmcnt(0)
	ds_write_b64 v72, v[69:70]
	s_waitcnt lgkmcnt(0)
	; wave barrier
	s_and_saveexec_b64 s[8:9], s[4:5]
	s_cbranch_execz .LBB97_186
; %bb.177:
	s_andn2_b64 vcc, exec, s[10:11]
	s_cbranch_vccnz .LBB97_179
; %bb.178:
	buffer_load_dword v69, v73, s[0:3], 0 offen
	buffer_load_dword v70, v73, s[0:3], 0 offen offset:4
	ds_read_b64 v[74:75], v72
	s_waitcnt vmcnt(0) lgkmcnt(0)
	v_mul_f64 v[69:70], v[69:70], v[74:75]
	s_cbranch_execz .LBB97_180
	s_branch .LBB97_181
.LBB97_179:
                                        ; implicit-def: $vgpr69_vgpr70
.LBB97_180:
	ds_read_b64 v[69:70], v72
.LBB97_181:
	s_and_saveexec_b64 s[12:13], s[6:7]
	s_cbranch_execz .LBB97_185
; %bb.182:
	v_add_u32_e32 v74, -15, v0
	s_movk_i32 s29, 0x188
	s_mov_b64 s[6:7], 0
.LBB97_183:                             ; =>This Inner Loop Header: Depth=1
	v_mov_b32_e32 v77, s28
	buffer_load_dword v75, v77, s[0:3], 0 offen
	buffer_load_dword v76, v77, s[0:3], 0 offen offset:4
	v_mov_b32_e32 v77, s29
	ds_read_b64 v[77:78], v77
	v_add_u32_e32 v74, -1, v74
	s_add_i32 s29, s29, 8
	s_add_i32 s28, s28, 8
	v_cmp_eq_u32_e32 vcc, 0, v74
	s_or_b64 s[6:7], vcc, s[6:7]
	s_waitcnt vmcnt(0) lgkmcnt(0)
	v_fma_f64 v[69:70], v[75:76], v[77:78], v[69:70]
	s_andn2_b64 exec, exec, s[6:7]
	s_cbranch_execnz .LBB97_183
; %bb.184:
	s_or_b64 exec, exec, s[6:7]
.LBB97_185:
	s_or_b64 exec, exec, s[12:13]
	v_mov_b32_e32 v74, 0
	ds_read_b64 v[74:75], v74 offset:112
	s_waitcnt lgkmcnt(0)
	v_mul_f64 v[69:70], v[69:70], v[74:75]
	buffer_store_dword v70, off, s[0:3], 0 offset:116
	buffer_store_dword v69, off, s[0:3], 0 offset:112
.LBB97_186:
	;; [unrolled: 58-line block ×15, first 2 shown]
	s_or_b64 exec, exec, s[8:9]
	buffer_load_dword v69, off, s[0:3], 0
	buffer_load_dword v70, off, s[0:3], 0 offset:4
	v_cmp_ne_u32_e32 vcc, 0, v0
	s_waitcnt vmcnt(0)
	ds_write_b64 v72, v[69:70]
	s_waitcnt lgkmcnt(0)
	; wave barrier
	s_and_saveexec_b64 s[4:5], vcc
	s_cbranch_execz .LBB97_326
; %bb.317:
	s_andn2_b64 vcc, exec, s[10:11]
	s_cbranch_vccnz .LBB97_319
; %bb.318:
	buffer_load_dword v69, v73, s[0:3], 0 offen
	buffer_load_dword v70, v73, s[0:3], 0 offen offset:4
	ds_read_b64 v[74:75], v72
	s_waitcnt vmcnt(0) lgkmcnt(0)
	v_mul_f64 v[69:70], v[69:70], v[74:75]
	s_cbranch_execz .LBB97_320
	s_branch .LBB97_321
.LBB97_319:
                                        ; implicit-def: $vgpr69_vgpr70
.LBB97_320:
	ds_read_b64 v[69:70], v72
.LBB97_321:
	s_and_saveexec_b64 s[8:9], s[6:7]
	s_cbranch_execz .LBB97_325
; %bb.322:
	v_add_u32_e32 v74, -1, v0
	s_movk_i32 s12, 0x118
	s_mov_b64 s[6:7], 0
.LBB97_323:                             ; =>This Inner Loop Header: Depth=1
	v_mov_b32_e32 v77, s14
	buffer_load_dword v75, v77, s[0:3], 0 offen
	buffer_load_dword v76, v77, s[0:3], 0 offen offset:4
	v_mov_b32_e32 v77, s12
	ds_read_b64 v[77:78], v77
	v_add_u32_e32 v74, -1, v74
	s_add_i32 s12, s12, 8
	s_add_i32 s14, s14, 8
	v_cmp_eq_u32_e32 vcc, 0, v74
	s_or_b64 s[6:7], vcc, s[6:7]
	s_waitcnt vmcnt(0) lgkmcnt(0)
	v_fma_f64 v[69:70], v[75:76], v[77:78], v[69:70]
	s_andn2_b64 exec, exec, s[6:7]
	s_cbranch_execnz .LBB97_323
; %bb.324:
	s_or_b64 exec, exec, s[6:7]
.LBB97_325:
	s_or_b64 exec, exec, s[8:9]
	v_mov_b32_e32 v74, 0
	ds_read_b64 v[74:75], v74
	s_waitcnt lgkmcnt(0)
	v_mul_f64 v[69:70], v[69:70], v[74:75]
	buffer_store_dword v70, off, s[0:3], 0 offset:4
	buffer_store_dword v69, off, s[0:3], 0
.LBB97_326:
	s_or_b64 exec, exec, s[4:5]
	s_mov_b64 s[4:5], 0
.LBB97_327:
	s_and_b64 vcc, exec, s[4:5]
	s_cbranch_vccz .LBB97_649
; %bb.328:
	buffer_load_dword v69, off, s[0:3], 0 offset:8
	buffer_load_dword v70, off, s[0:3], 0 offset:12
	v_cmp_eq_u32_e64 s[6:7], 0, v0
	s_waitcnt vmcnt(0)
	ds_write_b64 v72, v[69:70]
	s_waitcnt lgkmcnt(0)
	; wave barrier
	s_and_saveexec_b64 s[4:5], s[6:7]
	s_cbranch_execz .LBB97_334
; %bb.329:
	s_and_b64 vcc, exec, s[10:11]
	s_cbranch_vccz .LBB97_331
; %bb.330:
	buffer_load_dword v69, v73, s[0:3], 0 offen
	buffer_load_dword v70, v73, s[0:3], 0 offen offset:4
	ds_read_b64 v[74:75], v72
	s_waitcnt vmcnt(0) lgkmcnt(0)
	v_mul_f64 v[69:70], v[69:70], v[74:75]
	s_cbranch_execz .LBB97_332
	s_branch .LBB97_333
.LBB97_331:
                                        ; implicit-def: $vgpr69_vgpr70
.LBB97_332:
	ds_read_b64 v[69:70], v72
.LBB97_333:
	v_mov_b32_e32 v74, 0
	ds_read_b64 v[74:75], v74 offset:8
	s_waitcnt lgkmcnt(0)
	v_mul_f64 v[69:70], v[69:70], v[74:75]
	buffer_store_dword v70, off, s[0:3], 0 offset:12
	buffer_store_dword v69, off, s[0:3], 0 offset:8
.LBB97_334:
	s_or_b64 exec, exec, s[4:5]
	buffer_load_dword v69, off, s[0:3], 0 offset:16
	buffer_load_dword v70, off, s[0:3], 0 offset:20
	v_cndmask_b32_e64 v74, 0, 1, s[10:11]
	v_cmp_gt_u32_e32 vcc, 2, v0
	v_cmp_ne_u32_e64 s[4:5], 1, v74
	s_waitcnt vmcnt(0)
	ds_write_b64 v72, v[69:70]
	s_waitcnt lgkmcnt(0)
	; wave barrier
	s_and_saveexec_b64 s[8:9], vcc
	s_cbranch_execz .LBB97_340
; %bb.335:
	s_and_b64 vcc, exec, s[4:5]
	s_cbranch_vccnz .LBB97_337
; %bb.336:
	buffer_load_dword v69, v73, s[0:3], 0 offen
	buffer_load_dword v70, v73, s[0:3], 0 offen offset:4
	ds_read_b64 v[74:75], v72
	s_waitcnt vmcnt(0) lgkmcnt(0)
	v_mul_f64 v[69:70], v[69:70], v[74:75]
	s_cbranch_execz .LBB97_338
	s_branch .LBB97_339
.LBB97_337:
                                        ; implicit-def: $vgpr69_vgpr70
.LBB97_338:
	ds_read_b64 v[69:70], v72
.LBB97_339:
	buffer_load_dword v78, off, s[0:3], 0 offset:8
	buffer_load_dword v79, off, s[0:3], 0 offset:12
	v_mov_b32_e32 v74, 0
	ds_read2_b64 v[74:77], v74 offset0:2 offset1:35
	s_waitcnt vmcnt(0) lgkmcnt(0)
	v_fma_f64 v[76:77], v[78:79], v[76:77], v[69:70]
	v_cndmask_b32_e64 v70, v70, v77, s[6:7]
	v_cndmask_b32_e64 v69, v69, v76, s[6:7]
	v_mul_f64 v[69:70], v[69:70], v[74:75]
	buffer_store_dword v70, off, s[0:3], 0 offset:20
	buffer_store_dword v69, off, s[0:3], 0 offset:16
.LBB97_340:
	s_or_b64 exec, exec, s[8:9]
	buffer_load_dword v69, off, s[0:3], 0 offset:24
	buffer_load_dword v70, off, s[0:3], 0 offset:28
	v_cmp_gt_u32_e32 vcc, 3, v0
	s_waitcnt vmcnt(0)
	ds_write_b64 v72, v[69:70]
	s_waitcnt lgkmcnt(0)
	; wave barrier
	s_and_saveexec_b64 s[8:9], vcc
	s_cbranch_execz .LBB97_348
; %bb.341:
	s_and_b64 vcc, exec, s[4:5]
	s_cbranch_vccnz .LBB97_343
; %bb.342:
	buffer_load_dword v69, v73, s[0:3], 0 offen
	buffer_load_dword v70, v73, s[0:3], 0 offen offset:4
	ds_read_b64 v[74:75], v72
	s_waitcnt vmcnt(0) lgkmcnt(0)
	v_mul_f64 v[69:70], v[69:70], v[74:75]
	s_cbranch_execz .LBB97_344
	s_branch .LBB97_345
.LBB97_343:
                                        ; implicit-def: $vgpr69_vgpr70
.LBB97_344:
	ds_read_b64 v[69:70], v72
.LBB97_345:
	v_cmp_ne_u32_e32 vcc, 2, v0
	s_and_saveexec_b64 s[10:11], vcc
	s_cbranch_execz .LBB97_347
; %bb.346:
	buffer_load_dword v74, v73, s[0:3], 0 offen offset:8
	buffer_load_dword v75, v73, s[0:3], 0 offen offset:12
	buffer_load_dword v76, off, s[0:3], 0 offset:16
	buffer_load_dword v77, off, s[0:3], 0 offset:20
	ds_read_b64 v[78:79], v72 offset:8
	v_mov_b32_e32 v80, 0
	ds_read_b64 v[80:81], v80 offset:288
	s_waitcnt vmcnt(2) lgkmcnt(1)
	v_fma_f64 v[69:70], v[74:75], v[78:79], v[69:70]
	s_waitcnt vmcnt(0) lgkmcnt(0)
	v_fma_f64 v[74:75], v[76:77], v[80:81], v[69:70]
	v_cndmask_b32_e64 v70, v70, v75, s[6:7]
	v_cndmask_b32_e64 v69, v69, v74, s[6:7]
.LBB97_347:
	s_or_b64 exec, exec, s[10:11]
	v_mov_b32_e32 v74, 0
	ds_read_b64 v[74:75], v74 offset:24
	s_waitcnt lgkmcnt(0)
	v_mul_f64 v[69:70], v[69:70], v[74:75]
	buffer_store_dword v70, off, s[0:3], 0 offset:28
	buffer_store_dword v69, off, s[0:3], 0 offset:24
.LBB97_348:
	s_or_b64 exec, exec, s[8:9]
	buffer_load_dword v69, off, s[0:3], 0 offset:32
	buffer_load_dword v70, off, s[0:3], 0 offset:36
	v_cmp_gt_u32_e32 vcc, 4, v0
	s_waitcnt vmcnt(0)
	ds_write_b64 v72, v[69:70]
	s_waitcnt lgkmcnt(0)
	; wave barrier
	s_and_saveexec_b64 s[6:7], vcc
	s_cbranch_execz .LBB97_358
; %bb.349:
	s_and_b64 vcc, exec, s[4:5]
	s_cbranch_vccnz .LBB97_351
; %bb.350:
	buffer_load_dword v69, v73, s[0:3], 0 offen
	buffer_load_dword v70, v73, s[0:3], 0 offen offset:4
	ds_read_b64 v[74:75], v72
	s_waitcnt vmcnt(0) lgkmcnt(0)
	v_mul_f64 v[69:70], v[69:70], v[74:75]
	s_cbranch_execz .LBB97_352
	s_branch .LBB97_353
.LBB97_351:
                                        ; implicit-def: $vgpr69_vgpr70
.LBB97_352:
	ds_read_b64 v[69:70], v72
.LBB97_353:
	v_cmp_ne_u32_e32 vcc, 3, v0
	s_and_saveexec_b64 s[8:9], vcc
	s_cbranch_execz .LBB97_357
; %bb.354:
	s_mov_b32 s10, 0
	v_add_u32_e32 v74, 0x118, v71
	v_add3_u32 v75, v71, s10, 8
	s_mov_b64 s[10:11], 0
	v_mov_b32_e32 v76, v0
.LBB97_355:                             ; =>This Inner Loop Header: Depth=1
	buffer_load_dword v77, v75, s[0:3], 0 offen
	buffer_load_dword v78, v75, s[0:3], 0 offen offset:4
	ds_read_b64 v[79:80], v74
	v_add_u32_e32 v76, 1, v76
	v_cmp_lt_u32_e32 vcc, 2, v76
	v_add_u32_e32 v74, 8, v74
	s_or_b64 s[10:11], vcc, s[10:11]
	v_add_u32_e32 v75, 8, v75
	s_waitcnt vmcnt(0) lgkmcnt(0)
	v_fma_f64 v[69:70], v[77:78], v[79:80], v[69:70]
	s_andn2_b64 exec, exec, s[10:11]
	s_cbranch_execnz .LBB97_355
; %bb.356:
	s_or_b64 exec, exec, s[10:11]
.LBB97_357:
	s_or_b64 exec, exec, s[8:9]
	v_mov_b32_e32 v74, 0
	ds_read_b64 v[74:75], v74 offset:32
	s_waitcnt lgkmcnt(0)
	v_mul_f64 v[69:70], v[69:70], v[74:75]
	buffer_store_dword v70, off, s[0:3], 0 offset:36
	buffer_store_dword v69, off, s[0:3], 0 offset:32
.LBB97_358:
	s_or_b64 exec, exec, s[6:7]
	buffer_load_dword v69, off, s[0:3], 0 offset:40
	buffer_load_dword v70, off, s[0:3], 0 offset:44
	v_cmp_gt_u32_e32 vcc, 5, v0
	s_waitcnt vmcnt(0)
	ds_write_b64 v72, v[69:70]
	s_waitcnt lgkmcnt(0)
	; wave barrier
	s_and_saveexec_b64 s[6:7], vcc
	s_cbranch_execz .LBB97_368
; %bb.359:
	s_and_b64 vcc, exec, s[4:5]
	s_cbranch_vccnz .LBB97_361
; %bb.360:
	buffer_load_dword v69, v73, s[0:3], 0 offen
	buffer_load_dword v70, v73, s[0:3], 0 offen offset:4
	ds_read_b64 v[74:75], v72
	s_waitcnt vmcnt(0) lgkmcnt(0)
	v_mul_f64 v[69:70], v[69:70], v[74:75]
	s_cbranch_execz .LBB97_362
	s_branch .LBB97_363
.LBB97_361:
                                        ; implicit-def: $vgpr69_vgpr70
.LBB97_362:
	ds_read_b64 v[69:70], v72
.LBB97_363:
	v_cmp_ne_u32_e32 vcc, 4, v0
	s_and_saveexec_b64 s[8:9], vcc
	s_cbranch_execz .LBB97_367
; %bb.364:
	s_mov_b32 s10, 0
	v_add_u32_e32 v74, 0x118, v71
	v_add3_u32 v75, v71, s10, 8
	s_mov_b64 s[10:11], 0
	v_mov_b32_e32 v76, v0
.LBB97_365:                             ; =>This Inner Loop Header: Depth=1
	buffer_load_dword v77, v75, s[0:3], 0 offen
	buffer_load_dword v78, v75, s[0:3], 0 offen offset:4
	ds_read_b64 v[79:80], v74
	v_add_u32_e32 v76, 1, v76
	v_cmp_lt_u32_e32 vcc, 3, v76
	v_add_u32_e32 v74, 8, v74
	s_or_b64 s[10:11], vcc, s[10:11]
	v_add_u32_e32 v75, 8, v75
	s_waitcnt vmcnt(0) lgkmcnt(0)
	v_fma_f64 v[69:70], v[77:78], v[79:80], v[69:70]
	s_andn2_b64 exec, exec, s[10:11]
	s_cbranch_execnz .LBB97_365
; %bb.366:
	s_or_b64 exec, exec, s[10:11]
.LBB97_367:
	s_or_b64 exec, exec, s[8:9]
	v_mov_b32_e32 v74, 0
	ds_read_b64 v[74:75], v74 offset:40
	s_waitcnt lgkmcnt(0)
	v_mul_f64 v[69:70], v[69:70], v[74:75]
	buffer_store_dword v70, off, s[0:3], 0 offset:44
	buffer_store_dword v69, off, s[0:3], 0 offset:40
.LBB97_368:
	;; [unrolled: 59-line block ×28, first 2 shown]
	s_or_b64 exec, exec, s[6:7]
	buffer_load_dword v69, off, s[0:3], 0 offset:256
	buffer_load_dword v70, off, s[0:3], 0 offset:260
	v_cmp_gt_u32_e64 s[6:7], 32, v0
	s_waitcnt vmcnt(0)
	ds_write_b64 v72, v[69:70]
	s_waitcnt lgkmcnt(0)
	; wave barrier
	s_and_saveexec_b64 s[8:9], s[6:7]
	s_cbranch_execz .LBB97_638
; %bb.629:
	s_and_b64 vcc, exec, s[4:5]
	s_cbranch_vccnz .LBB97_631
; %bb.630:
	buffer_load_dword v69, v73, s[0:3], 0 offen
	buffer_load_dword v70, v73, s[0:3], 0 offen offset:4
	ds_read_b64 v[74:75], v72
	s_waitcnt vmcnt(0) lgkmcnt(0)
	v_mul_f64 v[69:70], v[69:70], v[74:75]
	s_cbranch_execz .LBB97_632
	s_branch .LBB97_633
.LBB97_631:
                                        ; implicit-def: $vgpr69_vgpr70
.LBB97_632:
	ds_read_b64 v[69:70], v72
.LBB97_633:
	v_cmp_ne_u32_e32 vcc, 31, v0
	s_and_saveexec_b64 s[10:11], vcc
	s_cbranch_execz .LBB97_637
; %bb.634:
	s_mov_b32 s12, 0
	v_add_u32_e32 v74, 0x118, v71
	v_add3_u32 v75, v71, s12, 8
	s_mov_b64 s[12:13], 0
	v_mov_b32_e32 v76, v0
.LBB97_635:                             ; =>This Inner Loop Header: Depth=1
	buffer_load_dword v77, v75, s[0:3], 0 offen
	buffer_load_dword v78, v75, s[0:3], 0 offen offset:4
	ds_read_b64 v[79:80], v74
	v_add_u32_e32 v76, 1, v76
	v_cmp_lt_u32_e32 vcc, 30, v76
	v_add_u32_e32 v74, 8, v74
	s_or_b64 s[12:13], vcc, s[12:13]
	v_add_u32_e32 v75, 8, v75
	s_waitcnt vmcnt(0) lgkmcnt(0)
	v_fma_f64 v[69:70], v[77:78], v[79:80], v[69:70]
	s_andn2_b64 exec, exec, s[12:13]
	s_cbranch_execnz .LBB97_635
; %bb.636:
	s_or_b64 exec, exec, s[12:13]
.LBB97_637:
	s_or_b64 exec, exec, s[10:11]
	v_mov_b32_e32 v74, 0
	ds_read_b64 v[74:75], v74 offset:256
	s_waitcnt lgkmcnt(0)
	v_mul_f64 v[69:70], v[69:70], v[74:75]
	buffer_store_dword v70, off, s[0:3], 0 offset:260
	buffer_store_dword v69, off, s[0:3], 0 offset:256
.LBB97_638:
	s_or_b64 exec, exec, s[8:9]
	buffer_load_dword v69, off, s[0:3], 0 offset:264
	buffer_load_dword v70, off, s[0:3], 0 offset:268
	v_cmp_ne_u32_e32 vcc, 33, v0
	s_waitcnt vmcnt(0)
	ds_write_b64 v72, v[69:70]
	s_waitcnt lgkmcnt(0)
	; wave barrier
	s_and_saveexec_b64 s[8:9], vcc
	s_cbranch_execz .LBB97_648
; %bb.639:
	s_and_b64 vcc, exec, s[4:5]
	s_cbranch_vccnz .LBB97_641
; %bb.640:
	buffer_load_dword v69, v73, s[0:3], 0 offen
	buffer_load_dword v70, v73, s[0:3], 0 offen offset:4
	ds_read_b64 v[73:74], v72
	s_waitcnt vmcnt(0) lgkmcnt(0)
	v_mul_f64 v[69:70], v[69:70], v[73:74]
	s_cbranch_execz .LBB97_642
	s_branch .LBB97_643
.LBB97_641:
                                        ; implicit-def: $vgpr69_vgpr70
.LBB97_642:
	ds_read_b64 v[69:70], v72
.LBB97_643:
	s_and_saveexec_b64 s[4:5], s[6:7]
	s_cbranch_execz .LBB97_647
; %bb.644:
	s_mov_b32 s6, 0
	v_add_u32_e32 v72, 0x118, v71
	v_add3_u32 v71, v71, s6, 8
	s_mov_b64 s[6:7], 0
.LBB97_645:                             ; =>This Inner Loop Header: Depth=1
	buffer_load_dword v73, v71, s[0:3], 0 offen
	buffer_load_dword v74, v71, s[0:3], 0 offen offset:4
	ds_read_b64 v[75:76], v72
	v_add_u32_e32 v0, 1, v0
	v_cmp_lt_u32_e32 vcc, 31, v0
	v_add_u32_e32 v72, 8, v72
	s_or_b64 s[6:7], vcc, s[6:7]
	v_add_u32_e32 v71, 8, v71
	s_waitcnt vmcnt(0) lgkmcnt(0)
	v_fma_f64 v[69:70], v[73:74], v[75:76], v[69:70]
	s_andn2_b64 exec, exec, s[6:7]
	s_cbranch_execnz .LBB97_645
; %bb.646:
	s_or_b64 exec, exec, s[6:7]
.LBB97_647:
	s_or_b64 exec, exec, s[4:5]
	v_mov_b32_e32 v0, 0
	ds_read_b64 v[71:72], v0 offset:264
	s_waitcnt lgkmcnt(0)
	v_mul_f64 v[69:70], v[69:70], v[71:72]
	buffer_store_dword v70, off, s[0:3], 0 offset:268
	buffer_store_dword v69, off, s[0:3], 0 offset:264
.LBB97_648:
	s_or_b64 exec, exec, s[8:9]
.LBB97_649:
	buffer_load_dword v69, off, s[0:3], 0
	buffer_load_dword v70, off, s[0:3], 0 offset:4
	s_waitcnt vmcnt(0)
	flat_store_dwordx2 v[1:2], v[69:70]
	buffer_load_dword v0, off, s[0:3], 0 offset:8
	s_nop 0
	buffer_load_dword v1, off, s[0:3], 0 offset:12
	s_waitcnt vmcnt(0)
	flat_store_dwordx2 v[3:4], v[0:1]
	buffer_load_dword v0, off, s[0:3], 0 offset:16
	s_nop 0
	;; [unrolled: 5-line block ×33, first 2 shown]
	buffer_load_dword v1, off, s[0:3], 0 offset:268
	s_waitcnt vmcnt(0)
	flat_store_dwordx2 v[67:68], v[0:1]
.LBB97_650:
	s_endpgm
	.section	.rodata,"a",@progbits
	.p2align	6, 0x0
	.amdhsa_kernel _ZN9rocsolver6v33100L18trti2_kernel_smallILi34EdPKPdEEv13rocblas_fill_17rocblas_diagonal_T1_iil
		.amdhsa_group_segment_fixed_size 544
		.amdhsa_private_segment_fixed_size 288
		.amdhsa_kernarg_size 32
		.amdhsa_user_sgpr_count 6
		.amdhsa_user_sgpr_private_segment_buffer 1
		.amdhsa_user_sgpr_dispatch_ptr 0
		.amdhsa_user_sgpr_queue_ptr 0
		.amdhsa_user_sgpr_kernarg_segment_ptr 1
		.amdhsa_user_sgpr_dispatch_id 0
		.amdhsa_user_sgpr_flat_scratch_init 0
		.amdhsa_user_sgpr_private_segment_size 0
		.amdhsa_uses_dynamic_stack 0
		.amdhsa_system_sgpr_private_segment_wavefront_offset 1
		.amdhsa_system_sgpr_workgroup_id_x 1
		.amdhsa_system_sgpr_workgroup_id_y 0
		.amdhsa_system_sgpr_workgroup_id_z 0
		.amdhsa_system_sgpr_workgroup_info 0
		.amdhsa_system_vgpr_workitem_id 0
		.amdhsa_next_free_vgpr 82
		.amdhsa_next_free_sgpr 47
		.amdhsa_reserve_vcc 1
		.amdhsa_reserve_flat_scratch 0
		.amdhsa_float_round_mode_32 0
		.amdhsa_float_round_mode_16_64 0
		.amdhsa_float_denorm_mode_32 3
		.amdhsa_float_denorm_mode_16_64 3
		.amdhsa_dx10_clamp 1
		.amdhsa_ieee_mode 1
		.amdhsa_fp16_overflow 0
		.amdhsa_exception_fp_ieee_invalid_op 0
		.amdhsa_exception_fp_denorm_src 0
		.amdhsa_exception_fp_ieee_div_zero 0
		.amdhsa_exception_fp_ieee_overflow 0
		.amdhsa_exception_fp_ieee_underflow 0
		.amdhsa_exception_fp_ieee_inexact 0
		.amdhsa_exception_int_div_zero 0
	.end_amdhsa_kernel
	.section	.text._ZN9rocsolver6v33100L18trti2_kernel_smallILi34EdPKPdEEv13rocblas_fill_17rocblas_diagonal_T1_iil,"axG",@progbits,_ZN9rocsolver6v33100L18trti2_kernel_smallILi34EdPKPdEEv13rocblas_fill_17rocblas_diagonal_T1_iil,comdat
.Lfunc_end97:
	.size	_ZN9rocsolver6v33100L18trti2_kernel_smallILi34EdPKPdEEv13rocblas_fill_17rocblas_diagonal_T1_iil, .Lfunc_end97-_ZN9rocsolver6v33100L18trti2_kernel_smallILi34EdPKPdEEv13rocblas_fill_17rocblas_diagonal_T1_iil
                                        ; -- End function
	.set _ZN9rocsolver6v33100L18trti2_kernel_smallILi34EdPKPdEEv13rocblas_fill_17rocblas_diagonal_T1_iil.num_vgpr, 82
	.set _ZN9rocsolver6v33100L18trti2_kernel_smallILi34EdPKPdEEv13rocblas_fill_17rocblas_diagonal_T1_iil.num_agpr, 0
	.set _ZN9rocsolver6v33100L18trti2_kernel_smallILi34EdPKPdEEv13rocblas_fill_17rocblas_diagonal_T1_iil.numbered_sgpr, 47
	.set _ZN9rocsolver6v33100L18trti2_kernel_smallILi34EdPKPdEEv13rocblas_fill_17rocblas_diagonal_T1_iil.num_named_barrier, 0
	.set _ZN9rocsolver6v33100L18trti2_kernel_smallILi34EdPKPdEEv13rocblas_fill_17rocblas_diagonal_T1_iil.private_seg_size, 288
	.set _ZN9rocsolver6v33100L18trti2_kernel_smallILi34EdPKPdEEv13rocblas_fill_17rocblas_diagonal_T1_iil.uses_vcc, 1
	.set _ZN9rocsolver6v33100L18trti2_kernel_smallILi34EdPKPdEEv13rocblas_fill_17rocblas_diagonal_T1_iil.uses_flat_scratch, 0
	.set _ZN9rocsolver6v33100L18trti2_kernel_smallILi34EdPKPdEEv13rocblas_fill_17rocblas_diagonal_T1_iil.has_dyn_sized_stack, 0
	.set _ZN9rocsolver6v33100L18trti2_kernel_smallILi34EdPKPdEEv13rocblas_fill_17rocblas_diagonal_T1_iil.has_recursion, 0
	.set _ZN9rocsolver6v33100L18trti2_kernel_smallILi34EdPKPdEEv13rocblas_fill_17rocblas_diagonal_T1_iil.has_indirect_call, 0
	.section	.AMDGPU.csdata,"",@progbits
; Kernel info:
; codeLenInByte = 19972
; TotalNumSgprs: 51
; NumVgprs: 82
; ScratchSize: 288
; MemoryBound: 0
; FloatMode: 240
; IeeeMode: 1
; LDSByteSize: 544 bytes/workgroup (compile time only)
; SGPRBlocks: 6
; VGPRBlocks: 20
; NumSGPRsForWavesPerEU: 51
; NumVGPRsForWavesPerEU: 82
; Occupancy: 3
; WaveLimiterHint : 1
; COMPUTE_PGM_RSRC2:SCRATCH_EN: 1
; COMPUTE_PGM_RSRC2:USER_SGPR: 6
; COMPUTE_PGM_RSRC2:TRAP_HANDLER: 0
; COMPUTE_PGM_RSRC2:TGID_X_EN: 1
; COMPUTE_PGM_RSRC2:TGID_Y_EN: 0
; COMPUTE_PGM_RSRC2:TGID_Z_EN: 0
; COMPUTE_PGM_RSRC2:TIDIG_COMP_CNT: 0
	.section	.text._ZN9rocsolver6v33100L18trti2_kernel_smallILi35EdPKPdEEv13rocblas_fill_17rocblas_diagonal_T1_iil,"axG",@progbits,_ZN9rocsolver6v33100L18trti2_kernel_smallILi35EdPKPdEEv13rocblas_fill_17rocblas_diagonal_T1_iil,comdat
	.globl	_ZN9rocsolver6v33100L18trti2_kernel_smallILi35EdPKPdEEv13rocblas_fill_17rocblas_diagonal_T1_iil ; -- Begin function _ZN9rocsolver6v33100L18trti2_kernel_smallILi35EdPKPdEEv13rocblas_fill_17rocblas_diagonal_T1_iil
	.p2align	8
	.type	_ZN9rocsolver6v33100L18trti2_kernel_smallILi35EdPKPdEEv13rocblas_fill_17rocblas_diagonal_T1_iil,@function
_ZN9rocsolver6v33100L18trti2_kernel_smallILi35EdPKPdEEv13rocblas_fill_17rocblas_diagonal_T1_iil: ; @_ZN9rocsolver6v33100L18trti2_kernel_smallILi35EdPKPdEEv13rocblas_fill_17rocblas_diagonal_T1_iil
; %bb.0:
	s_add_u32 s0, s0, s7
	s_addc_u32 s1, s1, 0
	v_cmp_gt_u32_e32 vcc, 35, v0
	s_and_saveexec_b64 s[8:9], vcc
	s_cbranch_execz .LBB98_670
; %bb.1:
	s_load_dwordx2 s[12:13], s[4:5], 0x10
	s_load_dwordx4 s[8:11], s[4:5], 0x0
	s_ashr_i32 s7, s6, 31
	s_lshl_b64 s[6:7], s[6:7], 3
	v_lshlrev_b32_e32 v73, 3, v0
	s_waitcnt lgkmcnt(0)
	s_ashr_i32 s5, s12, 31
	s_add_u32 s6, s10, s6
	s_addc_u32 s7, s11, s7
	s_load_dwordx2 s[6:7], s[6:7], 0x0
	s_mov_b32 s4, s12
	s_lshl_b64 s[4:5], s[4:5], 3
	s_waitcnt lgkmcnt(0)
	s_add_u32 s4, s6, s4
	s_addc_u32 s5, s7, s5
	v_mov_b32_e32 v2, s5
	v_add_co_u32_e32 v1, vcc, s4, v73
	v_addc_co_u32_e32 v2, vcc, 0, v2, vcc
	flat_load_dwordx2 v[5:6], v[1:2]
	s_mov_b32 s6, s13
	s_ashr_i32 s7, s13, 31
	s_lshl_b64 s[6:7], s[6:7], 3
	v_mov_b32_e32 v4, s7
	v_add_co_u32_e32 v3, vcc, s6, v1
	v_addc_co_u32_e32 v4, vcc, v2, v4, vcc
	s_add_i32 s6, s13, s13
	v_add_u32_e32 v9, s6, v0
	v_ashrrev_i32_e32 v10, 31, v9
	v_mov_b32_e32 v11, s5
	v_add_u32_e32 v12, s13, v9
	v_ashrrev_i32_e32 v13, 31, v12
	v_mov_b32_e32 v14, s5
	v_mov_b32_e32 v15, s5
	v_mov_b32_e32 v17, s5
	v_mov_b32_e32 v20, s5
	v_mov_b32_e32 v21, s5
	v_mov_b32_e32 v23, s5
	v_mov_b32_e32 v26, s5
	v_mov_b32_e32 v27, s5
	v_mov_b32_e32 v29, s5
	v_mov_b32_e32 v32, s5
	v_mov_b32_e32 v33, s5
	v_mov_b32_e32 v35, s5
	v_mov_b32_e32 v38, s5
	v_mov_b32_e32 v39, s5
	v_mov_b32_e32 v41, s5
	v_mov_b32_e32 v44, s5
	v_mov_b32_e32 v45, s5
	v_mov_b32_e32 v47, s5
	v_mov_b32_e32 v50, s5
	v_mov_b32_e32 v51, s5
	v_mov_b32_e32 v53, s5
	v_mov_b32_e32 v56, s5
	v_mov_b32_e32 v57, s5
	v_mov_b32_e32 v59, s5
	v_mov_b32_e32 v62, s5
	v_mov_b32_e32 v63, s5
	v_mov_b32_e32 v65, s5
	v_mov_b32_e32 v68, s5
	v_mov_b32_e32 v69, s5
	v_mov_b32_e32 v71, s5
	v_mov_b32_e32 v72, s5
	s_cmpk_lg_i32 s9, 0x84
	s_cselect_b64 s[10:11], -1, 0
	s_cmpk_eq_i32 s9, 0x84
	s_waitcnt vmcnt(0) lgkmcnt(0)
	buffer_store_dword v6, off, s[0:3], 0 offset:4
	buffer_store_dword v5, off, s[0:3], 0
	flat_load_dwordx2 v[7:8], v[3:4]
	v_lshlrev_b64 v[5:6], 3, v[9:10]
	s_waitcnt vmcnt(0) lgkmcnt(0)
	buffer_store_dword v8, off, s[0:3], 0 offset:12
	buffer_store_dword v7, off, s[0:3], 0 offset:8
	v_add_co_u32_e32 v5, vcc, s4, v5
	v_addc_co_u32_e32 v6, vcc, v11, v6, vcc
	flat_load_dwordx2 v[10:11], v[5:6]
	v_lshlrev_b64 v[7:8], 3, v[12:13]
	s_waitcnt vmcnt(0) lgkmcnt(0)
	buffer_store_dword v11, off, s[0:3], 0 offset:20
	buffer_store_dword v10, off, s[0:3], 0 offset:16
	v_add_co_u32_e32 v7, vcc, s4, v7
	v_addc_co_u32_e32 v8, vcc, v14, v8, vcc
	flat_load_dwordx2 v[13:14], v[7:8]
	v_add_u32_e32 v11, s13, v12
	v_ashrrev_i32_e32 v12, 31, v11
	v_lshlrev_b64 v[9:10], 3, v[11:12]
	s_waitcnt vmcnt(0) lgkmcnt(0)
	buffer_store_dword v14, off, s[0:3], 0 offset:28
	buffer_store_dword v13, off, s[0:3], 0 offset:24
	v_add_co_u32_e32 v9, vcc, s4, v9
	v_addc_co_u32_e32 v10, vcc, v15, v10, vcc
	flat_load_dwordx2 v[13:14], v[9:10]
	v_add_u32_e32 v15, s13, v11
	v_ashrrev_i32_e32 v16, 31, v15
	v_lshlrev_b64 v[11:12], 3, v[15:16]
	v_add_u32_e32 v18, s13, v15
	v_add_co_u32_e32 v11, vcc, s4, v11
	v_addc_co_u32_e32 v12, vcc, v17, v12, vcc
	v_ashrrev_i32_e32 v19, 31, v18
	s_waitcnt vmcnt(0) lgkmcnt(0)
	buffer_store_dword v14, off, s[0:3], 0 offset:36
	buffer_store_dword v13, off, s[0:3], 0 offset:32
	flat_load_dwordx2 v[16:17], v[11:12]
	v_lshlrev_b64 v[13:14], 3, v[18:19]
	s_waitcnt vmcnt(0) lgkmcnt(0)
	buffer_store_dword v17, off, s[0:3], 0 offset:44
	buffer_store_dword v16, off, s[0:3], 0 offset:40
	v_add_co_u32_e32 v13, vcc, s4, v13
	v_addc_co_u32_e32 v14, vcc, v20, v14, vcc
	flat_load_dwordx2 v[19:20], v[13:14]
	v_add_u32_e32 v17, s13, v18
	v_ashrrev_i32_e32 v18, 31, v17
	v_lshlrev_b64 v[15:16], 3, v[17:18]
	s_waitcnt vmcnt(0) lgkmcnt(0)
	buffer_store_dword v20, off, s[0:3], 0 offset:52
	buffer_store_dword v19, off, s[0:3], 0 offset:48
	v_add_co_u32_e32 v15, vcc, s4, v15
	v_addc_co_u32_e32 v16, vcc, v21, v16, vcc
	flat_load_dwordx2 v[19:20], v[15:16]
	v_add_u32_e32 v21, s13, v17
	v_ashrrev_i32_e32 v22, 31, v21
	v_lshlrev_b64 v[17:18], 3, v[21:22]
	v_add_u32_e32 v24, s13, v21
	v_add_co_u32_e32 v17, vcc, s4, v17
	v_addc_co_u32_e32 v18, vcc, v23, v18, vcc
	v_ashrrev_i32_e32 v25, 31, v24
	s_waitcnt vmcnt(0) lgkmcnt(0)
	buffer_store_dword v20, off, s[0:3], 0 offset:60
	buffer_store_dword v19, off, s[0:3], 0 offset:56
	;; [unrolled: 27-line block ×7, first 2 shown]
	flat_load_dwordx2 v[52:53], v[47:48]
	v_lshlrev_b64 v[49:50], 3, v[54:55]
	s_waitcnt vmcnt(0) lgkmcnt(0)
	buffer_store_dword v53, off, s[0:3], 0 offset:188
	buffer_store_dword v52, off, s[0:3], 0 offset:184
	v_add_co_u32_e32 v49, vcc, s4, v49
	v_addc_co_u32_e32 v50, vcc, v56, v50, vcc
	flat_load_dwordx2 v[55:56], v[49:50]
	v_add_u32_e32 v53, s13, v54
	v_ashrrev_i32_e32 v54, 31, v53
	v_lshlrev_b64 v[51:52], 3, v[53:54]
	s_waitcnt vmcnt(0) lgkmcnt(0)
	buffer_store_dword v56, off, s[0:3], 0 offset:196
	buffer_store_dword v55, off, s[0:3], 0 offset:192
	v_add_co_u32_e32 v51, vcc, s4, v51
	v_addc_co_u32_e32 v52, vcc, v57, v52, vcc
	flat_load_dwordx2 v[55:56], v[51:52]
	v_add_u32_e32 v57, s13, v53
	v_ashrrev_i32_e32 v58, 31, v57
	v_lshlrev_b64 v[53:54], 3, v[57:58]
	v_add_u32_e32 v60, s13, v57
	v_add_co_u32_e32 v53, vcc, s4, v53
	v_addc_co_u32_e32 v54, vcc, v59, v54, vcc
	s_waitcnt vmcnt(0) lgkmcnt(0)
	buffer_store_dword v56, off, s[0:3], 0 offset:204
	buffer_store_dword v55, off, s[0:3], 0 offset:200
	flat_load_dwordx2 v[58:59], v[53:54]
	v_ashrrev_i32_e32 v61, 31, v60
	v_lshlrev_b64 v[55:56], 3, v[60:61]
	s_waitcnt vmcnt(0) lgkmcnt(0)
	buffer_store_dword v59, off, s[0:3], 0 offset:212
	buffer_store_dword v58, off, s[0:3], 0 offset:208
	v_add_co_u32_e32 v55, vcc, s4, v55
	v_addc_co_u32_e32 v56, vcc, v62, v56, vcc
	flat_load_dwordx2 v[61:62], v[55:56]
	v_add_u32_e32 v59, s13, v60
	v_ashrrev_i32_e32 v60, 31, v59
	v_lshlrev_b64 v[57:58], 3, v[59:60]
	s_waitcnt vmcnt(0) lgkmcnt(0)
	buffer_store_dword v62, off, s[0:3], 0 offset:220
	buffer_store_dword v61, off, s[0:3], 0 offset:216
	v_add_co_u32_e32 v57, vcc, s4, v57
	v_addc_co_u32_e32 v58, vcc, v63, v58, vcc
	flat_load_dwordx2 v[61:62], v[57:58]
	v_add_u32_e32 v63, s13, v59
	;; [unrolled: 9-line block ×7, first 2 shown]
	v_ashrrev_i32_e32 v70, 31, v69
	v_lshlrev_b64 v[69:70], 3, v[69:70]
	v_mov_b32_e32 v75, s5
	v_add_co_u32_e32 v69, vcc, s4, v69
	v_addc_co_u32_e32 v70, vcc, v75, v70, vcc
	s_waitcnt vmcnt(0) lgkmcnt(0)
	buffer_store_dword v72, off, s[0:3], 0 offset:268
	buffer_store_dword v71, off, s[0:3], 0 offset:264
	flat_load_dwordx2 v[74:75], v[69:70]
	v_mov_b32_e32 v71, 0
	v_mov_b32_e32 v72, 0xbff00000
	s_waitcnt vmcnt(0) lgkmcnt(0)
	buffer_store_dword v75, off, s[0:3], 0 offset:276
	buffer_store_dword v74, off, s[0:3], 0 offset:272
	s_cbranch_scc1 .LBB98_3
; %bb.2:
	v_mov_b32_e32 v71, 0
	v_lshl_add_u32 v82, v0, 3, v71
	buffer_load_dword v71, v82, s[0:3], 0 offen
	buffer_load_dword v72, v82, s[0:3], 0 offen offset:4
	s_waitcnt vmcnt(0)
	v_div_scale_f64 v[74:75], s[4:5], v[71:72], v[71:72], 1.0
	v_rcp_f64_e32 v[76:77], v[74:75]
	v_fma_f64 v[78:79], -v[74:75], v[76:77], 1.0
	v_fma_f64 v[76:77], v[76:77], v[78:79], v[76:77]
	v_div_scale_f64 v[78:79], vcc, 1.0, v[71:72], 1.0
	v_fma_f64 v[80:81], -v[74:75], v[76:77], 1.0
	v_fma_f64 v[76:77], v[76:77], v[80:81], v[76:77]
	v_mul_f64 v[80:81], v[78:79], v[76:77]
	v_fma_f64 v[74:75], -v[74:75], v[80:81], v[78:79]
	v_div_fmas_f64 v[74:75], v[74:75], v[76:77], v[80:81]
	v_div_fixup_f64 v[71:72], v[74:75], v[71:72], 1.0
	buffer_store_dword v71, v82, s[0:3], 0 offen
	buffer_store_dword v72, v82, s[0:3], 0 offen offset:4
	v_xor_b32_e32 v72, 0x80000000, v72
.LBB98_3:
	s_cmpk_eq_i32 s8, 0x79
	v_add_u32_e32 v74, 0x120, v73
	v_mov_b32_e32 v75, v73
	s_mov_b64 s[4:5], -1
	ds_write_b64 v73, v[71:72]
	s_cbranch_scc1 .LBB98_337
; %bb.4:
	buffer_load_dword v71, off, s[0:3], 0 offset:264
	buffer_load_dword v72, off, s[0:3], 0 offset:268
	s_movk_i32 s12, 0x48
	s_movk_i32 s13, 0x50
	;; [unrolled: 1-line block ×24, first 2 shown]
	v_cmp_eq_u32_e64 s[4:5], 34, v0
	s_waitcnt vmcnt(0)
	ds_write_b64 v74, v[71:72]
	s_waitcnt lgkmcnt(0)
	; wave barrier
	s_and_saveexec_b64 s[6:7], s[4:5]
	s_cbranch_execz .LBB98_10
; %bb.5:
	s_and_b64 vcc, exec, s[10:11]
	s_cbranch_vccz .LBB98_7
; %bb.6:
	buffer_load_dword v71, v75, s[0:3], 0 offen
	buffer_load_dword v72, v75, s[0:3], 0 offen offset:4
	ds_read_b64 v[76:77], v74
	s_waitcnt vmcnt(0) lgkmcnt(0)
	v_mul_f64 v[71:72], v[71:72], v[76:77]
	s_cbranch_execz .LBB98_8
	s_branch .LBB98_9
.LBB98_7:
                                        ; implicit-def: $vgpr71_vgpr72
.LBB98_8:
	ds_read_b64 v[71:72], v74
.LBB98_9:
	v_mov_b32_e32 v76, 0
	ds_read_b64 v[76:77], v76 offset:264
	s_waitcnt lgkmcnt(0)
	v_mul_f64 v[71:72], v[71:72], v[76:77]
	buffer_store_dword v72, off, s[0:3], 0 offset:268
	buffer_store_dword v71, off, s[0:3], 0 offset:264
.LBB98_10:
	s_or_b64 exec, exec, s[6:7]
	buffer_load_dword v71, off, s[0:3], 0 offset:256
	buffer_load_dword v72, off, s[0:3], 0 offset:260
	s_or_b32 s14, 0, 8
	s_mov_b32 s15, 16
	s_mov_b32 s16, 24
	;; [unrolled: 1-line block ×9, first 2 shown]
	v_cmp_lt_u32_e64 s[6:7], 32, v0
	s_waitcnt vmcnt(0)
	ds_write_b64 v74, v[71:72]
	s_waitcnt lgkmcnt(0)
	; wave barrier
	s_and_saveexec_b64 s[8:9], s[6:7]
	s_cbranch_execz .LBB98_16
; %bb.11:
	s_andn2_b64 vcc, exec, s[10:11]
	s_cbranch_vccnz .LBB98_13
; %bb.12:
	buffer_load_dword v71, v75, s[0:3], 0 offen
	buffer_load_dword v72, v75, s[0:3], 0 offen offset:4
	ds_read_b64 v[76:77], v74
	s_waitcnt vmcnt(0) lgkmcnt(0)
	v_mul_f64 v[71:72], v[71:72], v[76:77]
	s_cbranch_execz .LBB98_14
	s_branch .LBB98_15
.LBB98_13:
                                        ; implicit-def: $vgpr71_vgpr72
.LBB98_14:
	ds_read_b64 v[71:72], v74
.LBB98_15:
	buffer_load_dword v80, off, s[0:3], 0 offset:264
	buffer_load_dword v81, off, s[0:3], 0 offset:268
	v_mov_b32_e32 v76, 0
	ds_read2_b64 v[76:79], v76 offset0:32 offset1:69
	s_waitcnt vmcnt(0) lgkmcnt(0)
	v_fma_f64 v[78:79], v[80:81], v[78:79], v[71:72]
	v_cndmask_b32_e64 v72, v72, v79, s[4:5]
	v_cndmask_b32_e64 v71, v71, v78, s[4:5]
	v_mul_f64 v[71:72], v[71:72], v[76:77]
	buffer_store_dword v72, off, s[0:3], 0 offset:260
	buffer_store_dword v71, off, s[0:3], 0 offset:256
.LBB98_16:
	s_or_b64 exec, exec, s[8:9]
	buffer_load_dword v71, off, s[0:3], 0 offset:248
	buffer_load_dword v72, off, s[0:3], 0 offset:252
	v_cmp_lt_u32_e64 s[4:5], 31, v0
	s_waitcnt vmcnt(0)
	ds_write_b64 v74, v[71:72]
	s_waitcnt lgkmcnt(0)
	; wave barrier
	s_and_saveexec_b64 s[8:9], s[4:5]
	s_cbranch_execz .LBB98_26
; %bb.17:
	s_andn2_b64 vcc, exec, s[10:11]
	s_cbranch_vccnz .LBB98_19
; %bb.18:
	buffer_load_dword v71, v75, s[0:3], 0 offen
	buffer_load_dword v72, v75, s[0:3], 0 offen offset:4
	ds_read_b64 v[76:77], v74
	s_waitcnt vmcnt(0) lgkmcnt(0)
	v_mul_f64 v[71:72], v[71:72], v[76:77]
	s_cbranch_execz .LBB98_20
	s_branch .LBB98_21
.LBB98_19:
                                        ; implicit-def: $vgpr71_vgpr72
.LBB98_20:
	ds_read_b64 v[71:72], v74
.LBB98_21:
	s_and_saveexec_b64 s[12:13], s[6:7]
	s_cbranch_execz .LBB98_25
; %bb.22:
	v_subrev_u32_e32 v76, 32, v0
	s_movk_i32 s47, 0x220
	s_mov_b64 s[6:7], 0
.LBB98_23:                              ; =>This Inner Loop Header: Depth=1
	v_mov_b32_e32 v79, s46
	buffer_load_dword v77, v79, s[0:3], 0 offen
	buffer_load_dword v78, v79, s[0:3], 0 offen offset:4
	v_mov_b32_e32 v79, s47
	ds_read_b64 v[79:80], v79
	v_add_u32_e32 v76, -1, v76
	s_add_i32 s47, s47, 8
	s_add_i32 s46, s46, 8
	v_cmp_eq_u32_e32 vcc, 0, v76
	s_or_b64 s[6:7], vcc, s[6:7]
	s_waitcnt vmcnt(0) lgkmcnt(0)
	v_fma_f64 v[71:72], v[77:78], v[79:80], v[71:72]
	s_andn2_b64 exec, exec, s[6:7]
	s_cbranch_execnz .LBB98_23
; %bb.24:
	s_or_b64 exec, exec, s[6:7]
.LBB98_25:
	s_or_b64 exec, exec, s[12:13]
	v_mov_b32_e32 v76, 0
	ds_read_b64 v[76:77], v76 offset:248
	s_waitcnt lgkmcnt(0)
	v_mul_f64 v[71:72], v[71:72], v[76:77]
	buffer_store_dword v72, off, s[0:3], 0 offset:252
	buffer_store_dword v71, off, s[0:3], 0 offset:248
.LBB98_26:
	s_or_b64 exec, exec, s[8:9]
	buffer_load_dword v71, off, s[0:3], 0 offset:240
	buffer_load_dword v72, off, s[0:3], 0 offset:244
	v_cmp_lt_u32_e64 s[6:7], 30, v0
	s_waitcnt vmcnt(0)
	ds_write_b64 v74, v[71:72]
	s_waitcnt lgkmcnt(0)
	; wave barrier
	s_and_saveexec_b64 s[8:9], s[6:7]
	s_cbranch_execz .LBB98_36
; %bb.27:
	s_andn2_b64 vcc, exec, s[10:11]
	s_cbranch_vccnz .LBB98_29
; %bb.28:
	buffer_load_dword v71, v75, s[0:3], 0 offen
	buffer_load_dword v72, v75, s[0:3], 0 offen offset:4
	ds_read_b64 v[76:77], v74
	s_waitcnt vmcnt(0) lgkmcnt(0)
	v_mul_f64 v[71:72], v[71:72], v[76:77]
	s_cbranch_execz .LBB98_30
	s_branch .LBB98_31
.LBB98_29:
                                        ; implicit-def: $vgpr71_vgpr72
.LBB98_30:
	ds_read_b64 v[71:72], v74
.LBB98_31:
	s_and_saveexec_b64 s[12:13], s[4:5]
	s_cbranch_execz .LBB98_35
; %bb.32:
	v_subrev_u32_e32 v76, 31, v0
	s_movk_i32 s46, 0x218
	s_mov_b64 s[4:5], 0
.LBB98_33:                              ; =>This Inner Loop Header: Depth=1
	v_mov_b32_e32 v79, s45
	buffer_load_dword v77, v79, s[0:3], 0 offen
	buffer_load_dword v78, v79, s[0:3], 0 offen offset:4
	v_mov_b32_e32 v79, s46
	ds_read_b64 v[79:80], v79
	v_add_u32_e32 v76, -1, v76
	s_add_i32 s46, s46, 8
	s_add_i32 s45, s45, 8
	v_cmp_eq_u32_e32 vcc, 0, v76
	s_or_b64 s[4:5], vcc, s[4:5]
	s_waitcnt vmcnt(0) lgkmcnt(0)
	v_fma_f64 v[71:72], v[77:78], v[79:80], v[71:72]
	s_andn2_b64 exec, exec, s[4:5]
	s_cbranch_execnz .LBB98_33
; %bb.34:
	s_or_b64 exec, exec, s[4:5]
.LBB98_35:
	s_or_b64 exec, exec, s[12:13]
	v_mov_b32_e32 v76, 0
	ds_read_b64 v[76:77], v76 offset:240
	s_waitcnt lgkmcnt(0)
	v_mul_f64 v[71:72], v[71:72], v[76:77]
	buffer_store_dword v72, off, s[0:3], 0 offset:244
	buffer_store_dword v71, off, s[0:3], 0 offset:240
.LBB98_36:
	;; [unrolled: 58-line block ×8, first 2 shown]
	s_or_b64 exec, exec, s[8:9]
	buffer_load_dword v71, off, s[0:3], 0 offset:184
	buffer_load_dword v72, off, s[0:3], 0 offset:188
	v_cmp_lt_u32_e64 s[4:5], 23, v0
	s_waitcnt vmcnt(0)
	ds_write_b64 v74, v[71:72]
	s_waitcnt lgkmcnt(0)
	; wave barrier
	s_and_saveexec_b64 s[8:9], s[4:5]
	s_cbranch_execz .LBB98_106
; %bb.97:
	s_andn2_b64 vcc, exec, s[10:11]
	s_cbranch_vccnz .LBB98_99
; %bb.98:
	buffer_load_dword v71, v75, s[0:3], 0 offen
	buffer_load_dword v72, v75, s[0:3], 0 offen offset:4
	ds_read_b64 v[76:77], v74
	s_waitcnt vmcnt(0) lgkmcnt(0)
	v_mul_f64 v[71:72], v[71:72], v[76:77]
	s_cbranch_execz .LBB98_100
	s_branch .LBB98_101
.LBB98_99:
                                        ; implicit-def: $vgpr71_vgpr72
.LBB98_100:
	ds_read_b64 v[71:72], v74
.LBB98_101:
	s_and_saveexec_b64 s[12:13], s[6:7]
	s_cbranch_execz .LBB98_105
; %bb.102:
	v_subrev_u32_e32 v76, 24, v0
	s_movk_i32 s39, 0x1e0
	s_mov_b64 s[6:7], 0
.LBB98_103:                             ; =>This Inner Loop Header: Depth=1
	v_mov_b32_e32 v79, s38
	buffer_load_dword v77, v79, s[0:3], 0 offen
	buffer_load_dword v78, v79, s[0:3], 0 offen offset:4
	v_mov_b32_e32 v79, s39
	ds_read_b64 v[79:80], v79
	v_add_u32_e32 v76, -1, v76
	s_add_i32 s39, s39, 8
	s_add_i32 s38, s38, 8
	v_cmp_eq_u32_e32 vcc, 0, v76
	s_or_b64 s[6:7], vcc, s[6:7]
	s_waitcnt vmcnt(0) lgkmcnt(0)
	v_fma_f64 v[71:72], v[77:78], v[79:80], v[71:72]
	s_andn2_b64 exec, exec, s[6:7]
	s_cbranch_execnz .LBB98_103
; %bb.104:
	s_or_b64 exec, exec, s[6:7]
.LBB98_105:
	s_or_b64 exec, exec, s[12:13]
	v_mov_b32_e32 v76, 0
	ds_read_b64 v[76:77], v76 offset:184
	s_waitcnt lgkmcnt(0)
	v_mul_f64 v[71:72], v[71:72], v[76:77]
	buffer_store_dword v72, off, s[0:3], 0 offset:188
	buffer_store_dword v71, off, s[0:3], 0 offset:184
.LBB98_106:
	s_or_b64 exec, exec, s[8:9]
	buffer_load_dword v71, off, s[0:3], 0 offset:176
	buffer_load_dword v72, off, s[0:3], 0 offset:180
	v_cmp_lt_u32_e64 s[6:7], 22, v0
	s_waitcnt vmcnt(0)
	ds_write_b64 v74, v[71:72]
	s_waitcnt lgkmcnt(0)
	; wave barrier
	s_and_saveexec_b64 s[8:9], s[6:7]
	s_cbranch_execz .LBB98_116
; %bb.107:
	s_andn2_b64 vcc, exec, s[10:11]
	s_cbranch_vccnz .LBB98_109
; %bb.108:
	buffer_load_dword v71, v75, s[0:3], 0 offen
	buffer_load_dword v72, v75, s[0:3], 0 offen offset:4
	ds_read_b64 v[76:77], v74
	s_waitcnt vmcnt(0) lgkmcnt(0)
	v_mul_f64 v[71:72], v[71:72], v[76:77]
	s_cbranch_execz .LBB98_110
	s_branch .LBB98_111
.LBB98_109:
                                        ; implicit-def: $vgpr71_vgpr72
.LBB98_110:
	ds_read_b64 v[71:72], v74
.LBB98_111:
	s_and_saveexec_b64 s[12:13], s[4:5]
	s_cbranch_execz .LBB98_115
; %bb.112:
	v_subrev_u32_e32 v76, 23, v0
	s_movk_i32 s38, 0x1d8
	s_mov_b64 s[4:5], 0
.LBB98_113:                             ; =>This Inner Loop Header: Depth=1
	v_mov_b32_e32 v79, s37
	buffer_load_dword v77, v79, s[0:3], 0 offen
	buffer_load_dword v78, v79, s[0:3], 0 offen offset:4
	v_mov_b32_e32 v79, s38
	ds_read_b64 v[79:80], v79
	v_add_u32_e32 v76, -1, v76
	s_add_i32 s38, s38, 8
	s_add_i32 s37, s37, 8
	v_cmp_eq_u32_e32 vcc, 0, v76
	s_or_b64 s[4:5], vcc, s[4:5]
	s_waitcnt vmcnt(0) lgkmcnt(0)
	v_fma_f64 v[71:72], v[77:78], v[79:80], v[71:72]
	s_andn2_b64 exec, exec, s[4:5]
	s_cbranch_execnz .LBB98_113
; %bb.114:
	s_or_b64 exec, exec, s[4:5]
.LBB98_115:
	s_or_b64 exec, exec, s[12:13]
	v_mov_b32_e32 v76, 0
	ds_read_b64 v[76:77], v76 offset:176
	s_waitcnt lgkmcnt(0)
	v_mul_f64 v[71:72], v[71:72], v[76:77]
	buffer_store_dword v72, off, s[0:3], 0 offset:180
	buffer_store_dword v71, off, s[0:3], 0 offset:176
.LBB98_116:
	;; [unrolled: 58-line block ×8, first 2 shown]
	s_or_b64 exec, exec, s[8:9]
	buffer_load_dword v71, off, s[0:3], 0 offset:120
	buffer_load_dword v72, off, s[0:3], 0 offset:124
	v_cmp_lt_u32_e64 s[4:5], 15, v0
	s_waitcnt vmcnt(0)
	ds_write_b64 v74, v[71:72]
	s_waitcnt lgkmcnt(0)
	; wave barrier
	s_and_saveexec_b64 s[8:9], s[4:5]
	s_cbranch_execz .LBB98_186
; %bb.177:
	s_andn2_b64 vcc, exec, s[10:11]
	s_cbranch_vccnz .LBB98_179
; %bb.178:
	buffer_load_dword v71, v75, s[0:3], 0 offen
	buffer_load_dword v72, v75, s[0:3], 0 offen offset:4
	ds_read_b64 v[76:77], v74
	s_waitcnt vmcnt(0) lgkmcnt(0)
	v_mul_f64 v[71:72], v[71:72], v[76:77]
	s_cbranch_execz .LBB98_180
	s_branch .LBB98_181
.LBB98_179:
                                        ; implicit-def: $vgpr71_vgpr72
.LBB98_180:
	ds_read_b64 v[71:72], v74
.LBB98_181:
	s_and_saveexec_b64 s[12:13], s[6:7]
	s_cbranch_execz .LBB98_185
; %bb.182:
	v_add_u32_e32 v76, -16, v0
	s_movk_i32 s30, 0x1a0
	s_mov_b64 s[6:7], 0
.LBB98_183:                             ; =>This Inner Loop Header: Depth=1
	v_mov_b32_e32 v79, s29
	buffer_load_dword v77, v79, s[0:3], 0 offen
	buffer_load_dword v78, v79, s[0:3], 0 offen offset:4
	v_mov_b32_e32 v79, s30
	ds_read_b64 v[79:80], v79
	v_add_u32_e32 v76, -1, v76
	s_add_i32 s30, s30, 8
	s_add_i32 s29, s29, 8
	v_cmp_eq_u32_e32 vcc, 0, v76
	s_or_b64 s[6:7], vcc, s[6:7]
	s_waitcnt vmcnt(0) lgkmcnt(0)
	v_fma_f64 v[71:72], v[77:78], v[79:80], v[71:72]
	s_andn2_b64 exec, exec, s[6:7]
	s_cbranch_execnz .LBB98_183
; %bb.184:
	s_or_b64 exec, exec, s[6:7]
.LBB98_185:
	s_or_b64 exec, exec, s[12:13]
	v_mov_b32_e32 v76, 0
	ds_read_b64 v[76:77], v76 offset:120
	s_waitcnt lgkmcnt(0)
	v_mul_f64 v[71:72], v[71:72], v[76:77]
	buffer_store_dword v72, off, s[0:3], 0 offset:124
	buffer_store_dword v71, off, s[0:3], 0 offset:120
.LBB98_186:
	s_or_b64 exec, exec, s[8:9]
	buffer_load_dword v71, off, s[0:3], 0 offset:112
	buffer_load_dword v72, off, s[0:3], 0 offset:116
	v_cmp_lt_u32_e64 s[6:7], 14, v0
	s_waitcnt vmcnt(0)
	ds_write_b64 v74, v[71:72]
	s_waitcnt lgkmcnt(0)
	; wave barrier
	s_and_saveexec_b64 s[8:9], s[6:7]
	s_cbranch_execz .LBB98_196
; %bb.187:
	s_andn2_b64 vcc, exec, s[10:11]
	s_cbranch_vccnz .LBB98_189
; %bb.188:
	buffer_load_dword v71, v75, s[0:3], 0 offen
	buffer_load_dword v72, v75, s[0:3], 0 offen offset:4
	ds_read_b64 v[76:77], v74
	s_waitcnt vmcnt(0) lgkmcnt(0)
	v_mul_f64 v[71:72], v[71:72], v[76:77]
	s_cbranch_execz .LBB98_190
	s_branch .LBB98_191
.LBB98_189:
                                        ; implicit-def: $vgpr71_vgpr72
.LBB98_190:
	ds_read_b64 v[71:72], v74
.LBB98_191:
	s_and_saveexec_b64 s[12:13], s[4:5]
	s_cbranch_execz .LBB98_195
; %bb.192:
	v_add_u32_e32 v76, -15, v0
	s_movk_i32 s29, 0x198
	s_mov_b64 s[4:5], 0
.LBB98_193:                             ; =>This Inner Loop Header: Depth=1
	v_mov_b32_e32 v79, s28
	buffer_load_dword v77, v79, s[0:3], 0 offen
	buffer_load_dword v78, v79, s[0:3], 0 offen offset:4
	v_mov_b32_e32 v79, s29
	ds_read_b64 v[79:80], v79
	v_add_u32_e32 v76, -1, v76
	s_add_i32 s29, s29, 8
	s_add_i32 s28, s28, 8
	v_cmp_eq_u32_e32 vcc, 0, v76
	s_or_b64 s[4:5], vcc, s[4:5]
	s_waitcnt vmcnt(0) lgkmcnt(0)
	v_fma_f64 v[71:72], v[77:78], v[79:80], v[71:72]
	s_andn2_b64 exec, exec, s[4:5]
	s_cbranch_execnz .LBB98_193
; %bb.194:
	s_or_b64 exec, exec, s[4:5]
.LBB98_195:
	s_or_b64 exec, exec, s[12:13]
	v_mov_b32_e32 v76, 0
	ds_read_b64 v[76:77], v76 offset:112
	s_waitcnt lgkmcnt(0)
	v_mul_f64 v[71:72], v[71:72], v[76:77]
	buffer_store_dword v72, off, s[0:3], 0 offset:116
	buffer_store_dword v71, off, s[0:3], 0 offset:112
.LBB98_196:
	;; [unrolled: 58-line block ×15, first 2 shown]
	s_or_b64 exec, exec, s[8:9]
	buffer_load_dword v71, off, s[0:3], 0
	buffer_load_dword v72, off, s[0:3], 0 offset:4
	v_cmp_ne_u32_e32 vcc, 0, v0
	s_waitcnt vmcnt(0)
	ds_write_b64 v74, v[71:72]
	s_waitcnt lgkmcnt(0)
	; wave barrier
	s_and_saveexec_b64 s[6:7], vcc
	s_cbranch_execz .LBB98_336
; %bb.327:
	s_andn2_b64 vcc, exec, s[10:11]
	s_cbranch_vccnz .LBB98_329
; %bb.328:
	buffer_load_dword v71, v75, s[0:3], 0 offen
	buffer_load_dword v72, v75, s[0:3], 0 offen offset:4
	ds_read_b64 v[76:77], v74
	s_waitcnt vmcnt(0) lgkmcnt(0)
	v_mul_f64 v[71:72], v[71:72], v[76:77]
	s_cbranch_execz .LBB98_330
	s_branch .LBB98_331
.LBB98_329:
                                        ; implicit-def: $vgpr71_vgpr72
.LBB98_330:
	ds_read_b64 v[71:72], v74
.LBB98_331:
	s_and_saveexec_b64 s[8:9], s[4:5]
	s_cbranch_execz .LBB98_335
; %bb.332:
	v_add_u32_e32 v76, -1, v0
	s_movk_i32 s12, 0x128
	s_mov_b64 s[4:5], 0
.LBB98_333:                             ; =>This Inner Loop Header: Depth=1
	v_mov_b32_e32 v79, s14
	buffer_load_dword v77, v79, s[0:3], 0 offen
	buffer_load_dword v78, v79, s[0:3], 0 offen offset:4
	v_mov_b32_e32 v79, s12
	ds_read_b64 v[79:80], v79
	v_add_u32_e32 v76, -1, v76
	s_add_i32 s12, s12, 8
	s_add_i32 s14, s14, 8
	v_cmp_eq_u32_e32 vcc, 0, v76
	s_or_b64 s[4:5], vcc, s[4:5]
	s_waitcnt vmcnt(0) lgkmcnt(0)
	v_fma_f64 v[71:72], v[77:78], v[79:80], v[71:72]
	s_andn2_b64 exec, exec, s[4:5]
	s_cbranch_execnz .LBB98_333
; %bb.334:
	s_or_b64 exec, exec, s[4:5]
.LBB98_335:
	s_or_b64 exec, exec, s[8:9]
	v_mov_b32_e32 v76, 0
	ds_read_b64 v[76:77], v76
	s_waitcnt lgkmcnt(0)
	v_mul_f64 v[71:72], v[71:72], v[76:77]
	buffer_store_dword v72, off, s[0:3], 0 offset:4
	buffer_store_dword v71, off, s[0:3], 0
.LBB98_336:
	s_or_b64 exec, exec, s[6:7]
	s_mov_b64 s[4:5], 0
.LBB98_337:
	s_and_b64 vcc, exec, s[4:5]
	s_cbranch_vccz .LBB98_669
; %bb.338:
	buffer_load_dword v71, off, s[0:3], 0 offset:8
	buffer_load_dword v72, off, s[0:3], 0 offset:12
	v_cmp_eq_u32_e64 s[6:7], 0, v0
	s_waitcnt vmcnt(0)
	ds_write_b64 v74, v[71:72]
	s_waitcnt lgkmcnt(0)
	; wave barrier
	s_and_saveexec_b64 s[4:5], s[6:7]
	s_cbranch_execz .LBB98_344
; %bb.339:
	s_and_b64 vcc, exec, s[10:11]
	s_cbranch_vccz .LBB98_341
; %bb.340:
	buffer_load_dword v71, v75, s[0:3], 0 offen
	buffer_load_dword v72, v75, s[0:3], 0 offen offset:4
	ds_read_b64 v[76:77], v74
	s_waitcnt vmcnt(0) lgkmcnt(0)
	v_mul_f64 v[71:72], v[71:72], v[76:77]
	s_cbranch_execz .LBB98_342
	s_branch .LBB98_343
.LBB98_341:
                                        ; implicit-def: $vgpr71_vgpr72
.LBB98_342:
	ds_read_b64 v[71:72], v74
.LBB98_343:
	v_mov_b32_e32 v76, 0
	ds_read_b64 v[76:77], v76 offset:8
	s_waitcnt lgkmcnt(0)
	v_mul_f64 v[71:72], v[71:72], v[76:77]
	buffer_store_dword v72, off, s[0:3], 0 offset:12
	buffer_store_dword v71, off, s[0:3], 0 offset:8
.LBB98_344:
	s_or_b64 exec, exec, s[4:5]
	buffer_load_dword v71, off, s[0:3], 0 offset:16
	buffer_load_dword v72, off, s[0:3], 0 offset:20
	v_cndmask_b32_e64 v76, 0, 1, s[10:11]
	v_cmp_gt_u32_e32 vcc, 2, v0
	v_cmp_ne_u32_e64 s[4:5], 1, v76
	s_waitcnt vmcnt(0)
	ds_write_b64 v74, v[71:72]
	s_waitcnt lgkmcnt(0)
	; wave barrier
	s_and_saveexec_b64 s[8:9], vcc
	s_cbranch_execz .LBB98_350
; %bb.345:
	s_and_b64 vcc, exec, s[4:5]
	s_cbranch_vccnz .LBB98_347
; %bb.346:
	buffer_load_dword v71, v75, s[0:3], 0 offen
	buffer_load_dword v72, v75, s[0:3], 0 offen offset:4
	ds_read_b64 v[76:77], v74
	s_waitcnt vmcnt(0) lgkmcnt(0)
	v_mul_f64 v[71:72], v[71:72], v[76:77]
	s_cbranch_execz .LBB98_348
	s_branch .LBB98_349
.LBB98_347:
                                        ; implicit-def: $vgpr71_vgpr72
.LBB98_348:
	ds_read_b64 v[71:72], v74
.LBB98_349:
	buffer_load_dword v80, off, s[0:3], 0 offset:8
	buffer_load_dword v81, off, s[0:3], 0 offset:12
	v_mov_b32_e32 v76, 0
	ds_read2_b64 v[76:79], v76 offset0:2 offset1:37
	s_waitcnt vmcnt(0) lgkmcnt(0)
	v_fma_f64 v[78:79], v[80:81], v[78:79], v[71:72]
	v_cndmask_b32_e64 v72, v72, v79, s[6:7]
	v_cndmask_b32_e64 v71, v71, v78, s[6:7]
	v_mul_f64 v[71:72], v[71:72], v[76:77]
	buffer_store_dword v72, off, s[0:3], 0 offset:20
	buffer_store_dword v71, off, s[0:3], 0 offset:16
.LBB98_350:
	s_or_b64 exec, exec, s[8:9]
	buffer_load_dword v71, off, s[0:3], 0 offset:24
	buffer_load_dword v72, off, s[0:3], 0 offset:28
	v_cmp_gt_u32_e32 vcc, 3, v0
	s_waitcnt vmcnt(0)
	ds_write_b64 v74, v[71:72]
	s_waitcnt lgkmcnt(0)
	; wave barrier
	s_and_saveexec_b64 s[8:9], vcc
	s_cbranch_execz .LBB98_358
; %bb.351:
	s_and_b64 vcc, exec, s[4:5]
	s_cbranch_vccnz .LBB98_353
; %bb.352:
	buffer_load_dword v71, v75, s[0:3], 0 offen
	buffer_load_dword v72, v75, s[0:3], 0 offen offset:4
	ds_read_b64 v[76:77], v74
	s_waitcnt vmcnt(0) lgkmcnt(0)
	v_mul_f64 v[71:72], v[71:72], v[76:77]
	s_cbranch_execz .LBB98_354
	s_branch .LBB98_355
.LBB98_353:
                                        ; implicit-def: $vgpr71_vgpr72
.LBB98_354:
	ds_read_b64 v[71:72], v74
.LBB98_355:
	v_cmp_ne_u32_e32 vcc, 2, v0
	s_and_saveexec_b64 s[10:11], vcc
	s_cbranch_execz .LBB98_357
; %bb.356:
	buffer_load_dword v76, v75, s[0:3], 0 offen offset:8
	buffer_load_dword v77, v75, s[0:3], 0 offen offset:12
	buffer_load_dword v78, off, s[0:3], 0 offset:16
	buffer_load_dword v79, off, s[0:3], 0 offset:20
	ds_read_b64 v[80:81], v74 offset:8
	v_mov_b32_e32 v82, 0
	ds_read_b64 v[82:83], v82 offset:304
	s_waitcnt vmcnt(2) lgkmcnt(1)
	v_fma_f64 v[71:72], v[76:77], v[80:81], v[71:72]
	s_waitcnt vmcnt(0) lgkmcnt(0)
	v_fma_f64 v[76:77], v[78:79], v[82:83], v[71:72]
	v_cndmask_b32_e64 v72, v72, v77, s[6:7]
	v_cndmask_b32_e64 v71, v71, v76, s[6:7]
.LBB98_357:
	s_or_b64 exec, exec, s[10:11]
	v_mov_b32_e32 v76, 0
	ds_read_b64 v[76:77], v76 offset:24
	s_waitcnt lgkmcnt(0)
	v_mul_f64 v[71:72], v[71:72], v[76:77]
	buffer_store_dword v72, off, s[0:3], 0 offset:28
	buffer_store_dword v71, off, s[0:3], 0 offset:24
.LBB98_358:
	s_or_b64 exec, exec, s[8:9]
	buffer_load_dword v71, off, s[0:3], 0 offset:32
	buffer_load_dword v72, off, s[0:3], 0 offset:36
	v_cmp_gt_u32_e32 vcc, 4, v0
	s_waitcnt vmcnt(0)
	ds_write_b64 v74, v[71:72]
	s_waitcnt lgkmcnt(0)
	; wave barrier
	s_and_saveexec_b64 s[6:7], vcc
	s_cbranch_execz .LBB98_368
; %bb.359:
	s_and_b64 vcc, exec, s[4:5]
	s_cbranch_vccnz .LBB98_361
; %bb.360:
	buffer_load_dword v71, v75, s[0:3], 0 offen
	buffer_load_dword v72, v75, s[0:3], 0 offen offset:4
	ds_read_b64 v[76:77], v74
	s_waitcnt vmcnt(0) lgkmcnt(0)
	v_mul_f64 v[71:72], v[71:72], v[76:77]
	s_cbranch_execz .LBB98_362
	s_branch .LBB98_363
.LBB98_361:
                                        ; implicit-def: $vgpr71_vgpr72
.LBB98_362:
	ds_read_b64 v[71:72], v74
.LBB98_363:
	v_cmp_ne_u32_e32 vcc, 3, v0
	s_and_saveexec_b64 s[8:9], vcc
	s_cbranch_execz .LBB98_367
; %bb.364:
	s_mov_b32 s10, 0
	v_add_u32_e32 v76, 0x128, v73
	v_add3_u32 v77, v73, s10, 8
	s_mov_b64 s[10:11], 0
	v_mov_b32_e32 v78, v0
.LBB98_365:                             ; =>This Inner Loop Header: Depth=1
	buffer_load_dword v79, v77, s[0:3], 0 offen
	buffer_load_dword v80, v77, s[0:3], 0 offen offset:4
	ds_read_b64 v[81:82], v76
	v_add_u32_e32 v78, 1, v78
	v_cmp_lt_u32_e32 vcc, 2, v78
	v_add_u32_e32 v76, 8, v76
	s_or_b64 s[10:11], vcc, s[10:11]
	v_add_u32_e32 v77, 8, v77
	s_waitcnt vmcnt(0) lgkmcnt(0)
	v_fma_f64 v[71:72], v[79:80], v[81:82], v[71:72]
	s_andn2_b64 exec, exec, s[10:11]
	s_cbranch_execnz .LBB98_365
; %bb.366:
	s_or_b64 exec, exec, s[10:11]
.LBB98_367:
	s_or_b64 exec, exec, s[8:9]
	v_mov_b32_e32 v76, 0
	ds_read_b64 v[76:77], v76 offset:32
	s_waitcnt lgkmcnt(0)
	v_mul_f64 v[71:72], v[71:72], v[76:77]
	buffer_store_dword v72, off, s[0:3], 0 offset:36
	buffer_store_dword v71, off, s[0:3], 0 offset:32
.LBB98_368:
	s_or_b64 exec, exec, s[6:7]
	buffer_load_dword v71, off, s[0:3], 0 offset:40
	buffer_load_dword v72, off, s[0:3], 0 offset:44
	v_cmp_gt_u32_e32 vcc, 5, v0
	s_waitcnt vmcnt(0)
	ds_write_b64 v74, v[71:72]
	s_waitcnt lgkmcnt(0)
	; wave barrier
	s_and_saveexec_b64 s[6:7], vcc
	s_cbranch_execz .LBB98_378
; %bb.369:
	s_and_b64 vcc, exec, s[4:5]
	s_cbranch_vccnz .LBB98_371
; %bb.370:
	buffer_load_dword v71, v75, s[0:3], 0 offen
	buffer_load_dword v72, v75, s[0:3], 0 offen offset:4
	ds_read_b64 v[76:77], v74
	s_waitcnt vmcnt(0) lgkmcnt(0)
	v_mul_f64 v[71:72], v[71:72], v[76:77]
	s_cbranch_execz .LBB98_372
	s_branch .LBB98_373
.LBB98_371:
                                        ; implicit-def: $vgpr71_vgpr72
.LBB98_372:
	ds_read_b64 v[71:72], v74
.LBB98_373:
	v_cmp_ne_u32_e32 vcc, 4, v0
	s_and_saveexec_b64 s[8:9], vcc
	s_cbranch_execz .LBB98_377
; %bb.374:
	s_mov_b32 s10, 0
	v_add_u32_e32 v76, 0x128, v73
	v_add3_u32 v77, v73, s10, 8
	s_mov_b64 s[10:11], 0
	v_mov_b32_e32 v78, v0
.LBB98_375:                             ; =>This Inner Loop Header: Depth=1
	buffer_load_dword v79, v77, s[0:3], 0 offen
	buffer_load_dword v80, v77, s[0:3], 0 offen offset:4
	ds_read_b64 v[81:82], v76
	v_add_u32_e32 v78, 1, v78
	v_cmp_lt_u32_e32 vcc, 3, v78
	v_add_u32_e32 v76, 8, v76
	s_or_b64 s[10:11], vcc, s[10:11]
	v_add_u32_e32 v77, 8, v77
	s_waitcnt vmcnt(0) lgkmcnt(0)
	v_fma_f64 v[71:72], v[79:80], v[81:82], v[71:72]
	s_andn2_b64 exec, exec, s[10:11]
	s_cbranch_execnz .LBB98_375
; %bb.376:
	s_or_b64 exec, exec, s[10:11]
.LBB98_377:
	s_or_b64 exec, exec, s[8:9]
	v_mov_b32_e32 v76, 0
	ds_read_b64 v[76:77], v76 offset:40
	s_waitcnt lgkmcnt(0)
	v_mul_f64 v[71:72], v[71:72], v[76:77]
	buffer_store_dword v72, off, s[0:3], 0 offset:44
	buffer_store_dword v71, off, s[0:3], 0 offset:40
.LBB98_378:
	;; [unrolled: 59-line block ×29, first 2 shown]
	s_or_b64 exec, exec, s[6:7]
	buffer_load_dword v71, off, s[0:3], 0 offset:264
	buffer_load_dword v72, off, s[0:3], 0 offset:268
	v_cmp_gt_u32_e64 s[6:7], 33, v0
	s_waitcnt vmcnt(0)
	ds_write_b64 v74, v[71:72]
	s_waitcnt lgkmcnt(0)
	; wave barrier
	s_and_saveexec_b64 s[8:9], s[6:7]
	s_cbranch_execz .LBB98_658
; %bb.649:
	s_and_b64 vcc, exec, s[4:5]
	s_cbranch_vccnz .LBB98_651
; %bb.650:
	buffer_load_dword v71, v75, s[0:3], 0 offen
	buffer_load_dword v72, v75, s[0:3], 0 offen offset:4
	ds_read_b64 v[76:77], v74
	s_waitcnt vmcnt(0) lgkmcnt(0)
	v_mul_f64 v[71:72], v[71:72], v[76:77]
	s_cbranch_execz .LBB98_652
	s_branch .LBB98_653
.LBB98_651:
                                        ; implicit-def: $vgpr71_vgpr72
.LBB98_652:
	ds_read_b64 v[71:72], v74
.LBB98_653:
	v_cmp_ne_u32_e32 vcc, 32, v0
	s_and_saveexec_b64 s[10:11], vcc
	s_cbranch_execz .LBB98_657
; %bb.654:
	s_mov_b32 s12, 0
	v_add_u32_e32 v76, 0x128, v73
	v_add3_u32 v77, v73, s12, 8
	s_mov_b64 s[12:13], 0
	v_mov_b32_e32 v78, v0
.LBB98_655:                             ; =>This Inner Loop Header: Depth=1
	buffer_load_dword v79, v77, s[0:3], 0 offen
	buffer_load_dword v80, v77, s[0:3], 0 offen offset:4
	ds_read_b64 v[81:82], v76
	v_add_u32_e32 v78, 1, v78
	v_cmp_lt_u32_e32 vcc, 31, v78
	v_add_u32_e32 v76, 8, v76
	s_or_b64 s[12:13], vcc, s[12:13]
	v_add_u32_e32 v77, 8, v77
	s_waitcnt vmcnt(0) lgkmcnt(0)
	v_fma_f64 v[71:72], v[79:80], v[81:82], v[71:72]
	s_andn2_b64 exec, exec, s[12:13]
	s_cbranch_execnz .LBB98_655
; %bb.656:
	s_or_b64 exec, exec, s[12:13]
.LBB98_657:
	s_or_b64 exec, exec, s[10:11]
	v_mov_b32_e32 v76, 0
	ds_read_b64 v[76:77], v76 offset:264
	s_waitcnt lgkmcnt(0)
	v_mul_f64 v[71:72], v[71:72], v[76:77]
	buffer_store_dword v72, off, s[0:3], 0 offset:268
	buffer_store_dword v71, off, s[0:3], 0 offset:264
.LBB98_658:
	s_or_b64 exec, exec, s[8:9]
	buffer_load_dword v71, off, s[0:3], 0 offset:272
	buffer_load_dword v72, off, s[0:3], 0 offset:276
	v_cmp_ne_u32_e32 vcc, 34, v0
	s_waitcnt vmcnt(0)
	ds_write_b64 v74, v[71:72]
	s_waitcnt lgkmcnt(0)
	; wave barrier
	s_and_saveexec_b64 s[8:9], vcc
	s_cbranch_execz .LBB98_668
; %bb.659:
	s_and_b64 vcc, exec, s[4:5]
	s_cbranch_vccnz .LBB98_661
; %bb.660:
	buffer_load_dword v71, v75, s[0:3], 0 offen
	buffer_load_dword v72, v75, s[0:3], 0 offen offset:4
	ds_read_b64 v[75:76], v74
	s_waitcnt vmcnt(0) lgkmcnt(0)
	v_mul_f64 v[71:72], v[71:72], v[75:76]
	s_cbranch_execz .LBB98_662
	s_branch .LBB98_663
.LBB98_661:
                                        ; implicit-def: $vgpr71_vgpr72
.LBB98_662:
	ds_read_b64 v[71:72], v74
.LBB98_663:
	s_and_saveexec_b64 s[4:5], s[6:7]
	s_cbranch_execz .LBB98_667
; %bb.664:
	s_mov_b32 s6, 0
	v_add_u32_e32 v74, 0x128, v73
	v_add3_u32 v73, v73, s6, 8
	s_mov_b64 s[6:7], 0
.LBB98_665:                             ; =>This Inner Loop Header: Depth=1
	buffer_load_dword v75, v73, s[0:3], 0 offen
	buffer_load_dword v76, v73, s[0:3], 0 offen offset:4
	ds_read_b64 v[77:78], v74
	v_add_u32_e32 v0, 1, v0
	v_cmp_lt_u32_e32 vcc, 32, v0
	v_add_u32_e32 v74, 8, v74
	s_or_b64 s[6:7], vcc, s[6:7]
	v_add_u32_e32 v73, 8, v73
	s_waitcnt vmcnt(0) lgkmcnt(0)
	v_fma_f64 v[71:72], v[75:76], v[77:78], v[71:72]
	s_andn2_b64 exec, exec, s[6:7]
	s_cbranch_execnz .LBB98_665
; %bb.666:
	s_or_b64 exec, exec, s[6:7]
.LBB98_667:
	s_or_b64 exec, exec, s[4:5]
	v_mov_b32_e32 v0, 0
	ds_read_b64 v[73:74], v0 offset:272
	s_waitcnt lgkmcnt(0)
	v_mul_f64 v[71:72], v[71:72], v[73:74]
	buffer_store_dword v72, off, s[0:3], 0 offset:276
	buffer_store_dword v71, off, s[0:3], 0 offset:272
.LBB98_668:
	s_or_b64 exec, exec, s[8:9]
.LBB98_669:
	buffer_load_dword v71, off, s[0:3], 0
	buffer_load_dword v72, off, s[0:3], 0 offset:4
	s_waitcnt vmcnt(0)
	flat_store_dwordx2 v[1:2], v[71:72]
	buffer_load_dword v0, off, s[0:3], 0 offset:8
	s_nop 0
	buffer_load_dword v1, off, s[0:3], 0 offset:12
	s_waitcnt vmcnt(0)
	flat_store_dwordx2 v[3:4], v[0:1]
	buffer_load_dword v0, off, s[0:3], 0 offset:16
	s_nop 0
	;; [unrolled: 5-line block ×34, first 2 shown]
	buffer_load_dword v1, off, s[0:3], 0 offset:276
	s_waitcnt vmcnt(0)
	flat_store_dwordx2 v[69:70], v[0:1]
.LBB98_670:
	s_endpgm
	.section	.rodata,"a",@progbits
	.p2align	6, 0x0
	.amdhsa_kernel _ZN9rocsolver6v33100L18trti2_kernel_smallILi35EdPKPdEEv13rocblas_fill_17rocblas_diagonal_T1_iil
		.amdhsa_group_segment_fixed_size 568
		.amdhsa_private_segment_fixed_size 288
		.amdhsa_kernarg_size 32
		.amdhsa_user_sgpr_count 6
		.amdhsa_user_sgpr_private_segment_buffer 1
		.amdhsa_user_sgpr_dispatch_ptr 0
		.amdhsa_user_sgpr_queue_ptr 0
		.amdhsa_user_sgpr_kernarg_segment_ptr 1
		.amdhsa_user_sgpr_dispatch_id 0
		.amdhsa_user_sgpr_flat_scratch_init 0
		.amdhsa_user_sgpr_private_segment_size 0
		.amdhsa_uses_dynamic_stack 0
		.amdhsa_system_sgpr_private_segment_wavefront_offset 1
		.amdhsa_system_sgpr_workgroup_id_x 1
		.amdhsa_system_sgpr_workgroup_id_y 0
		.amdhsa_system_sgpr_workgroup_id_z 0
		.amdhsa_system_sgpr_workgroup_info 0
		.amdhsa_system_vgpr_workitem_id 0
		.amdhsa_next_free_vgpr 84
		.amdhsa_next_free_sgpr 48
		.amdhsa_reserve_vcc 1
		.amdhsa_reserve_flat_scratch 0
		.amdhsa_float_round_mode_32 0
		.amdhsa_float_round_mode_16_64 0
		.amdhsa_float_denorm_mode_32 3
		.amdhsa_float_denorm_mode_16_64 3
		.amdhsa_dx10_clamp 1
		.amdhsa_ieee_mode 1
		.amdhsa_fp16_overflow 0
		.amdhsa_exception_fp_ieee_invalid_op 0
		.amdhsa_exception_fp_denorm_src 0
		.amdhsa_exception_fp_ieee_div_zero 0
		.amdhsa_exception_fp_ieee_overflow 0
		.amdhsa_exception_fp_ieee_underflow 0
		.amdhsa_exception_fp_ieee_inexact 0
		.amdhsa_exception_int_div_zero 0
	.end_amdhsa_kernel
	.section	.text._ZN9rocsolver6v33100L18trti2_kernel_smallILi35EdPKPdEEv13rocblas_fill_17rocblas_diagonal_T1_iil,"axG",@progbits,_ZN9rocsolver6v33100L18trti2_kernel_smallILi35EdPKPdEEv13rocblas_fill_17rocblas_diagonal_T1_iil,comdat
.Lfunc_end98:
	.size	_ZN9rocsolver6v33100L18trti2_kernel_smallILi35EdPKPdEEv13rocblas_fill_17rocblas_diagonal_T1_iil, .Lfunc_end98-_ZN9rocsolver6v33100L18trti2_kernel_smallILi35EdPKPdEEv13rocblas_fill_17rocblas_diagonal_T1_iil
                                        ; -- End function
	.set _ZN9rocsolver6v33100L18trti2_kernel_smallILi35EdPKPdEEv13rocblas_fill_17rocblas_diagonal_T1_iil.num_vgpr, 84
	.set _ZN9rocsolver6v33100L18trti2_kernel_smallILi35EdPKPdEEv13rocblas_fill_17rocblas_diagonal_T1_iil.num_agpr, 0
	.set _ZN9rocsolver6v33100L18trti2_kernel_smallILi35EdPKPdEEv13rocblas_fill_17rocblas_diagonal_T1_iil.numbered_sgpr, 48
	.set _ZN9rocsolver6v33100L18trti2_kernel_smallILi35EdPKPdEEv13rocblas_fill_17rocblas_diagonal_T1_iil.num_named_barrier, 0
	.set _ZN9rocsolver6v33100L18trti2_kernel_smallILi35EdPKPdEEv13rocblas_fill_17rocblas_diagonal_T1_iil.private_seg_size, 288
	.set _ZN9rocsolver6v33100L18trti2_kernel_smallILi35EdPKPdEEv13rocblas_fill_17rocblas_diagonal_T1_iil.uses_vcc, 1
	.set _ZN9rocsolver6v33100L18trti2_kernel_smallILi35EdPKPdEEv13rocblas_fill_17rocblas_diagonal_T1_iil.uses_flat_scratch, 0
	.set _ZN9rocsolver6v33100L18trti2_kernel_smallILi35EdPKPdEEv13rocblas_fill_17rocblas_diagonal_T1_iil.has_dyn_sized_stack, 0
	.set _ZN9rocsolver6v33100L18trti2_kernel_smallILi35EdPKPdEEv13rocblas_fill_17rocblas_diagonal_T1_iil.has_recursion, 0
	.set _ZN9rocsolver6v33100L18trti2_kernel_smallILi35EdPKPdEEv13rocblas_fill_17rocblas_diagonal_T1_iil.has_indirect_call, 0
	.section	.AMDGPU.csdata,"",@progbits
; Kernel info:
; codeLenInByte = 20576
; TotalNumSgprs: 52
; NumVgprs: 84
; ScratchSize: 288
; MemoryBound: 0
; FloatMode: 240
; IeeeMode: 1
; LDSByteSize: 568 bytes/workgroup (compile time only)
; SGPRBlocks: 6
; VGPRBlocks: 20
; NumSGPRsForWavesPerEU: 52
; NumVGPRsForWavesPerEU: 84
; Occupancy: 3
; WaveLimiterHint : 1
; COMPUTE_PGM_RSRC2:SCRATCH_EN: 1
; COMPUTE_PGM_RSRC2:USER_SGPR: 6
; COMPUTE_PGM_RSRC2:TRAP_HANDLER: 0
; COMPUTE_PGM_RSRC2:TGID_X_EN: 1
; COMPUTE_PGM_RSRC2:TGID_Y_EN: 0
; COMPUTE_PGM_RSRC2:TGID_Z_EN: 0
; COMPUTE_PGM_RSRC2:TIDIG_COMP_CNT: 0
	.section	.text._ZN9rocsolver6v33100L18trti2_kernel_smallILi36EdPKPdEEv13rocblas_fill_17rocblas_diagonal_T1_iil,"axG",@progbits,_ZN9rocsolver6v33100L18trti2_kernel_smallILi36EdPKPdEEv13rocblas_fill_17rocblas_diagonal_T1_iil,comdat
	.globl	_ZN9rocsolver6v33100L18trti2_kernel_smallILi36EdPKPdEEv13rocblas_fill_17rocblas_diagonal_T1_iil ; -- Begin function _ZN9rocsolver6v33100L18trti2_kernel_smallILi36EdPKPdEEv13rocblas_fill_17rocblas_diagonal_T1_iil
	.p2align	8
	.type	_ZN9rocsolver6v33100L18trti2_kernel_smallILi36EdPKPdEEv13rocblas_fill_17rocblas_diagonal_T1_iil,@function
_ZN9rocsolver6v33100L18trti2_kernel_smallILi36EdPKPdEEv13rocblas_fill_17rocblas_diagonal_T1_iil: ; @_ZN9rocsolver6v33100L18trti2_kernel_smallILi36EdPKPdEEv13rocblas_fill_17rocblas_diagonal_T1_iil
; %bb.0:
	s_add_u32 s0, s0, s7
	s_addc_u32 s1, s1, 0
	v_cmp_gt_u32_e32 vcc, 36, v0
	s_and_saveexec_b64 s[8:9], vcc
	s_cbranch_execz .LBB99_690
; %bb.1:
	s_load_dwordx2 s[12:13], s[4:5], 0x10
	s_load_dwordx4 s[8:11], s[4:5], 0x0
	s_ashr_i32 s7, s6, 31
	s_lshl_b64 s[6:7], s[6:7], 3
	v_lshlrev_b32_e32 v75, 3, v0
	s_waitcnt lgkmcnt(0)
	s_ashr_i32 s5, s12, 31
	s_add_u32 s6, s10, s6
	s_addc_u32 s7, s11, s7
	s_load_dwordx2 s[6:7], s[6:7], 0x0
	s_mov_b32 s4, s12
	s_lshl_b64 s[4:5], s[4:5], 3
	s_waitcnt lgkmcnt(0)
	s_add_u32 s4, s6, s4
	s_addc_u32 s5, s7, s5
	v_mov_b32_e32 v2, s5
	v_add_co_u32_e32 v1, vcc, s4, v75
	v_addc_co_u32_e32 v2, vcc, 0, v2, vcc
	flat_load_dwordx2 v[5:6], v[1:2]
	s_mov_b32 s6, s13
	s_ashr_i32 s7, s13, 31
	s_lshl_b64 s[6:7], s[6:7], 3
	v_mov_b32_e32 v4, s7
	v_add_co_u32_e32 v3, vcc, s6, v1
	v_addc_co_u32_e32 v4, vcc, v2, v4, vcc
	s_add_i32 s6, s13, s13
	v_add_u32_e32 v9, s6, v0
	v_ashrrev_i32_e32 v10, 31, v9
	v_mov_b32_e32 v11, s5
	v_add_u32_e32 v12, s13, v9
	v_ashrrev_i32_e32 v13, 31, v12
	v_mov_b32_e32 v14, s5
	v_mov_b32_e32 v15, s5
	;; [unrolled: 1-line block ×32, first 2 shown]
	s_cmpk_lg_i32 s9, 0x84
	s_cselect_b64 s[10:11], -1, 0
	s_cmpk_eq_i32 s9, 0x84
	s_waitcnt vmcnt(0) lgkmcnt(0)
	buffer_store_dword v6, off, s[0:3], 0 offset:4
	buffer_store_dword v5, off, s[0:3], 0
	flat_load_dwordx2 v[7:8], v[3:4]
	v_lshlrev_b64 v[5:6], 3, v[9:10]
	s_waitcnt vmcnt(0) lgkmcnt(0)
	buffer_store_dword v8, off, s[0:3], 0 offset:12
	buffer_store_dword v7, off, s[0:3], 0 offset:8
	v_add_co_u32_e32 v5, vcc, s4, v5
	v_addc_co_u32_e32 v6, vcc, v11, v6, vcc
	flat_load_dwordx2 v[10:11], v[5:6]
	v_lshlrev_b64 v[7:8], 3, v[12:13]
	s_waitcnt vmcnt(0) lgkmcnt(0)
	buffer_store_dword v11, off, s[0:3], 0 offset:20
	buffer_store_dword v10, off, s[0:3], 0 offset:16
	v_add_co_u32_e32 v7, vcc, s4, v7
	v_addc_co_u32_e32 v8, vcc, v14, v8, vcc
	flat_load_dwordx2 v[13:14], v[7:8]
	v_add_u32_e32 v11, s13, v12
	v_ashrrev_i32_e32 v12, 31, v11
	v_lshlrev_b64 v[9:10], 3, v[11:12]
	s_waitcnt vmcnt(0) lgkmcnt(0)
	buffer_store_dword v14, off, s[0:3], 0 offset:28
	buffer_store_dword v13, off, s[0:3], 0 offset:24
	v_add_co_u32_e32 v9, vcc, s4, v9
	v_addc_co_u32_e32 v10, vcc, v15, v10, vcc
	flat_load_dwordx2 v[13:14], v[9:10]
	v_add_u32_e32 v15, s13, v11
	v_ashrrev_i32_e32 v16, 31, v15
	v_lshlrev_b64 v[11:12], 3, v[15:16]
	v_add_u32_e32 v18, s13, v15
	v_add_co_u32_e32 v11, vcc, s4, v11
	v_addc_co_u32_e32 v12, vcc, v17, v12, vcc
	v_ashrrev_i32_e32 v19, 31, v18
	s_waitcnt vmcnt(0) lgkmcnt(0)
	buffer_store_dword v14, off, s[0:3], 0 offset:36
	buffer_store_dword v13, off, s[0:3], 0 offset:32
	flat_load_dwordx2 v[16:17], v[11:12]
	v_lshlrev_b64 v[13:14], 3, v[18:19]
	s_waitcnt vmcnt(0) lgkmcnt(0)
	buffer_store_dword v17, off, s[0:3], 0 offset:44
	buffer_store_dword v16, off, s[0:3], 0 offset:40
	v_add_co_u32_e32 v13, vcc, s4, v13
	v_addc_co_u32_e32 v14, vcc, v20, v14, vcc
	flat_load_dwordx2 v[19:20], v[13:14]
	v_add_u32_e32 v17, s13, v18
	v_ashrrev_i32_e32 v18, 31, v17
	v_lshlrev_b64 v[15:16], 3, v[17:18]
	s_waitcnt vmcnt(0) lgkmcnt(0)
	buffer_store_dword v20, off, s[0:3], 0 offset:52
	buffer_store_dword v19, off, s[0:3], 0 offset:48
	v_add_co_u32_e32 v15, vcc, s4, v15
	v_addc_co_u32_e32 v16, vcc, v21, v16, vcc
	flat_load_dwordx2 v[19:20], v[15:16]
	v_add_u32_e32 v21, s13, v17
	v_ashrrev_i32_e32 v22, 31, v21
	v_lshlrev_b64 v[17:18], 3, v[21:22]
	v_add_u32_e32 v24, s13, v21
	v_add_co_u32_e32 v17, vcc, s4, v17
	v_addc_co_u32_e32 v18, vcc, v23, v18, vcc
	v_ashrrev_i32_e32 v25, 31, v24
	s_waitcnt vmcnt(0) lgkmcnt(0)
	buffer_store_dword v20, off, s[0:3], 0 offset:60
	buffer_store_dword v19, off, s[0:3], 0 offset:56
	;; [unrolled: 27-line block ×7, first 2 shown]
	flat_load_dwordx2 v[52:53], v[47:48]
	v_lshlrev_b64 v[49:50], 3, v[54:55]
	s_waitcnt vmcnt(0) lgkmcnt(0)
	buffer_store_dword v53, off, s[0:3], 0 offset:188
	buffer_store_dword v52, off, s[0:3], 0 offset:184
	v_add_co_u32_e32 v49, vcc, s4, v49
	v_addc_co_u32_e32 v50, vcc, v56, v50, vcc
	flat_load_dwordx2 v[55:56], v[49:50]
	v_add_u32_e32 v53, s13, v54
	v_ashrrev_i32_e32 v54, 31, v53
	v_lshlrev_b64 v[51:52], 3, v[53:54]
	s_waitcnt vmcnt(0) lgkmcnt(0)
	buffer_store_dword v56, off, s[0:3], 0 offset:196
	buffer_store_dword v55, off, s[0:3], 0 offset:192
	v_add_co_u32_e32 v51, vcc, s4, v51
	v_addc_co_u32_e32 v52, vcc, v57, v52, vcc
	flat_load_dwordx2 v[55:56], v[51:52]
	v_add_u32_e32 v57, s13, v53
	v_ashrrev_i32_e32 v58, 31, v57
	v_lshlrev_b64 v[53:54], 3, v[57:58]
	v_add_u32_e32 v60, s13, v57
	v_add_co_u32_e32 v53, vcc, s4, v53
	v_addc_co_u32_e32 v54, vcc, v59, v54, vcc
	s_waitcnt vmcnt(0) lgkmcnt(0)
	buffer_store_dword v56, off, s[0:3], 0 offset:204
	buffer_store_dword v55, off, s[0:3], 0 offset:200
	flat_load_dwordx2 v[58:59], v[53:54]
	v_ashrrev_i32_e32 v61, 31, v60
	v_lshlrev_b64 v[55:56], 3, v[60:61]
	s_waitcnt vmcnt(0) lgkmcnt(0)
	buffer_store_dword v59, off, s[0:3], 0 offset:212
	buffer_store_dword v58, off, s[0:3], 0 offset:208
	v_add_co_u32_e32 v55, vcc, s4, v55
	v_addc_co_u32_e32 v56, vcc, v62, v56, vcc
	flat_load_dwordx2 v[61:62], v[55:56]
	v_add_u32_e32 v59, s13, v60
	v_ashrrev_i32_e32 v60, 31, v59
	v_lshlrev_b64 v[57:58], 3, v[59:60]
	s_waitcnt vmcnt(0) lgkmcnt(0)
	buffer_store_dword v62, off, s[0:3], 0 offset:220
	buffer_store_dword v61, off, s[0:3], 0 offset:216
	v_add_co_u32_e32 v57, vcc, s4, v57
	v_addc_co_u32_e32 v58, vcc, v63, v58, vcc
	flat_load_dwordx2 v[61:62], v[57:58]
	v_add_u32_e32 v63, s13, v59
	;; [unrolled: 9-line block ×8, first 2 shown]
	v_ashrrev_i32_e32 v72, 31, v71
	v_lshlrev_b64 v[71:72], 3, v[71:72]
	s_waitcnt vmcnt(0) lgkmcnt(0)
	buffer_store_dword v74, off, s[0:3], 0 offset:276
	buffer_store_dword v73, off, s[0:3], 0 offset:272
	v_add_co_u32_e32 v71, vcc, s4, v71
	v_addc_co_u32_e32 v72, vcc, v76, v72, vcc
	flat_load_dwordx2 v[76:77], v[71:72]
	v_mov_b32_e32 v73, 0
	v_mov_b32_e32 v74, 0xbff00000
	s_waitcnt vmcnt(0) lgkmcnt(0)
	buffer_store_dword v77, off, s[0:3], 0 offset:284
	buffer_store_dword v76, off, s[0:3], 0 offset:280
	s_cbranch_scc1 .LBB99_3
; %bb.2:
	v_mov_b32_e32 v73, 0
	v_lshl_add_u32 v84, v0, 3, v73
	buffer_load_dword v73, v84, s[0:3], 0 offen
	buffer_load_dword v74, v84, s[0:3], 0 offen offset:4
	s_waitcnt vmcnt(0)
	v_div_scale_f64 v[76:77], s[4:5], v[73:74], v[73:74], 1.0
	v_rcp_f64_e32 v[78:79], v[76:77]
	v_fma_f64 v[80:81], -v[76:77], v[78:79], 1.0
	v_fma_f64 v[78:79], v[78:79], v[80:81], v[78:79]
	v_div_scale_f64 v[80:81], vcc, 1.0, v[73:74], 1.0
	v_fma_f64 v[82:83], -v[76:77], v[78:79], 1.0
	v_fma_f64 v[78:79], v[78:79], v[82:83], v[78:79]
	v_mul_f64 v[82:83], v[80:81], v[78:79]
	v_fma_f64 v[76:77], -v[76:77], v[82:83], v[80:81]
	v_div_fmas_f64 v[76:77], v[76:77], v[78:79], v[82:83]
	v_div_fixup_f64 v[73:74], v[76:77], v[73:74], 1.0
	buffer_store_dword v73, v84, s[0:3], 0 offen
	buffer_store_dword v74, v84, s[0:3], 0 offen offset:4
	v_xor_b32_e32 v74, 0x80000000, v74
.LBB99_3:
	s_cmpk_eq_i32 s8, 0x79
	v_add_u32_e32 v76, 0x120, v75
	v_mov_b32_e32 v77, v75
	s_mov_b64 s[4:5], -1
	ds_write_b64 v75, v[73:74]
	s_cbranch_scc1 .LBB99_347
; %bb.4:
	buffer_load_dword v73, off, s[0:3], 0 offset:272
	buffer_load_dword v74, off, s[0:3], 0 offset:276
	s_movk_i32 s12, 0x48
	s_movk_i32 s13, 0x50
	;; [unrolled: 1-line block ×25, first 2 shown]
	v_cmp_eq_u32_e64 s[4:5], 35, v0
	s_waitcnt vmcnt(0)
	ds_write_b64 v76, v[73:74]
	s_waitcnt lgkmcnt(0)
	; wave barrier
	s_and_saveexec_b64 s[6:7], s[4:5]
	s_cbranch_execz .LBB99_10
; %bb.5:
	s_and_b64 vcc, exec, s[10:11]
	s_cbranch_vccz .LBB99_7
; %bb.6:
	buffer_load_dword v73, v77, s[0:3], 0 offen
	buffer_load_dword v74, v77, s[0:3], 0 offen offset:4
	ds_read_b64 v[78:79], v76
	s_waitcnt vmcnt(0) lgkmcnt(0)
	v_mul_f64 v[73:74], v[73:74], v[78:79]
	s_cbranch_execz .LBB99_8
	s_branch .LBB99_9
.LBB99_7:
                                        ; implicit-def: $vgpr73_vgpr74
.LBB99_8:
	ds_read_b64 v[73:74], v76
.LBB99_9:
	v_mov_b32_e32 v78, 0
	ds_read_b64 v[78:79], v78 offset:272
	s_waitcnt lgkmcnt(0)
	v_mul_f64 v[73:74], v[73:74], v[78:79]
	buffer_store_dword v74, off, s[0:3], 0 offset:276
	buffer_store_dword v73, off, s[0:3], 0 offset:272
.LBB99_10:
	s_or_b64 exec, exec, s[6:7]
	buffer_load_dword v73, off, s[0:3], 0 offset:264
	buffer_load_dword v74, off, s[0:3], 0 offset:268
	s_or_b32 s14, 0, 8
	s_mov_b32 s15, 16
	s_mov_b32 s16, 24
	;; [unrolled: 1-line block ×9, first 2 shown]
	v_cmp_lt_u32_e64 s[6:7], 33, v0
	s_waitcnt vmcnt(0)
	ds_write_b64 v76, v[73:74]
	s_waitcnt lgkmcnt(0)
	; wave barrier
	s_and_saveexec_b64 s[8:9], s[6:7]
	s_cbranch_execz .LBB99_16
; %bb.11:
	s_andn2_b64 vcc, exec, s[10:11]
	s_cbranch_vccnz .LBB99_13
; %bb.12:
	buffer_load_dword v73, v77, s[0:3], 0 offen
	buffer_load_dword v74, v77, s[0:3], 0 offen offset:4
	ds_read_b64 v[78:79], v76
	s_waitcnt vmcnt(0) lgkmcnt(0)
	v_mul_f64 v[73:74], v[73:74], v[78:79]
	s_cbranch_execz .LBB99_14
	s_branch .LBB99_15
.LBB99_13:
                                        ; implicit-def: $vgpr73_vgpr74
.LBB99_14:
	ds_read_b64 v[73:74], v76
.LBB99_15:
	buffer_load_dword v82, off, s[0:3], 0 offset:272
	buffer_load_dword v83, off, s[0:3], 0 offset:276
	v_mov_b32_e32 v78, 0
	ds_read2_b64 v[78:81], v78 offset0:33 offset1:70
	s_waitcnt vmcnt(0) lgkmcnt(0)
	v_fma_f64 v[80:81], v[82:83], v[80:81], v[73:74]
	v_cndmask_b32_e64 v74, v74, v81, s[4:5]
	v_cndmask_b32_e64 v73, v73, v80, s[4:5]
	v_mul_f64 v[73:74], v[73:74], v[78:79]
	buffer_store_dword v74, off, s[0:3], 0 offset:268
	buffer_store_dword v73, off, s[0:3], 0 offset:264
.LBB99_16:
	s_or_b64 exec, exec, s[8:9]
	buffer_load_dword v73, off, s[0:3], 0 offset:256
	buffer_load_dword v74, off, s[0:3], 0 offset:260
	v_cmp_lt_u32_e64 s[4:5], 32, v0
	s_waitcnt vmcnt(0)
	ds_write_b64 v76, v[73:74]
	s_waitcnt lgkmcnt(0)
	; wave barrier
	s_and_saveexec_b64 s[8:9], s[4:5]
	s_cbranch_execz .LBB99_26
; %bb.17:
	s_andn2_b64 vcc, exec, s[10:11]
	s_cbranch_vccnz .LBB99_19
; %bb.18:
	buffer_load_dword v73, v77, s[0:3], 0 offen
	buffer_load_dword v74, v77, s[0:3], 0 offen offset:4
	ds_read_b64 v[78:79], v76
	s_waitcnt vmcnt(0) lgkmcnt(0)
	v_mul_f64 v[73:74], v[73:74], v[78:79]
	s_cbranch_execz .LBB99_20
	s_branch .LBB99_21
.LBB99_19:
                                        ; implicit-def: $vgpr73_vgpr74
.LBB99_20:
	ds_read_b64 v[73:74], v76
.LBB99_21:
	s_and_saveexec_b64 s[12:13], s[6:7]
	s_cbranch_execz .LBB99_25
; %bb.22:
	v_subrev_u32_e32 v78, 33, v0
	s_movk_i32 s48, 0x228
	s_mov_b64 s[6:7], 0
.LBB99_23:                              ; =>This Inner Loop Header: Depth=1
	v_mov_b32_e32 v81, s47
	buffer_load_dword v79, v81, s[0:3], 0 offen
	buffer_load_dword v80, v81, s[0:3], 0 offen offset:4
	v_mov_b32_e32 v81, s48
	ds_read_b64 v[81:82], v81
	v_add_u32_e32 v78, -1, v78
	s_add_i32 s48, s48, 8
	s_add_i32 s47, s47, 8
	v_cmp_eq_u32_e32 vcc, 0, v78
	s_or_b64 s[6:7], vcc, s[6:7]
	s_waitcnt vmcnt(0) lgkmcnt(0)
	v_fma_f64 v[73:74], v[79:80], v[81:82], v[73:74]
	s_andn2_b64 exec, exec, s[6:7]
	s_cbranch_execnz .LBB99_23
; %bb.24:
	s_or_b64 exec, exec, s[6:7]
.LBB99_25:
	s_or_b64 exec, exec, s[12:13]
	v_mov_b32_e32 v78, 0
	ds_read_b64 v[78:79], v78 offset:256
	s_waitcnt lgkmcnt(0)
	v_mul_f64 v[73:74], v[73:74], v[78:79]
	buffer_store_dword v74, off, s[0:3], 0 offset:260
	buffer_store_dword v73, off, s[0:3], 0 offset:256
.LBB99_26:
	s_or_b64 exec, exec, s[8:9]
	buffer_load_dword v73, off, s[0:3], 0 offset:248
	buffer_load_dword v74, off, s[0:3], 0 offset:252
	v_cmp_lt_u32_e64 s[6:7], 31, v0
	s_waitcnt vmcnt(0)
	ds_write_b64 v76, v[73:74]
	s_waitcnt lgkmcnt(0)
	; wave barrier
	s_and_saveexec_b64 s[8:9], s[6:7]
	s_cbranch_execz .LBB99_36
; %bb.27:
	s_andn2_b64 vcc, exec, s[10:11]
	s_cbranch_vccnz .LBB99_29
; %bb.28:
	buffer_load_dword v73, v77, s[0:3], 0 offen
	buffer_load_dword v74, v77, s[0:3], 0 offen offset:4
	ds_read_b64 v[78:79], v76
	s_waitcnt vmcnt(0) lgkmcnt(0)
	v_mul_f64 v[73:74], v[73:74], v[78:79]
	s_cbranch_execz .LBB99_30
	s_branch .LBB99_31
.LBB99_29:
                                        ; implicit-def: $vgpr73_vgpr74
.LBB99_30:
	ds_read_b64 v[73:74], v76
.LBB99_31:
	s_and_saveexec_b64 s[12:13], s[4:5]
	s_cbranch_execz .LBB99_35
; %bb.32:
	v_subrev_u32_e32 v78, 32, v0
	s_movk_i32 s47, 0x220
	s_mov_b64 s[4:5], 0
.LBB99_33:                              ; =>This Inner Loop Header: Depth=1
	v_mov_b32_e32 v81, s46
	buffer_load_dword v79, v81, s[0:3], 0 offen
	buffer_load_dword v80, v81, s[0:3], 0 offen offset:4
	v_mov_b32_e32 v81, s47
	ds_read_b64 v[81:82], v81
	v_add_u32_e32 v78, -1, v78
	s_add_i32 s47, s47, 8
	s_add_i32 s46, s46, 8
	v_cmp_eq_u32_e32 vcc, 0, v78
	s_or_b64 s[4:5], vcc, s[4:5]
	s_waitcnt vmcnt(0) lgkmcnt(0)
	v_fma_f64 v[73:74], v[79:80], v[81:82], v[73:74]
	s_andn2_b64 exec, exec, s[4:5]
	s_cbranch_execnz .LBB99_33
; %bb.34:
	s_or_b64 exec, exec, s[4:5]
.LBB99_35:
	s_or_b64 exec, exec, s[12:13]
	v_mov_b32_e32 v78, 0
	ds_read_b64 v[78:79], v78 offset:248
	s_waitcnt lgkmcnt(0)
	v_mul_f64 v[73:74], v[73:74], v[78:79]
	buffer_store_dword v74, off, s[0:3], 0 offset:252
	buffer_store_dword v73, off, s[0:3], 0 offset:248
.LBB99_36:
	;; [unrolled: 58-line block ×8, first 2 shown]
	s_or_b64 exec, exec, s[8:9]
	buffer_load_dword v73, off, s[0:3], 0 offset:192
	buffer_load_dword v74, off, s[0:3], 0 offset:196
	v_cmp_lt_u32_e64 s[4:5], 24, v0
	s_waitcnt vmcnt(0)
	ds_write_b64 v76, v[73:74]
	s_waitcnt lgkmcnt(0)
	; wave barrier
	s_and_saveexec_b64 s[8:9], s[4:5]
	s_cbranch_execz .LBB99_106
; %bb.97:
	s_andn2_b64 vcc, exec, s[10:11]
	s_cbranch_vccnz .LBB99_99
; %bb.98:
	buffer_load_dword v73, v77, s[0:3], 0 offen
	buffer_load_dword v74, v77, s[0:3], 0 offen offset:4
	ds_read_b64 v[78:79], v76
	s_waitcnt vmcnt(0) lgkmcnt(0)
	v_mul_f64 v[73:74], v[73:74], v[78:79]
	s_cbranch_execz .LBB99_100
	s_branch .LBB99_101
.LBB99_99:
                                        ; implicit-def: $vgpr73_vgpr74
.LBB99_100:
	ds_read_b64 v[73:74], v76
.LBB99_101:
	s_and_saveexec_b64 s[12:13], s[6:7]
	s_cbranch_execz .LBB99_105
; %bb.102:
	v_subrev_u32_e32 v78, 25, v0
	s_movk_i32 s40, 0x1e8
	s_mov_b64 s[6:7], 0
.LBB99_103:                             ; =>This Inner Loop Header: Depth=1
	v_mov_b32_e32 v81, s39
	buffer_load_dword v79, v81, s[0:3], 0 offen
	buffer_load_dword v80, v81, s[0:3], 0 offen offset:4
	v_mov_b32_e32 v81, s40
	ds_read_b64 v[81:82], v81
	v_add_u32_e32 v78, -1, v78
	s_add_i32 s40, s40, 8
	s_add_i32 s39, s39, 8
	v_cmp_eq_u32_e32 vcc, 0, v78
	s_or_b64 s[6:7], vcc, s[6:7]
	s_waitcnt vmcnt(0) lgkmcnt(0)
	v_fma_f64 v[73:74], v[79:80], v[81:82], v[73:74]
	s_andn2_b64 exec, exec, s[6:7]
	s_cbranch_execnz .LBB99_103
; %bb.104:
	s_or_b64 exec, exec, s[6:7]
.LBB99_105:
	s_or_b64 exec, exec, s[12:13]
	v_mov_b32_e32 v78, 0
	ds_read_b64 v[78:79], v78 offset:192
	s_waitcnt lgkmcnt(0)
	v_mul_f64 v[73:74], v[73:74], v[78:79]
	buffer_store_dword v74, off, s[0:3], 0 offset:196
	buffer_store_dword v73, off, s[0:3], 0 offset:192
.LBB99_106:
	s_or_b64 exec, exec, s[8:9]
	buffer_load_dword v73, off, s[0:3], 0 offset:184
	buffer_load_dword v74, off, s[0:3], 0 offset:188
	v_cmp_lt_u32_e64 s[6:7], 23, v0
	s_waitcnt vmcnt(0)
	ds_write_b64 v76, v[73:74]
	s_waitcnt lgkmcnt(0)
	; wave barrier
	s_and_saveexec_b64 s[8:9], s[6:7]
	s_cbranch_execz .LBB99_116
; %bb.107:
	s_andn2_b64 vcc, exec, s[10:11]
	s_cbranch_vccnz .LBB99_109
; %bb.108:
	buffer_load_dword v73, v77, s[0:3], 0 offen
	buffer_load_dword v74, v77, s[0:3], 0 offen offset:4
	ds_read_b64 v[78:79], v76
	s_waitcnt vmcnt(0) lgkmcnt(0)
	v_mul_f64 v[73:74], v[73:74], v[78:79]
	s_cbranch_execz .LBB99_110
	s_branch .LBB99_111
.LBB99_109:
                                        ; implicit-def: $vgpr73_vgpr74
.LBB99_110:
	ds_read_b64 v[73:74], v76
.LBB99_111:
	s_and_saveexec_b64 s[12:13], s[4:5]
	s_cbranch_execz .LBB99_115
; %bb.112:
	v_subrev_u32_e32 v78, 24, v0
	s_movk_i32 s39, 0x1e0
	s_mov_b64 s[4:5], 0
.LBB99_113:                             ; =>This Inner Loop Header: Depth=1
	v_mov_b32_e32 v81, s38
	buffer_load_dword v79, v81, s[0:3], 0 offen
	buffer_load_dword v80, v81, s[0:3], 0 offen offset:4
	v_mov_b32_e32 v81, s39
	ds_read_b64 v[81:82], v81
	v_add_u32_e32 v78, -1, v78
	s_add_i32 s39, s39, 8
	s_add_i32 s38, s38, 8
	v_cmp_eq_u32_e32 vcc, 0, v78
	s_or_b64 s[4:5], vcc, s[4:5]
	s_waitcnt vmcnt(0) lgkmcnt(0)
	v_fma_f64 v[73:74], v[79:80], v[81:82], v[73:74]
	s_andn2_b64 exec, exec, s[4:5]
	s_cbranch_execnz .LBB99_113
; %bb.114:
	s_or_b64 exec, exec, s[4:5]
.LBB99_115:
	s_or_b64 exec, exec, s[12:13]
	v_mov_b32_e32 v78, 0
	ds_read_b64 v[78:79], v78 offset:184
	s_waitcnt lgkmcnt(0)
	v_mul_f64 v[73:74], v[73:74], v[78:79]
	buffer_store_dword v74, off, s[0:3], 0 offset:188
	buffer_store_dword v73, off, s[0:3], 0 offset:184
.LBB99_116:
	;; [unrolled: 58-line block ×9, first 2 shown]
	s_or_b64 exec, exec, s[8:9]
	buffer_load_dword v73, off, s[0:3], 0 offset:120
	buffer_load_dword v74, off, s[0:3], 0 offset:124
	v_cmp_lt_u32_e64 s[6:7], 15, v0
	s_waitcnt vmcnt(0)
	ds_write_b64 v76, v[73:74]
	s_waitcnt lgkmcnt(0)
	; wave barrier
	s_and_saveexec_b64 s[8:9], s[6:7]
	s_cbranch_execz .LBB99_196
; %bb.187:
	s_andn2_b64 vcc, exec, s[10:11]
	s_cbranch_vccnz .LBB99_189
; %bb.188:
	buffer_load_dword v73, v77, s[0:3], 0 offen
	buffer_load_dword v74, v77, s[0:3], 0 offen offset:4
	ds_read_b64 v[78:79], v76
	s_waitcnt vmcnt(0) lgkmcnt(0)
	v_mul_f64 v[73:74], v[73:74], v[78:79]
	s_cbranch_execz .LBB99_190
	s_branch .LBB99_191
.LBB99_189:
                                        ; implicit-def: $vgpr73_vgpr74
.LBB99_190:
	ds_read_b64 v[73:74], v76
.LBB99_191:
	s_and_saveexec_b64 s[12:13], s[4:5]
	s_cbranch_execz .LBB99_195
; %bb.192:
	v_add_u32_e32 v78, -16, v0
	s_movk_i32 s30, 0x1a0
	s_mov_b64 s[4:5], 0
.LBB99_193:                             ; =>This Inner Loop Header: Depth=1
	v_mov_b32_e32 v81, s29
	buffer_load_dword v79, v81, s[0:3], 0 offen
	buffer_load_dword v80, v81, s[0:3], 0 offen offset:4
	v_mov_b32_e32 v81, s30
	ds_read_b64 v[81:82], v81
	v_add_u32_e32 v78, -1, v78
	s_add_i32 s30, s30, 8
	s_add_i32 s29, s29, 8
	v_cmp_eq_u32_e32 vcc, 0, v78
	s_or_b64 s[4:5], vcc, s[4:5]
	s_waitcnt vmcnt(0) lgkmcnt(0)
	v_fma_f64 v[73:74], v[79:80], v[81:82], v[73:74]
	s_andn2_b64 exec, exec, s[4:5]
	s_cbranch_execnz .LBB99_193
; %bb.194:
	s_or_b64 exec, exec, s[4:5]
.LBB99_195:
	s_or_b64 exec, exec, s[12:13]
	v_mov_b32_e32 v78, 0
	ds_read_b64 v[78:79], v78 offset:120
	s_waitcnt lgkmcnt(0)
	v_mul_f64 v[73:74], v[73:74], v[78:79]
	buffer_store_dword v74, off, s[0:3], 0 offset:124
	buffer_store_dword v73, off, s[0:3], 0 offset:120
.LBB99_196:
	s_or_b64 exec, exec, s[8:9]
	buffer_load_dword v73, off, s[0:3], 0 offset:112
	buffer_load_dword v74, off, s[0:3], 0 offset:116
	v_cmp_lt_u32_e64 s[4:5], 14, v0
	s_waitcnt vmcnt(0)
	ds_write_b64 v76, v[73:74]
	s_waitcnt lgkmcnt(0)
	; wave barrier
	s_and_saveexec_b64 s[8:9], s[4:5]
	s_cbranch_execz .LBB99_206
; %bb.197:
	s_andn2_b64 vcc, exec, s[10:11]
	s_cbranch_vccnz .LBB99_199
; %bb.198:
	buffer_load_dword v73, v77, s[0:3], 0 offen
	buffer_load_dword v74, v77, s[0:3], 0 offen offset:4
	ds_read_b64 v[78:79], v76
	s_waitcnt vmcnt(0) lgkmcnt(0)
	v_mul_f64 v[73:74], v[73:74], v[78:79]
	s_cbranch_execz .LBB99_200
	s_branch .LBB99_201
.LBB99_199:
                                        ; implicit-def: $vgpr73_vgpr74
.LBB99_200:
	ds_read_b64 v[73:74], v76
.LBB99_201:
	s_and_saveexec_b64 s[12:13], s[6:7]
	s_cbranch_execz .LBB99_205
; %bb.202:
	v_add_u32_e32 v78, -15, v0
	s_movk_i32 s29, 0x198
	s_mov_b64 s[6:7], 0
.LBB99_203:                             ; =>This Inner Loop Header: Depth=1
	v_mov_b32_e32 v81, s28
	buffer_load_dword v79, v81, s[0:3], 0 offen
	buffer_load_dword v80, v81, s[0:3], 0 offen offset:4
	v_mov_b32_e32 v81, s29
	ds_read_b64 v[81:82], v81
	v_add_u32_e32 v78, -1, v78
	s_add_i32 s29, s29, 8
	s_add_i32 s28, s28, 8
	v_cmp_eq_u32_e32 vcc, 0, v78
	s_or_b64 s[6:7], vcc, s[6:7]
	s_waitcnt vmcnt(0) lgkmcnt(0)
	v_fma_f64 v[73:74], v[79:80], v[81:82], v[73:74]
	s_andn2_b64 exec, exec, s[6:7]
	s_cbranch_execnz .LBB99_203
; %bb.204:
	s_or_b64 exec, exec, s[6:7]
.LBB99_205:
	s_or_b64 exec, exec, s[12:13]
	v_mov_b32_e32 v78, 0
	ds_read_b64 v[78:79], v78 offset:112
	s_waitcnt lgkmcnt(0)
	v_mul_f64 v[73:74], v[73:74], v[78:79]
	buffer_store_dword v74, off, s[0:3], 0 offset:116
	buffer_store_dword v73, off, s[0:3], 0 offset:112
.LBB99_206:
	;; [unrolled: 58-line block ×15, first 2 shown]
	s_or_b64 exec, exec, s[8:9]
	buffer_load_dword v73, off, s[0:3], 0
	buffer_load_dword v74, off, s[0:3], 0 offset:4
	v_cmp_ne_u32_e32 vcc, 0, v0
	s_waitcnt vmcnt(0)
	ds_write_b64 v76, v[73:74]
	s_waitcnt lgkmcnt(0)
	; wave barrier
	s_and_saveexec_b64 s[4:5], vcc
	s_cbranch_execz .LBB99_346
; %bb.337:
	s_andn2_b64 vcc, exec, s[10:11]
	s_cbranch_vccnz .LBB99_339
; %bb.338:
	buffer_load_dword v73, v77, s[0:3], 0 offen
	buffer_load_dword v74, v77, s[0:3], 0 offen offset:4
	ds_read_b64 v[78:79], v76
	s_waitcnt vmcnt(0) lgkmcnt(0)
	v_mul_f64 v[73:74], v[73:74], v[78:79]
	s_cbranch_execz .LBB99_340
	s_branch .LBB99_341
.LBB99_339:
                                        ; implicit-def: $vgpr73_vgpr74
.LBB99_340:
	ds_read_b64 v[73:74], v76
.LBB99_341:
	s_and_saveexec_b64 s[8:9], s[6:7]
	s_cbranch_execz .LBB99_345
; %bb.342:
	v_add_u32_e32 v78, -1, v0
	s_movk_i32 s12, 0x128
	s_mov_b64 s[6:7], 0
.LBB99_343:                             ; =>This Inner Loop Header: Depth=1
	v_mov_b32_e32 v81, s14
	buffer_load_dword v79, v81, s[0:3], 0 offen
	buffer_load_dword v80, v81, s[0:3], 0 offen offset:4
	v_mov_b32_e32 v81, s12
	ds_read_b64 v[81:82], v81
	v_add_u32_e32 v78, -1, v78
	s_add_i32 s12, s12, 8
	s_add_i32 s14, s14, 8
	v_cmp_eq_u32_e32 vcc, 0, v78
	s_or_b64 s[6:7], vcc, s[6:7]
	s_waitcnt vmcnt(0) lgkmcnt(0)
	v_fma_f64 v[73:74], v[79:80], v[81:82], v[73:74]
	s_andn2_b64 exec, exec, s[6:7]
	s_cbranch_execnz .LBB99_343
; %bb.344:
	s_or_b64 exec, exec, s[6:7]
.LBB99_345:
	s_or_b64 exec, exec, s[8:9]
	v_mov_b32_e32 v78, 0
	ds_read_b64 v[78:79], v78
	s_waitcnt lgkmcnt(0)
	v_mul_f64 v[73:74], v[73:74], v[78:79]
	buffer_store_dword v74, off, s[0:3], 0 offset:4
	buffer_store_dword v73, off, s[0:3], 0
.LBB99_346:
	s_or_b64 exec, exec, s[4:5]
	s_mov_b64 s[4:5], 0
.LBB99_347:
	s_and_b64 vcc, exec, s[4:5]
	s_cbranch_vccz .LBB99_689
; %bb.348:
	buffer_load_dword v73, off, s[0:3], 0 offset:8
	buffer_load_dword v74, off, s[0:3], 0 offset:12
	v_cmp_eq_u32_e64 s[6:7], 0, v0
	s_waitcnt vmcnt(0)
	ds_write_b64 v76, v[73:74]
	s_waitcnt lgkmcnt(0)
	; wave barrier
	s_and_saveexec_b64 s[4:5], s[6:7]
	s_cbranch_execz .LBB99_354
; %bb.349:
	s_and_b64 vcc, exec, s[10:11]
	s_cbranch_vccz .LBB99_351
; %bb.350:
	buffer_load_dword v73, v77, s[0:3], 0 offen
	buffer_load_dword v74, v77, s[0:3], 0 offen offset:4
	ds_read_b64 v[78:79], v76
	s_waitcnt vmcnt(0) lgkmcnt(0)
	v_mul_f64 v[73:74], v[73:74], v[78:79]
	s_cbranch_execz .LBB99_352
	s_branch .LBB99_353
.LBB99_351:
                                        ; implicit-def: $vgpr73_vgpr74
.LBB99_352:
	ds_read_b64 v[73:74], v76
.LBB99_353:
	v_mov_b32_e32 v78, 0
	ds_read_b64 v[78:79], v78 offset:8
	s_waitcnt lgkmcnt(0)
	v_mul_f64 v[73:74], v[73:74], v[78:79]
	buffer_store_dword v74, off, s[0:3], 0 offset:12
	buffer_store_dword v73, off, s[0:3], 0 offset:8
.LBB99_354:
	s_or_b64 exec, exec, s[4:5]
	buffer_load_dword v73, off, s[0:3], 0 offset:16
	buffer_load_dword v74, off, s[0:3], 0 offset:20
	v_cndmask_b32_e64 v78, 0, 1, s[10:11]
	v_cmp_gt_u32_e32 vcc, 2, v0
	v_cmp_ne_u32_e64 s[4:5], 1, v78
	s_waitcnt vmcnt(0)
	ds_write_b64 v76, v[73:74]
	s_waitcnt lgkmcnt(0)
	; wave barrier
	s_and_saveexec_b64 s[8:9], vcc
	s_cbranch_execz .LBB99_360
; %bb.355:
	s_and_b64 vcc, exec, s[4:5]
	s_cbranch_vccnz .LBB99_357
; %bb.356:
	buffer_load_dword v73, v77, s[0:3], 0 offen
	buffer_load_dword v74, v77, s[0:3], 0 offen offset:4
	ds_read_b64 v[78:79], v76
	s_waitcnt vmcnt(0) lgkmcnt(0)
	v_mul_f64 v[73:74], v[73:74], v[78:79]
	s_cbranch_execz .LBB99_358
	s_branch .LBB99_359
.LBB99_357:
                                        ; implicit-def: $vgpr73_vgpr74
.LBB99_358:
	ds_read_b64 v[73:74], v76
.LBB99_359:
	buffer_load_dword v82, off, s[0:3], 0 offset:8
	buffer_load_dword v83, off, s[0:3], 0 offset:12
	v_mov_b32_e32 v78, 0
	ds_read2_b64 v[78:81], v78 offset0:2 offset1:37
	s_waitcnt vmcnt(0) lgkmcnt(0)
	v_fma_f64 v[80:81], v[82:83], v[80:81], v[73:74]
	v_cndmask_b32_e64 v74, v74, v81, s[6:7]
	v_cndmask_b32_e64 v73, v73, v80, s[6:7]
	v_mul_f64 v[73:74], v[73:74], v[78:79]
	buffer_store_dword v74, off, s[0:3], 0 offset:20
	buffer_store_dword v73, off, s[0:3], 0 offset:16
.LBB99_360:
	s_or_b64 exec, exec, s[8:9]
	buffer_load_dword v73, off, s[0:3], 0 offset:24
	buffer_load_dword v74, off, s[0:3], 0 offset:28
	v_cmp_gt_u32_e32 vcc, 3, v0
	s_waitcnt vmcnt(0)
	ds_write_b64 v76, v[73:74]
	s_waitcnt lgkmcnt(0)
	; wave barrier
	s_and_saveexec_b64 s[8:9], vcc
	s_cbranch_execz .LBB99_368
; %bb.361:
	s_and_b64 vcc, exec, s[4:5]
	s_cbranch_vccnz .LBB99_363
; %bb.362:
	buffer_load_dword v73, v77, s[0:3], 0 offen
	buffer_load_dword v74, v77, s[0:3], 0 offen offset:4
	ds_read_b64 v[78:79], v76
	s_waitcnt vmcnt(0) lgkmcnt(0)
	v_mul_f64 v[73:74], v[73:74], v[78:79]
	s_cbranch_execz .LBB99_364
	s_branch .LBB99_365
.LBB99_363:
                                        ; implicit-def: $vgpr73_vgpr74
.LBB99_364:
	ds_read_b64 v[73:74], v76
.LBB99_365:
	v_cmp_ne_u32_e32 vcc, 2, v0
	s_and_saveexec_b64 s[10:11], vcc
	s_cbranch_execz .LBB99_367
; %bb.366:
	buffer_load_dword v78, v77, s[0:3], 0 offen offset:8
	buffer_load_dword v79, v77, s[0:3], 0 offen offset:12
	buffer_load_dword v80, off, s[0:3], 0 offset:16
	buffer_load_dword v81, off, s[0:3], 0 offset:20
	ds_read_b64 v[82:83], v76 offset:8
	v_mov_b32_e32 v84, 0
	ds_read_b64 v[84:85], v84 offset:304
	s_waitcnt vmcnt(2) lgkmcnt(1)
	v_fma_f64 v[73:74], v[78:79], v[82:83], v[73:74]
	s_waitcnt vmcnt(0) lgkmcnt(0)
	v_fma_f64 v[78:79], v[80:81], v[84:85], v[73:74]
	v_cndmask_b32_e64 v74, v74, v79, s[6:7]
	v_cndmask_b32_e64 v73, v73, v78, s[6:7]
.LBB99_367:
	s_or_b64 exec, exec, s[10:11]
	v_mov_b32_e32 v78, 0
	ds_read_b64 v[78:79], v78 offset:24
	s_waitcnt lgkmcnt(0)
	v_mul_f64 v[73:74], v[73:74], v[78:79]
	buffer_store_dword v74, off, s[0:3], 0 offset:28
	buffer_store_dword v73, off, s[0:3], 0 offset:24
.LBB99_368:
	s_or_b64 exec, exec, s[8:9]
	buffer_load_dword v73, off, s[0:3], 0 offset:32
	buffer_load_dword v74, off, s[0:3], 0 offset:36
	v_cmp_gt_u32_e32 vcc, 4, v0
	s_waitcnt vmcnt(0)
	ds_write_b64 v76, v[73:74]
	s_waitcnt lgkmcnt(0)
	; wave barrier
	s_and_saveexec_b64 s[6:7], vcc
	s_cbranch_execz .LBB99_378
; %bb.369:
	s_and_b64 vcc, exec, s[4:5]
	s_cbranch_vccnz .LBB99_371
; %bb.370:
	buffer_load_dword v73, v77, s[0:3], 0 offen
	buffer_load_dword v74, v77, s[0:3], 0 offen offset:4
	ds_read_b64 v[78:79], v76
	s_waitcnt vmcnt(0) lgkmcnt(0)
	v_mul_f64 v[73:74], v[73:74], v[78:79]
	s_cbranch_execz .LBB99_372
	s_branch .LBB99_373
.LBB99_371:
                                        ; implicit-def: $vgpr73_vgpr74
.LBB99_372:
	ds_read_b64 v[73:74], v76
.LBB99_373:
	v_cmp_ne_u32_e32 vcc, 3, v0
	s_and_saveexec_b64 s[8:9], vcc
	s_cbranch_execz .LBB99_377
; %bb.374:
	s_mov_b32 s10, 0
	v_add_u32_e32 v78, 0x128, v75
	v_add3_u32 v79, v75, s10, 8
	s_mov_b64 s[10:11], 0
	v_mov_b32_e32 v80, v0
.LBB99_375:                             ; =>This Inner Loop Header: Depth=1
	buffer_load_dword v81, v79, s[0:3], 0 offen
	buffer_load_dword v82, v79, s[0:3], 0 offen offset:4
	ds_read_b64 v[83:84], v78
	v_add_u32_e32 v80, 1, v80
	v_cmp_lt_u32_e32 vcc, 2, v80
	v_add_u32_e32 v78, 8, v78
	s_or_b64 s[10:11], vcc, s[10:11]
	v_add_u32_e32 v79, 8, v79
	s_waitcnt vmcnt(0) lgkmcnt(0)
	v_fma_f64 v[73:74], v[81:82], v[83:84], v[73:74]
	s_andn2_b64 exec, exec, s[10:11]
	s_cbranch_execnz .LBB99_375
; %bb.376:
	s_or_b64 exec, exec, s[10:11]
.LBB99_377:
	s_or_b64 exec, exec, s[8:9]
	v_mov_b32_e32 v78, 0
	ds_read_b64 v[78:79], v78 offset:32
	s_waitcnt lgkmcnt(0)
	v_mul_f64 v[73:74], v[73:74], v[78:79]
	buffer_store_dword v74, off, s[0:3], 0 offset:36
	buffer_store_dword v73, off, s[0:3], 0 offset:32
.LBB99_378:
	s_or_b64 exec, exec, s[6:7]
	buffer_load_dword v73, off, s[0:3], 0 offset:40
	buffer_load_dword v74, off, s[0:3], 0 offset:44
	v_cmp_gt_u32_e32 vcc, 5, v0
	s_waitcnt vmcnt(0)
	ds_write_b64 v76, v[73:74]
	s_waitcnt lgkmcnt(0)
	; wave barrier
	s_and_saveexec_b64 s[6:7], vcc
	s_cbranch_execz .LBB99_388
; %bb.379:
	s_and_b64 vcc, exec, s[4:5]
	s_cbranch_vccnz .LBB99_381
; %bb.380:
	buffer_load_dword v73, v77, s[0:3], 0 offen
	buffer_load_dword v74, v77, s[0:3], 0 offen offset:4
	ds_read_b64 v[78:79], v76
	s_waitcnt vmcnt(0) lgkmcnt(0)
	v_mul_f64 v[73:74], v[73:74], v[78:79]
	s_cbranch_execz .LBB99_382
	s_branch .LBB99_383
.LBB99_381:
                                        ; implicit-def: $vgpr73_vgpr74
.LBB99_382:
	ds_read_b64 v[73:74], v76
.LBB99_383:
	v_cmp_ne_u32_e32 vcc, 4, v0
	s_and_saveexec_b64 s[8:9], vcc
	s_cbranch_execz .LBB99_387
; %bb.384:
	s_mov_b32 s10, 0
	v_add_u32_e32 v78, 0x128, v75
	v_add3_u32 v79, v75, s10, 8
	s_mov_b64 s[10:11], 0
	v_mov_b32_e32 v80, v0
.LBB99_385:                             ; =>This Inner Loop Header: Depth=1
	buffer_load_dword v81, v79, s[0:3], 0 offen
	buffer_load_dword v82, v79, s[0:3], 0 offen offset:4
	ds_read_b64 v[83:84], v78
	v_add_u32_e32 v80, 1, v80
	v_cmp_lt_u32_e32 vcc, 3, v80
	v_add_u32_e32 v78, 8, v78
	s_or_b64 s[10:11], vcc, s[10:11]
	v_add_u32_e32 v79, 8, v79
	s_waitcnt vmcnt(0) lgkmcnt(0)
	v_fma_f64 v[73:74], v[81:82], v[83:84], v[73:74]
	s_andn2_b64 exec, exec, s[10:11]
	s_cbranch_execnz .LBB99_385
; %bb.386:
	s_or_b64 exec, exec, s[10:11]
.LBB99_387:
	s_or_b64 exec, exec, s[8:9]
	v_mov_b32_e32 v78, 0
	ds_read_b64 v[78:79], v78 offset:40
	s_waitcnt lgkmcnt(0)
	v_mul_f64 v[73:74], v[73:74], v[78:79]
	buffer_store_dword v74, off, s[0:3], 0 offset:44
	buffer_store_dword v73, off, s[0:3], 0 offset:40
.LBB99_388:
	;; [unrolled: 59-line block ×30, first 2 shown]
	s_or_b64 exec, exec, s[6:7]
	buffer_load_dword v73, off, s[0:3], 0 offset:272
	buffer_load_dword v74, off, s[0:3], 0 offset:276
	v_cmp_gt_u32_e64 s[6:7], 34, v0
	s_waitcnt vmcnt(0)
	ds_write_b64 v76, v[73:74]
	s_waitcnt lgkmcnt(0)
	; wave barrier
	s_and_saveexec_b64 s[8:9], s[6:7]
	s_cbranch_execz .LBB99_678
; %bb.669:
	s_and_b64 vcc, exec, s[4:5]
	s_cbranch_vccnz .LBB99_671
; %bb.670:
	buffer_load_dword v73, v77, s[0:3], 0 offen
	buffer_load_dword v74, v77, s[0:3], 0 offen offset:4
	ds_read_b64 v[78:79], v76
	s_waitcnt vmcnt(0) lgkmcnt(0)
	v_mul_f64 v[73:74], v[73:74], v[78:79]
	s_cbranch_execz .LBB99_672
	s_branch .LBB99_673
.LBB99_671:
                                        ; implicit-def: $vgpr73_vgpr74
.LBB99_672:
	ds_read_b64 v[73:74], v76
.LBB99_673:
	v_cmp_ne_u32_e32 vcc, 33, v0
	s_and_saveexec_b64 s[10:11], vcc
	s_cbranch_execz .LBB99_677
; %bb.674:
	s_mov_b32 s12, 0
	v_add_u32_e32 v78, 0x128, v75
	v_add3_u32 v79, v75, s12, 8
	s_mov_b64 s[12:13], 0
	v_mov_b32_e32 v80, v0
.LBB99_675:                             ; =>This Inner Loop Header: Depth=1
	buffer_load_dword v81, v79, s[0:3], 0 offen
	buffer_load_dword v82, v79, s[0:3], 0 offen offset:4
	ds_read_b64 v[83:84], v78
	v_add_u32_e32 v80, 1, v80
	v_cmp_lt_u32_e32 vcc, 32, v80
	v_add_u32_e32 v78, 8, v78
	s_or_b64 s[12:13], vcc, s[12:13]
	v_add_u32_e32 v79, 8, v79
	s_waitcnt vmcnt(0) lgkmcnt(0)
	v_fma_f64 v[73:74], v[81:82], v[83:84], v[73:74]
	s_andn2_b64 exec, exec, s[12:13]
	s_cbranch_execnz .LBB99_675
; %bb.676:
	s_or_b64 exec, exec, s[12:13]
.LBB99_677:
	s_or_b64 exec, exec, s[10:11]
	v_mov_b32_e32 v78, 0
	ds_read_b64 v[78:79], v78 offset:272
	s_waitcnt lgkmcnt(0)
	v_mul_f64 v[73:74], v[73:74], v[78:79]
	buffer_store_dword v74, off, s[0:3], 0 offset:276
	buffer_store_dword v73, off, s[0:3], 0 offset:272
.LBB99_678:
	s_or_b64 exec, exec, s[8:9]
	buffer_load_dword v73, off, s[0:3], 0 offset:280
	buffer_load_dword v74, off, s[0:3], 0 offset:284
	v_cmp_ne_u32_e32 vcc, 35, v0
	s_waitcnt vmcnt(0)
	ds_write_b64 v76, v[73:74]
	s_waitcnt lgkmcnt(0)
	; wave barrier
	s_and_saveexec_b64 s[8:9], vcc
	s_cbranch_execz .LBB99_688
; %bb.679:
	s_and_b64 vcc, exec, s[4:5]
	s_cbranch_vccnz .LBB99_681
; %bb.680:
	buffer_load_dword v73, v77, s[0:3], 0 offen
	buffer_load_dword v74, v77, s[0:3], 0 offen offset:4
	ds_read_b64 v[77:78], v76
	s_waitcnt vmcnt(0) lgkmcnt(0)
	v_mul_f64 v[73:74], v[73:74], v[77:78]
	s_cbranch_execz .LBB99_682
	s_branch .LBB99_683
.LBB99_681:
                                        ; implicit-def: $vgpr73_vgpr74
.LBB99_682:
	ds_read_b64 v[73:74], v76
.LBB99_683:
	s_and_saveexec_b64 s[4:5], s[6:7]
	s_cbranch_execz .LBB99_687
; %bb.684:
	s_mov_b32 s6, 0
	v_add_u32_e32 v76, 0x128, v75
	v_add3_u32 v75, v75, s6, 8
	s_mov_b64 s[6:7], 0
.LBB99_685:                             ; =>This Inner Loop Header: Depth=1
	buffer_load_dword v77, v75, s[0:3], 0 offen
	buffer_load_dword v78, v75, s[0:3], 0 offen offset:4
	ds_read_b64 v[79:80], v76
	v_add_u32_e32 v0, 1, v0
	v_cmp_lt_u32_e32 vcc, 33, v0
	v_add_u32_e32 v76, 8, v76
	s_or_b64 s[6:7], vcc, s[6:7]
	v_add_u32_e32 v75, 8, v75
	s_waitcnt vmcnt(0) lgkmcnt(0)
	v_fma_f64 v[73:74], v[77:78], v[79:80], v[73:74]
	s_andn2_b64 exec, exec, s[6:7]
	s_cbranch_execnz .LBB99_685
; %bb.686:
	s_or_b64 exec, exec, s[6:7]
.LBB99_687:
	s_or_b64 exec, exec, s[4:5]
	v_mov_b32_e32 v0, 0
	ds_read_b64 v[75:76], v0 offset:280
	s_waitcnt lgkmcnt(0)
	v_mul_f64 v[73:74], v[73:74], v[75:76]
	buffer_store_dword v74, off, s[0:3], 0 offset:284
	buffer_store_dword v73, off, s[0:3], 0 offset:280
.LBB99_688:
	s_or_b64 exec, exec, s[8:9]
.LBB99_689:
	buffer_load_dword v73, off, s[0:3], 0
	buffer_load_dword v74, off, s[0:3], 0 offset:4
	s_waitcnt vmcnt(0)
	flat_store_dwordx2 v[1:2], v[73:74]
	buffer_load_dword v0, off, s[0:3], 0 offset:8
	s_nop 0
	buffer_load_dword v1, off, s[0:3], 0 offset:12
	s_waitcnt vmcnt(0)
	flat_store_dwordx2 v[3:4], v[0:1]
	buffer_load_dword v0, off, s[0:3], 0 offset:16
	s_nop 0
	;; [unrolled: 5-line block ×35, first 2 shown]
	buffer_load_dword v1, off, s[0:3], 0 offset:284
	s_waitcnt vmcnt(0)
	flat_store_dwordx2 v[71:72], v[0:1]
.LBB99_690:
	s_endpgm
	.section	.rodata,"a",@progbits
	.p2align	6, 0x0
	.amdhsa_kernel _ZN9rocsolver6v33100L18trti2_kernel_smallILi36EdPKPdEEv13rocblas_fill_17rocblas_diagonal_T1_iil
		.amdhsa_group_segment_fixed_size 576
		.amdhsa_private_segment_fixed_size 304
		.amdhsa_kernarg_size 32
		.amdhsa_user_sgpr_count 6
		.amdhsa_user_sgpr_private_segment_buffer 1
		.amdhsa_user_sgpr_dispatch_ptr 0
		.amdhsa_user_sgpr_queue_ptr 0
		.amdhsa_user_sgpr_kernarg_segment_ptr 1
		.amdhsa_user_sgpr_dispatch_id 0
		.amdhsa_user_sgpr_flat_scratch_init 0
		.amdhsa_user_sgpr_private_segment_size 0
		.amdhsa_uses_dynamic_stack 0
		.amdhsa_system_sgpr_private_segment_wavefront_offset 1
		.amdhsa_system_sgpr_workgroup_id_x 1
		.amdhsa_system_sgpr_workgroup_id_y 0
		.amdhsa_system_sgpr_workgroup_id_z 0
		.amdhsa_system_sgpr_workgroup_info 0
		.amdhsa_system_vgpr_workitem_id 0
		.amdhsa_next_free_vgpr 86
		.amdhsa_next_free_sgpr 49
		.amdhsa_reserve_vcc 1
		.amdhsa_reserve_flat_scratch 0
		.amdhsa_float_round_mode_32 0
		.amdhsa_float_round_mode_16_64 0
		.amdhsa_float_denorm_mode_32 3
		.amdhsa_float_denorm_mode_16_64 3
		.amdhsa_dx10_clamp 1
		.amdhsa_ieee_mode 1
		.amdhsa_fp16_overflow 0
		.amdhsa_exception_fp_ieee_invalid_op 0
		.amdhsa_exception_fp_denorm_src 0
		.amdhsa_exception_fp_ieee_div_zero 0
		.amdhsa_exception_fp_ieee_overflow 0
		.amdhsa_exception_fp_ieee_underflow 0
		.amdhsa_exception_fp_ieee_inexact 0
		.amdhsa_exception_int_div_zero 0
	.end_amdhsa_kernel
	.section	.text._ZN9rocsolver6v33100L18trti2_kernel_smallILi36EdPKPdEEv13rocblas_fill_17rocblas_diagonal_T1_iil,"axG",@progbits,_ZN9rocsolver6v33100L18trti2_kernel_smallILi36EdPKPdEEv13rocblas_fill_17rocblas_diagonal_T1_iil,comdat
.Lfunc_end99:
	.size	_ZN9rocsolver6v33100L18trti2_kernel_smallILi36EdPKPdEEv13rocblas_fill_17rocblas_diagonal_T1_iil, .Lfunc_end99-_ZN9rocsolver6v33100L18trti2_kernel_smallILi36EdPKPdEEv13rocblas_fill_17rocblas_diagonal_T1_iil
                                        ; -- End function
	.set _ZN9rocsolver6v33100L18trti2_kernel_smallILi36EdPKPdEEv13rocblas_fill_17rocblas_diagonal_T1_iil.num_vgpr, 86
	.set _ZN9rocsolver6v33100L18trti2_kernel_smallILi36EdPKPdEEv13rocblas_fill_17rocblas_diagonal_T1_iil.num_agpr, 0
	.set _ZN9rocsolver6v33100L18trti2_kernel_smallILi36EdPKPdEEv13rocblas_fill_17rocblas_diagonal_T1_iil.numbered_sgpr, 49
	.set _ZN9rocsolver6v33100L18trti2_kernel_smallILi36EdPKPdEEv13rocblas_fill_17rocblas_diagonal_T1_iil.num_named_barrier, 0
	.set _ZN9rocsolver6v33100L18trti2_kernel_smallILi36EdPKPdEEv13rocblas_fill_17rocblas_diagonal_T1_iil.private_seg_size, 304
	.set _ZN9rocsolver6v33100L18trti2_kernel_smallILi36EdPKPdEEv13rocblas_fill_17rocblas_diagonal_T1_iil.uses_vcc, 1
	.set _ZN9rocsolver6v33100L18trti2_kernel_smallILi36EdPKPdEEv13rocblas_fill_17rocblas_diagonal_T1_iil.uses_flat_scratch, 0
	.set _ZN9rocsolver6v33100L18trti2_kernel_smallILi36EdPKPdEEv13rocblas_fill_17rocblas_diagonal_T1_iil.has_dyn_sized_stack, 0
	.set _ZN9rocsolver6v33100L18trti2_kernel_smallILi36EdPKPdEEv13rocblas_fill_17rocblas_diagonal_T1_iil.has_recursion, 0
	.set _ZN9rocsolver6v33100L18trti2_kernel_smallILi36EdPKPdEEv13rocblas_fill_17rocblas_diagonal_T1_iil.has_indirect_call, 0
	.section	.AMDGPU.csdata,"",@progbits
; Kernel info:
; codeLenInByte = 21176
; TotalNumSgprs: 53
; NumVgprs: 86
; ScratchSize: 304
; MemoryBound: 0
; FloatMode: 240
; IeeeMode: 1
; LDSByteSize: 576 bytes/workgroup (compile time only)
; SGPRBlocks: 6
; VGPRBlocks: 21
; NumSGPRsForWavesPerEU: 53
; NumVGPRsForWavesPerEU: 86
; Occupancy: 2
; WaveLimiterHint : 1
; COMPUTE_PGM_RSRC2:SCRATCH_EN: 1
; COMPUTE_PGM_RSRC2:USER_SGPR: 6
; COMPUTE_PGM_RSRC2:TRAP_HANDLER: 0
; COMPUTE_PGM_RSRC2:TGID_X_EN: 1
; COMPUTE_PGM_RSRC2:TGID_Y_EN: 0
; COMPUTE_PGM_RSRC2:TGID_Z_EN: 0
; COMPUTE_PGM_RSRC2:TIDIG_COMP_CNT: 0
	.section	.text._ZN9rocsolver6v33100L18trti2_kernel_smallILi37EdPKPdEEv13rocblas_fill_17rocblas_diagonal_T1_iil,"axG",@progbits,_ZN9rocsolver6v33100L18trti2_kernel_smallILi37EdPKPdEEv13rocblas_fill_17rocblas_diagonal_T1_iil,comdat
	.globl	_ZN9rocsolver6v33100L18trti2_kernel_smallILi37EdPKPdEEv13rocblas_fill_17rocblas_diagonal_T1_iil ; -- Begin function _ZN9rocsolver6v33100L18trti2_kernel_smallILi37EdPKPdEEv13rocblas_fill_17rocblas_diagonal_T1_iil
	.p2align	8
	.type	_ZN9rocsolver6v33100L18trti2_kernel_smallILi37EdPKPdEEv13rocblas_fill_17rocblas_diagonal_T1_iil,@function
_ZN9rocsolver6v33100L18trti2_kernel_smallILi37EdPKPdEEv13rocblas_fill_17rocblas_diagonal_T1_iil: ; @_ZN9rocsolver6v33100L18trti2_kernel_smallILi37EdPKPdEEv13rocblas_fill_17rocblas_diagonal_T1_iil
; %bb.0:
	s_add_u32 s0, s0, s7
	s_addc_u32 s1, s1, 0
	v_cmp_gt_u32_e32 vcc, 37, v0
	s_and_saveexec_b64 s[8:9], vcc
	s_cbranch_execz .LBB100_710
; %bb.1:
	s_load_dwordx2 s[12:13], s[4:5], 0x10
	s_load_dwordx4 s[8:11], s[4:5], 0x0
	s_ashr_i32 s7, s6, 31
	s_lshl_b64 s[6:7], s[6:7], 3
	v_lshlrev_b32_e32 v77, 3, v0
	s_waitcnt lgkmcnt(0)
	s_ashr_i32 s5, s12, 31
	s_add_u32 s6, s10, s6
	s_addc_u32 s7, s11, s7
	s_load_dwordx2 s[6:7], s[6:7], 0x0
	s_mov_b32 s4, s12
	s_lshl_b64 s[4:5], s[4:5], 3
	s_waitcnt lgkmcnt(0)
	s_add_u32 s4, s6, s4
	s_addc_u32 s5, s7, s5
	v_mov_b32_e32 v2, s5
	v_add_co_u32_e32 v1, vcc, s4, v77
	v_addc_co_u32_e32 v2, vcc, 0, v2, vcc
	flat_load_dwordx2 v[5:6], v[1:2]
	s_mov_b32 s6, s13
	s_ashr_i32 s7, s13, 31
	s_lshl_b64 s[6:7], s[6:7], 3
	v_mov_b32_e32 v4, s7
	v_add_co_u32_e32 v3, vcc, s6, v1
	v_addc_co_u32_e32 v4, vcc, v2, v4, vcc
	s_add_i32 s6, s13, s13
	v_add_u32_e32 v9, s6, v0
	v_ashrrev_i32_e32 v10, 31, v9
	v_mov_b32_e32 v11, s5
	v_add_u32_e32 v12, s13, v9
	v_ashrrev_i32_e32 v13, 31, v12
	v_mov_b32_e32 v14, s5
	v_mov_b32_e32 v15, s5
	v_mov_b32_e32 v17, s5
	v_mov_b32_e32 v20, s5
	v_mov_b32_e32 v21, s5
	v_mov_b32_e32 v23, s5
	v_mov_b32_e32 v26, s5
	v_mov_b32_e32 v27, s5
	v_mov_b32_e32 v29, s5
	v_mov_b32_e32 v32, s5
	v_mov_b32_e32 v33, s5
	v_mov_b32_e32 v35, s5
	v_mov_b32_e32 v38, s5
	v_mov_b32_e32 v39, s5
	v_mov_b32_e32 v41, s5
	v_mov_b32_e32 v44, s5
	v_mov_b32_e32 v45, s5
	v_mov_b32_e32 v47, s5
	v_mov_b32_e32 v50, s5
	v_mov_b32_e32 v51, s5
	v_mov_b32_e32 v53, s5
	v_mov_b32_e32 v56, s5
	v_mov_b32_e32 v57, s5
	v_mov_b32_e32 v59, s5
	v_mov_b32_e32 v62, s5
	v_mov_b32_e32 v63, s5
	v_mov_b32_e32 v65, s5
	v_mov_b32_e32 v68, s5
	v_mov_b32_e32 v69, s5
	v_mov_b32_e32 v71, s5
	v_mov_b32_e32 v74, s5
	v_mov_b32_e32 v75, s5
	v_mov_b32_e32 v78, s5
	s_cmpk_lg_i32 s9, 0x84
	s_cselect_b64 s[10:11], -1, 0
	s_cmpk_eq_i32 s9, 0x84
	s_waitcnt vmcnt(0) lgkmcnt(0)
	buffer_store_dword v6, off, s[0:3], 0 offset:4
	buffer_store_dword v5, off, s[0:3], 0
	flat_load_dwordx2 v[7:8], v[3:4]
	v_lshlrev_b64 v[5:6], 3, v[9:10]
	s_waitcnt vmcnt(0) lgkmcnt(0)
	buffer_store_dword v8, off, s[0:3], 0 offset:12
	buffer_store_dword v7, off, s[0:3], 0 offset:8
	v_add_co_u32_e32 v5, vcc, s4, v5
	v_addc_co_u32_e32 v6, vcc, v11, v6, vcc
	flat_load_dwordx2 v[10:11], v[5:6]
	v_lshlrev_b64 v[7:8], 3, v[12:13]
	s_waitcnt vmcnt(0) lgkmcnt(0)
	buffer_store_dword v11, off, s[0:3], 0 offset:20
	buffer_store_dword v10, off, s[0:3], 0 offset:16
	v_add_co_u32_e32 v7, vcc, s4, v7
	v_addc_co_u32_e32 v8, vcc, v14, v8, vcc
	flat_load_dwordx2 v[13:14], v[7:8]
	v_add_u32_e32 v11, s13, v12
	v_ashrrev_i32_e32 v12, 31, v11
	v_lshlrev_b64 v[9:10], 3, v[11:12]
	s_waitcnt vmcnt(0) lgkmcnt(0)
	buffer_store_dword v14, off, s[0:3], 0 offset:28
	buffer_store_dword v13, off, s[0:3], 0 offset:24
	v_add_co_u32_e32 v9, vcc, s4, v9
	v_addc_co_u32_e32 v10, vcc, v15, v10, vcc
	flat_load_dwordx2 v[13:14], v[9:10]
	v_add_u32_e32 v15, s13, v11
	v_ashrrev_i32_e32 v16, 31, v15
	v_lshlrev_b64 v[11:12], 3, v[15:16]
	v_add_u32_e32 v18, s13, v15
	v_add_co_u32_e32 v11, vcc, s4, v11
	v_addc_co_u32_e32 v12, vcc, v17, v12, vcc
	v_ashrrev_i32_e32 v19, 31, v18
	s_waitcnt vmcnt(0) lgkmcnt(0)
	buffer_store_dword v14, off, s[0:3], 0 offset:36
	buffer_store_dword v13, off, s[0:3], 0 offset:32
	flat_load_dwordx2 v[16:17], v[11:12]
	v_lshlrev_b64 v[13:14], 3, v[18:19]
	s_waitcnt vmcnt(0) lgkmcnt(0)
	buffer_store_dword v17, off, s[0:3], 0 offset:44
	buffer_store_dword v16, off, s[0:3], 0 offset:40
	v_add_co_u32_e32 v13, vcc, s4, v13
	v_addc_co_u32_e32 v14, vcc, v20, v14, vcc
	flat_load_dwordx2 v[19:20], v[13:14]
	v_add_u32_e32 v17, s13, v18
	v_ashrrev_i32_e32 v18, 31, v17
	v_lshlrev_b64 v[15:16], 3, v[17:18]
	s_waitcnt vmcnt(0) lgkmcnt(0)
	buffer_store_dword v20, off, s[0:3], 0 offset:52
	buffer_store_dword v19, off, s[0:3], 0 offset:48
	v_add_co_u32_e32 v15, vcc, s4, v15
	v_addc_co_u32_e32 v16, vcc, v21, v16, vcc
	flat_load_dwordx2 v[19:20], v[15:16]
	v_add_u32_e32 v21, s13, v17
	v_ashrrev_i32_e32 v22, 31, v21
	v_lshlrev_b64 v[17:18], 3, v[21:22]
	v_add_u32_e32 v24, s13, v21
	v_add_co_u32_e32 v17, vcc, s4, v17
	v_addc_co_u32_e32 v18, vcc, v23, v18, vcc
	v_ashrrev_i32_e32 v25, 31, v24
	s_waitcnt vmcnt(0) lgkmcnt(0)
	buffer_store_dword v20, off, s[0:3], 0 offset:60
	buffer_store_dword v19, off, s[0:3], 0 offset:56
	;; [unrolled: 27-line block ×7, first 2 shown]
	flat_load_dwordx2 v[52:53], v[47:48]
	v_lshlrev_b64 v[49:50], 3, v[54:55]
	s_waitcnt vmcnt(0) lgkmcnt(0)
	buffer_store_dword v53, off, s[0:3], 0 offset:188
	buffer_store_dword v52, off, s[0:3], 0 offset:184
	v_add_co_u32_e32 v49, vcc, s4, v49
	v_addc_co_u32_e32 v50, vcc, v56, v50, vcc
	flat_load_dwordx2 v[55:56], v[49:50]
	v_add_u32_e32 v53, s13, v54
	v_ashrrev_i32_e32 v54, 31, v53
	v_lshlrev_b64 v[51:52], 3, v[53:54]
	s_waitcnt vmcnt(0) lgkmcnt(0)
	buffer_store_dword v56, off, s[0:3], 0 offset:196
	buffer_store_dword v55, off, s[0:3], 0 offset:192
	v_add_co_u32_e32 v51, vcc, s4, v51
	v_addc_co_u32_e32 v52, vcc, v57, v52, vcc
	flat_load_dwordx2 v[55:56], v[51:52]
	v_add_u32_e32 v57, s13, v53
	v_ashrrev_i32_e32 v58, 31, v57
	v_lshlrev_b64 v[53:54], 3, v[57:58]
	v_add_u32_e32 v60, s13, v57
	v_add_co_u32_e32 v53, vcc, s4, v53
	v_addc_co_u32_e32 v54, vcc, v59, v54, vcc
	s_waitcnt vmcnt(0) lgkmcnt(0)
	buffer_store_dword v56, off, s[0:3], 0 offset:204
	buffer_store_dword v55, off, s[0:3], 0 offset:200
	flat_load_dwordx2 v[58:59], v[53:54]
	v_ashrrev_i32_e32 v61, 31, v60
	v_lshlrev_b64 v[55:56], 3, v[60:61]
	s_waitcnt vmcnt(0) lgkmcnt(0)
	buffer_store_dword v59, off, s[0:3], 0 offset:212
	buffer_store_dword v58, off, s[0:3], 0 offset:208
	v_add_co_u32_e32 v55, vcc, s4, v55
	v_addc_co_u32_e32 v56, vcc, v62, v56, vcc
	flat_load_dwordx2 v[61:62], v[55:56]
	v_add_u32_e32 v59, s13, v60
	v_ashrrev_i32_e32 v60, 31, v59
	v_lshlrev_b64 v[57:58], 3, v[59:60]
	s_waitcnt vmcnt(0) lgkmcnt(0)
	buffer_store_dword v62, off, s[0:3], 0 offset:220
	buffer_store_dword v61, off, s[0:3], 0 offset:216
	v_add_co_u32_e32 v57, vcc, s4, v57
	v_addc_co_u32_e32 v58, vcc, v63, v58, vcc
	flat_load_dwordx2 v[61:62], v[57:58]
	v_add_u32_e32 v63, s13, v59
	;; [unrolled: 9-line block ×9, first 2 shown]
	v_ashrrev_i32_e32 v74, 31, v73
	v_lshlrev_b64 v[73:74], 3, v[73:74]
	v_mov_b32_e32 v76, s5
	v_add_co_u32_e32 v73, vcc, s4, v73
	v_addc_co_u32_e32 v74, vcc, v76, v74, vcc
	s_waitcnt vmcnt(0) lgkmcnt(0)
	buffer_store_dword v79, off, s[0:3], 0 offset:284
	buffer_store_dword v78, off, s[0:3], 0 offset:280
	flat_load_dwordx2 v[78:79], v[73:74]
	v_mov_b32_e32 v75, 0
	v_mov_b32_e32 v76, 0xbff00000
	s_waitcnt vmcnt(0) lgkmcnt(0)
	buffer_store_dword v79, off, s[0:3], 0 offset:292
	buffer_store_dword v78, off, s[0:3], 0 offset:288
	s_cbranch_scc1 .LBB100_3
; %bb.2:
	v_mov_b32_e32 v75, 0
	v_lshl_add_u32 v86, v0, 3, v75
	buffer_load_dword v75, v86, s[0:3], 0 offen
	buffer_load_dword v76, v86, s[0:3], 0 offen offset:4
	s_waitcnt vmcnt(0)
	v_div_scale_f64 v[78:79], s[4:5], v[75:76], v[75:76], 1.0
	v_rcp_f64_e32 v[80:81], v[78:79]
	v_fma_f64 v[82:83], -v[78:79], v[80:81], 1.0
	v_fma_f64 v[80:81], v[80:81], v[82:83], v[80:81]
	v_div_scale_f64 v[82:83], vcc, 1.0, v[75:76], 1.0
	v_fma_f64 v[84:85], -v[78:79], v[80:81], 1.0
	v_fma_f64 v[80:81], v[80:81], v[84:85], v[80:81]
	v_mul_f64 v[84:85], v[82:83], v[80:81]
	v_fma_f64 v[78:79], -v[78:79], v[84:85], v[82:83]
	v_div_fmas_f64 v[78:79], v[78:79], v[80:81], v[84:85]
	v_div_fixup_f64 v[75:76], v[78:79], v[75:76], 1.0
	buffer_store_dword v75, v86, s[0:3], 0 offen
	buffer_store_dword v76, v86, s[0:3], 0 offen offset:4
	v_xor_b32_e32 v76, 0x80000000, v76
.LBB100_3:
	s_cmpk_eq_i32 s8, 0x79
	v_add_u32_e32 v78, 0x130, v77
	v_mov_b32_e32 v79, v77
	s_mov_b64 s[4:5], -1
	ds_write_b64 v77, v[75:76]
	s_cbranch_scc1 .LBB100_357
; %bb.4:
	buffer_load_dword v75, off, s[0:3], 0 offset:280
	buffer_load_dword v76, off, s[0:3], 0 offset:284
	s_movk_i32 s12, 0x48
	s_movk_i32 s13, 0x50
	;; [unrolled: 1-line block ×26, first 2 shown]
	v_cmp_eq_u32_e64 s[4:5], 36, v0
	s_waitcnt vmcnt(0)
	ds_write_b64 v78, v[75:76]
	s_waitcnt lgkmcnt(0)
	; wave barrier
	s_and_saveexec_b64 s[6:7], s[4:5]
	s_cbranch_execz .LBB100_10
; %bb.5:
	s_and_b64 vcc, exec, s[10:11]
	s_cbranch_vccz .LBB100_7
; %bb.6:
	buffer_load_dword v75, v79, s[0:3], 0 offen
	buffer_load_dword v76, v79, s[0:3], 0 offen offset:4
	ds_read_b64 v[80:81], v78
	s_waitcnt vmcnt(0) lgkmcnt(0)
	v_mul_f64 v[75:76], v[75:76], v[80:81]
	s_cbranch_execz .LBB100_8
	s_branch .LBB100_9
.LBB100_7:
                                        ; implicit-def: $vgpr75_vgpr76
.LBB100_8:
	ds_read_b64 v[75:76], v78
.LBB100_9:
	v_mov_b32_e32 v80, 0
	ds_read_b64 v[80:81], v80 offset:280
	s_waitcnt lgkmcnt(0)
	v_mul_f64 v[75:76], v[75:76], v[80:81]
	buffer_store_dword v76, off, s[0:3], 0 offset:284
	buffer_store_dword v75, off, s[0:3], 0 offset:280
.LBB100_10:
	s_or_b64 exec, exec, s[6:7]
	buffer_load_dword v75, off, s[0:3], 0 offset:272
	buffer_load_dword v76, off, s[0:3], 0 offset:276
	s_or_b32 s14, 0, 8
	s_mov_b32 s15, 16
	s_mov_b32 s16, 24
	;; [unrolled: 1-line block ×9, first 2 shown]
	v_cmp_lt_u32_e64 s[6:7], 34, v0
	s_waitcnt vmcnt(0)
	ds_write_b64 v78, v[75:76]
	s_waitcnt lgkmcnt(0)
	; wave barrier
	s_and_saveexec_b64 s[8:9], s[6:7]
	s_cbranch_execz .LBB100_16
; %bb.11:
	s_andn2_b64 vcc, exec, s[10:11]
	s_cbranch_vccnz .LBB100_13
; %bb.12:
	buffer_load_dword v75, v79, s[0:3], 0 offen
	buffer_load_dword v76, v79, s[0:3], 0 offen offset:4
	ds_read_b64 v[80:81], v78
	s_waitcnt vmcnt(0) lgkmcnt(0)
	v_mul_f64 v[75:76], v[75:76], v[80:81]
	s_cbranch_execz .LBB100_14
	s_branch .LBB100_15
.LBB100_13:
                                        ; implicit-def: $vgpr75_vgpr76
.LBB100_14:
	ds_read_b64 v[75:76], v78
.LBB100_15:
	buffer_load_dword v84, off, s[0:3], 0 offset:280
	buffer_load_dword v85, off, s[0:3], 0 offset:284
	v_mov_b32_e32 v80, 0
	ds_read2_b64 v[80:83], v80 offset0:34 offset1:73
	s_waitcnt vmcnt(0) lgkmcnt(0)
	v_fma_f64 v[82:83], v[84:85], v[82:83], v[75:76]
	v_cndmask_b32_e64 v76, v76, v83, s[4:5]
	v_cndmask_b32_e64 v75, v75, v82, s[4:5]
	v_mul_f64 v[75:76], v[75:76], v[80:81]
	buffer_store_dword v76, off, s[0:3], 0 offset:276
	buffer_store_dword v75, off, s[0:3], 0 offset:272
.LBB100_16:
	s_or_b64 exec, exec, s[8:9]
	buffer_load_dword v75, off, s[0:3], 0 offset:264
	buffer_load_dword v76, off, s[0:3], 0 offset:268
	v_cmp_lt_u32_e64 s[4:5], 33, v0
	s_waitcnt vmcnt(0)
	ds_write_b64 v78, v[75:76]
	s_waitcnt lgkmcnt(0)
	; wave barrier
	s_and_saveexec_b64 s[8:9], s[4:5]
	s_cbranch_execz .LBB100_26
; %bb.17:
	s_andn2_b64 vcc, exec, s[10:11]
	s_cbranch_vccnz .LBB100_19
; %bb.18:
	buffer_load_dword v75, v79, s[0:3], 0 offen
	buffer_load_dword v76, v79, s[0:3], 0 offen offset:4
	ds_read_b64 v[80:81], v78
	s_waitcnt vmcnt(0) lgkmcnt(0)
	v_mul_f64 v[75:76], v[75:76], v[80:81]
	s_cbranch_execz .LBB100_20
	s_branch .LBB100_21
.LBB100_19:
                                        ; implicit-def: $vgpr75_vgpr76
.LBB100_20:
	ds_read_b64 v[75:76], v78
.LBB100_21:
	s_and_saveexec_b64 s[12:13], s[6:7]
	s_cbranch_execz .LBB100_25
; %bb.22:
	v_subrev_u32_e32 v80, 34, v0
	s_movk_i32 s49, 0x240
	s_mov_b64 s[6:7], 0
.LBB100_23:                             ; =>This Inner Loop Header: Depth=1
	v_mov_b32_e32 v83, s48
	buffer_load_dword v81, v83, s[0:3], 0 offen
	buffer_load_dword v82, v83, s[0:3], 0 offen offset:4
	v_mov_b32_e32 v83, s49
	ds_read_b64 v[83:84], v83
	v_add_u32_e32 v80, -1, v80
	s_add_i32 s49, s49, 8
	s_add_i32 s48, s48, 8
	v_cmp_eq_u32_e32 vcc, 0, v80
	s_or_b64 s[6:7], vcc, s[6:7]
	s_waitcnt vmcnt(0) lgkmcnt(0)
	v_fma_f64 v[75:76], v[81:82], v[83:84], v[75:76]
	s_andn2_b64 exec, exec, s[6:7]
	s_cbranch_execnz .LBB100_23
; %bb.24:
	s_or_b64 exec, exec, s[6:7]
.LBB100_25:
	s_or_b64 exec, exec, s[12:13]
	v_mov_b32_e32 v80, 0
	ds_read_b64 v[80:81], v80 offset:264
	s_waitcnt lgkmcnt(0)
	v_mul_f64 v[75:76], v[75:76], v[80:81]
	buffer_store_dword v76, off, s[0:3], 0 offset:268
	buffer_store_dword v75, off, s[0:3], 0 offset:264
.LBB100_26:
	s_or_b64 exec, exec, s[8:9]
	buffer_load_dword v75, off, s[0:3], 0 offset:256
	buffer_load_dword v76, off, s[0:3], 0 offset:260
	v_cmp_lt_u32_e64 s[6:7], 32, v0
	s_waitcnt vmcnt(0)
	ds_write_b64 v78, v[75:76]
	s_waitcnt lgkmcnt(0)
	; wave barrier
	s_and_saveexec_b64 s[8:9], s[6:7]
	s_cbranch_execz .LBB100_36
; %bb.27:
	s_andn2_b64 vcc, exec, s[10:11]
	s_cbranch_vccnz .LBB100_29
; %bb.28:
	buffer_load_dword v75, v79, s[0:3], 0 offen
	buffer_load_dword v76, v79, s[0:3], 0 offen offset:4
	ds_read_b64 v[80:81], v78
	s_waitcnt vmcnt(0) lgkmcnt(0)
	v_mul_f64 v[75:76], v[75:76], v[80:81]
	s_cbranch_execz .LBB100_30
	s_branch .LBB100_31
.LBB100_29:
                                        ; implicit-def: $vgpr75_vgpr76
.LBB100_30:
	ds_read_b64 v[75:76], v78
.LBB100_31:
	s_and_saveexec_b64 s[12:13], s[4:5]
	s_cbranch_execz .LBB100_35
; %bb.32:
	v_subrev_u32_e32 v80, 33, v0
	s_movk_i32 s48, 0x238
	s_mov_b64 s[4:5], 0
.LBB100_33:                             ; =>This Inner Loop Header: Depth=1
	v_mov_b32_e32 v83, s47
	buffer_load_dword v81, v83, s[0:3], 0 offen
	buffer_load_dword v82, v83, s[0:3], 0 offen offset:4
	v_mov_b32_e32 v83, s48
	ds_read_b64 v[83:84], v83
	v_add_u32_e32 v80, -1, v80
	s_add_i32 s48, s48, 8
	s_add_i32 s47, s47, 8
	v_cmp_eq_u32_e32 vcc, 0, v80
	s_or_b64 s[4:5], vcc, s[4:5]
	s_waitcnt vmcnt(0) lgkmcnt(0)
	v_fma_f64 v[75:76], v[81:82], v[83:84], v[75:76]
	s_andn2_b64 exec, exec, s[4:5]
	s_cbranch_execnz .LBB100_33
; %bb.34:
	s_or_b64 exec, exec, s[4:5]
.LBB100_35:
	s_or_b64 exec, exec, s[12:13]
	v_mov_b32_e32 v80, 0
	ds_read_b64 v[80:81], v80 offset:256
	s_waitcnt lgkmcnt(0)
	v_mul_f64 v[75:76], v[75:76], v[80:81]
	buffer_store_dword v76, off, s[0:3], 0 offset:260
	buffer_store_dword v75, off, s[0:3], 0 offset:256
.LBB100_36:
	;; [unrolled: 58-line block ×8, first 2 shown]
	s_or_b64 exec, exec, s[8:9]
	buffer_load_dword v75, off, s[0:3], 0 offset:200
	buffer_load_dword v76, off, s[0:3], 0 offset:204
	v_cmp_lt_u32_e64 s[4:5], 25, v0
	s_waitcnt vmcnt(0)
	ds_write_b64 v78, v[75:76]
	s_waitcnt lgkmcnt(0)
	; wave barrier
	s_and_saveexec_b64 s[8:9], s[4:5]
	s_cbranch_execz .LBB100_106
; %bb.97:
	s_andn2_b64 vcc, exec, s[10:11]
	s_cbranch_vccnz .LBB100_99
; %bb.98:
	buffer_load_dword v75, v79, s[0:3], 0 offen
	buffer_load_dword v76, v79, s[0:3], 0 offen offset:4
	ds_read_b64 v[80:81], v78
	s_waitcnt vmcnt(0) lgkmcnt(0)
	v_mul_f64 v[75:76], v[75:76], v[80:81]
	s_cbranch_execz .LBB100_100
	s_branch .LBB100_101
.LBB100_99:
                                        ; implicit-def: $vgpr75_vgpr76
.LBB100_100:
	ds_read_b64 v[75:76], v78
.LBB100_101:
	s_and_saveexec_b64 s[12:13], s[6:7]
	s_cbranch_execz .LBB100_105
; %bb.102:
	v_subrev_u32_e32 v80, 26, v0
	s_movk_i32 s41, 0x200
	s_mov_b64 s[6:7], 0
.LBB100_103:                            ; =>This Inner Loop Header: Depth=1
	v_mov_b32_e32 v83, s40
	buffer_load_dword v81, v83, s[0:3], 0 offen
	buffer_load_dword v82, v83, s[0:3], 0 offen offset:4
	v_mov_b32_e32 v83, s41
	ds_read_b64 v[83:84], v83
	v_add_u32_e32 v80, -1, v80
	s_add_i32 s41, s41, 8
	s_add_i32 s40, s40, 8
	v_cmp_eq_u32_e32 vcc, 0, v80
	s_or_b64 s[6:7], vcc, s[6:7]
	s_waitcnt vmcnt(0) lgkmcnt(0)
	v_fma_f64 v[75:76], v[81:82], v[83:84], v[75:76]
	s_andn2_b64 exec, exec, s[6:7]
	s_cbranch_execnz .LBB100_103
; %bb.104:
	s_or_b64 exec, exec, s[6:7]
.LBB100_105:
	s_or_b64 exec, exec, s[12:13]
	v_mov_b32_e32 v80, 0
	ds_read_b64 v[80:81], v80 offset:200
	s_waitcnt lgkmcnt(0)
	v_mul_f64 v[75:76], v[75:76], v[80:81]
	buffer_store_dword v76, off, s[0:3], 0 offset:204
	buffer_store_dword v75, off, s[0:3], 0 offset:200
.LBB100_106:
	s_or_b64 exec, exec, s[8:9]
	buffer_load_dword v75, off, s[0:3], 0 offset:192
	buffer_load_dword v76, off, s[0:3], 0 offset:196
	v_cmp_lt_u32_e64 s[6:7], 24, v0
	s_waitcnt vmcnt(0)
	ds_write_b64 v78, v[75:76]
	s_waitcnt lgkmcnt(0)
	; wave barrier
	s_and_saveexec_b64 s[8:9], s[6:7]
	s_cbranch_execz .LBB100_116
; %bb.107:
	s_andn2_b64 vcc, exec, s[10:11]
	s_cbranch_vccnz .LBB100_109
; %bb.108:
	buffer_load_dword v75, v79, s[0:3], 0 offen
	buffer_load_dword v76, v79, s[0:3], 0 offen offset:4
	ds_read_b64 v[80:81], v78
	s_waitcnt vmcnt(0) lgkmcnt(0)
	v_mul_f64 v[75:76], v[75:76], v[80:81]
	s_cbranch_execz .LBB100_110
	s_branch .LBB100_111
.LBB100_109:
                                        ; implicit-def: $vgpr75_vgpr76
.LBB100_110:
	ds_read_b64 v[75:76], v78
.LBB100_111:
	s_and_saveexec_b64 s[12:13], s[4:5]
	s_cbranch_execz .LBB100_115
; %bb.112:
	v_subrev_u32_e32 v80, 25, v0
	s_movk_i32 s40, 0x1f8
	s_mov_b64 s[4:5], 0
.LBB100_113:                            ; =>This Inner Loop Header: Depth=1
	v_mov_b32_e32 v83, s39
	buffer_load_dword v81, v83, s[0:3], 0 offen
	buffer_load_dword v82, v83, s[0:3], 0 offen offset:4
	v_mov_b32_e32 v83, s40
	ds_read_b64 v[83:84], v83
	v_add_u32_e32 v80, -1, v80
	s_add_i32 s40, s40, 8
	s_add_i32 s39, s39, 8
	v_cmp_eq_u32_e32 vcc, 0, v80
	s_or_b64 s[4:5], vcc, s[4:5]
	s_waitcnt vmcnt(0) lgkmcnt(0)
	v_fma_f64 v[75:76], v[81:82], v[83:84], v[75:76]
	s_andn2_b64 exec, exec, s[4:5]
	s_cbranch_execnz .LBB100_113
; %bb.114:
	s_or_b64 exec, exec, s[4:5]
.LBB100_115:
	s_or_b64 exec, exec, s[12:13]
	v_mov_b32_e32 v80, 0
	ds_read_b64 v[80:81], v80 offset:192
	s_waitcnt lgkmcnt(0)
	v_mul_f64 v[75:76], v[75:76], v[80:81]
	buffer_store_dword v76, off, s[0:3], 0 offset:196
	buffer_store_dword v75, off, s[0:3], 0 offset:192
.LBB100_116:
	;; [unrolled: 58-line block ×10, first 2 shown]
	s_or_b64 exec, exec, s[8:9]
	buffer_load_dword v75, off, s[0:3], 0 offset:120
	buffer_load_dword v76, off, s[0:3], 0 offset:124
	v_cmp_lt_u32_e64 s[4:5], 15, v0
	s_waitcnt vmcnt(0)
	ds_write_b64 v78, v[75:76]
	s_waitcnt lgkmcnt(0)
	; wave barrier
	s_and_saveexec_b64 s[8:9], s[4:5]
	s_cbranch_execz .LBB100_206
; %bb.197:
	s_andn2_b64 vcc, exec, s[10:11]
	s_cbranch_vccnz .LBB100_199
; %bb.198:
	buffer_load_dword v75, v79, s[0:3], 0 offen
	buffer_load_dword v76, v79, s[0:3], 0 offen offset:4
	ds_read_b64 v[80:81], v78
	s_waitcnt vmcnt(0) lgkmcnt(0)
	v_mul_f64 v[75:76], v[75:76], v[80:81]
	s_cbranch_execz .LBB100_200
	s_branch .LBB100_201
.LBB100_199:
                                        ; implicit-def: $vgpr75_vgpr76
.LBB100_200:
	ds_read_b64 v[75:76], v78
.LBB100_201:
	s_and_saveexec_b64 s[12:13], s[6:7]
	s_cbranch_execz .LBB100_205
; %bb.202:
	v_add_u32_e32 v80, -16, v0
	s_movk_i32 s30, 0x1b0
	s_mov_b64 s[6:7], 0
.LBB100_203:                            ; =>This Inner Loop Header: Depth=1
	v_mov_b32_e32 v83, s29
	buffer_load_dword v81, v83, s[0:3], 0 offen
	buffer_load_dword v82, v83, s[0:3], 0 offen offset:4
	v_mov_b32_e32 v83, s30
	ds_read_b64 v[83:84], v83
	v_add_u32_e32 v80, -1, v80
	s_add_i32 s30, s30, 8
	s_add_i32 s29, s29, 8
	v_cmp_eq_u32_e32 vcc, 0, v80
	s_or_b64 s[6:7], vcc, s[6:7]
	s_waitcnt vmcnt(0) lgkmcnt(0)
	v_fma_f64 v[75:76], v[81:82], v[83:84], v[75:76]
	s_andn2_b64 exec, exec, s[6:7]
	s_cbranch_execnz .LBB100_203
; %bb.204:
	s_or_b64 exec, exec, s[6:7]
.LBB100_205:
	s_or_b64 exec, exec, s[12:13]
	v_mov_b32_e32 v80, 0
	ds_read_b64 v[80:81], v80 offset:120
	s_waitcnt lgkmcnt(0)
	v_mul_f64 v[75:76], v[75:76], v[80:81]
	buffer_store_dword v76, off, s[0:3], 0 offset:124
	buffer_store_dword v75, off, s[0:3], 0 offset:120
.LBB100_206:
	s_or_b64 exec, exec, s[8:9]
	buffer_load_dword v75, off, s[0:3], 0 offset:112
	buffer_load_dword v76, off, s[0:3], 0 offset:116
	v_cmp_lt_u32_e64 s[6:7], 14, v0
	s_waitcnt vmcnt(0)
	ds_write_b64 v78, v[75:76]
	s_waitcnt lgkmcnt(0)
	; wave barrier
	s_and_saveexec_b64 s[8:9], s[6:7]
	s_cbranch_execz .LBB100_216
; %bb.207:
	s_andn2_b64 vcc, exec, s[10:11]
	s_cbranch_vccnz .LBB100_209
; %bb.208:
	buffer_load_dword v75, v79, s[0:3], 0 offen
	buffer_load_dword v76, v79, s[0:3], 0 offen offset:4
	ds_read_b64 v[80:81], v78
	s_waitcnt vmcnt(0) lgkmcnt(0)
	v_mul_f64 v[75:76], v[75:76], v[80:81]
	s_cbranch_execz .LBB100_210
	s_branch .LBB100_211
.LBB100_209:
                                        ; implicit-def: $vgpr75_vgpr76
.LBB100_210:
	ds_read_b64 v[75:76], v78
.LBB100_211:
	s_and_saveexec_b64 s[12:13], s[4:5]
	s_cbranch_execz .LBB100_215
; %bb.212:
	v_add_u32_e32 v80, -15, v0
	s_movk_i32 s29, 0x1a8
	s_mov_b64 s[4:5], 0
.LBB100_213:                            ; =>This Inner Loop Header: Depth=1
	v_mov_b32_e32 v83, s28
	buffer_load_dword v81, v83, s[0:3], 0 offen
	buffer_load_dword v82, v83, s[0:3], 0 offen offset:4
	v_mov_b32_e32 v83, s29
	ds_read_b64 v[83:84], v83
	v_add_u32_e32 v80, -1, v80
	s_add_i32 s29, s29, 8
	s_add_i32 s28, s28, 8
	v_cmp_eq_u32_e32 vcc, 0, v80
	s_or_b64 s[4:5], vcc, s[4:5]
	s_waitcnt vmcnt(0) lgkmcnt(0)
	v_fma_f64 v[75:76], v[81:82], v[83:84], v[75:76]
	s_andn2_b64 exec, exec, s[4:5]
	s_cbranch_execnz .LBB100_213
; %bb.214:
	s_or_b64 exec, exec, s[4:5]
.LBB100_215:
	s_or_b64 exec, exec, s[12:13]
	v_mov_b32_e32 v80, 0
	ds_read_b64 v[80:81], v80 offset:112
	s_waitcnt lgkmcnt(0)
	v_mul_f64 v[75:76], v[75:76], v[80:81]
	buffer_store_dword v76, off, s[0:3], 0 offset:116
	buffer_store_dword v75, off, s[0:3], 0 offset:112
.LBB100_216:
	;; [unrolled: 58-line block ×15, first 2 shown]
	s_or_b64 exec, exec, s[8:9]
	buffer_load_dword v75, off, s[0:3], 0
	buffer_load_dword v76, off, s[0:3], 0 offset:4
	v_cmp_ne_u32_e32 vcc, 0, v0
	s_waitcnt vmcnt(0)
	ds_write_b64 v78, v[75:76]
	s_waitcnt lgkmcnt(0)
	; wave barrier
	s_and_saveexec_b64 s[6:7], vcc
	s_cbranch_execz .LBB100_356
; %bb.347:
	s_andn2_b64 vcc, exec, s[10:11]
	s_cbranch_vccnz .LBB100_349
; %bb.348:
	buffer_load_dword v75, v79, s[0:3], 0 offen
	buffer_load_dword v76, v79, s[0:3], 0 offen offset:4
	ds_read_b64 v[80:81], v78
	s_waitcnt vmcnt(0) lgkmcnt(0)
	v_mul_f64 v[75:76], v[75:76], v[80:81]
	s_cbranch_execz .LBB100_350
	s_branch .LBB100_351
.LBB100_349:
                                        ; implicit-def: $vgpr75_vgpr76
.LBB100_350:
	ds_read_b64 v[75:76], v78
.LBB100_351:
	s_and_saveexec_b64 s[8:9], s[4:5]
	s_cbranch_execz .LBB100_355
; %bb.352:
	v_add_u32_e32 v80, -1, v0
	s_movk_i32 s12, 0x138
	s_mov_b64 s[4:5], 0
.LBB100_353:                            ; =>This Inner Loop Header: Depth=1
	v_mov_b32_e32 v83, s14
	buffer_load_dword v81, v83, s[0:3], 0 offen
	buffer_load_dword v82, v83, s[0:3], 0 offen offset:4
	v_mov_b32_e32 v83, s12
	ds_read_b64 v[83:84], v83
	v_add_u32_e32 v80, -1, v80
	s_add_i32 s12, s12, 8
	s_add_i32 s14, s14, 8
	v_cmp_eq_u32_e32 vcc, 0, v80
	s_or_b64 s[4:5], vcc, s[4:5]
	s_waitcnt vmcnt(0) lgkmcnt(0)
	v_fma_f64 v[75:76], v[81:82], v[83:84], v[75:76]
	s_andn2_b64 exec, exec, s[4:5]
	s_cbranch_execnz .LBB100_353
; %bb.354:
	s_or_b64 exec, exec, s[4:5]
.LBB100_355:
	s_or_b64 exec, exec, s[8:9]
	v_mov_b32_e32 v80, 0
	ds_read_b64 v[80:81], v80
	s_waitcnt lgkmcnt(0)
	v_mul_f64 v[75:76], v[75:76], v[80:81]
	buffer_store_dword v76, off, s[0:3], 0 offset:4
	buffer_store_dword v75, off, s[0:3], 0
.LBB100_356:
	s_or_b64 exec, exec, s[6:7]
	s_mov_b64 s[4:5], 0
.LBB100_357:
	s_and_b64 vcc, exec, s[4:5]
	s_cbranch_vccz .LBB100_709
; %bb.358:
	buffer_load_dword v75, off, s[0:3], 0 offset:8
	buffer_load_dword v76, off, s[0:3], 0 offset:12
	v_cmp_eq_u32_e64 s[6:7], 0, v0
	s_waitcnt vmcnt(0)
	ds_write_b64 v78, v[75:76]
	s_waitcnt lgkmcnt(0)
	; wave barrier
	s_and_saveexec_b64 s[4:5], s[6:7]
	s_cbranch_execz .LBB100_364
; %bb.359:
	s_and_b64 vcc, exec, s[10:11]
	s_cbranch_vccz .LBB100_361
; %bb.360:
	buffer_load_dword v75, v79, s[0:3], 0 offen
	buffer_load_dword v76, v79, s[0:3], 0 offen offset:4
	ds_read_b64 v[80:81], v78
	s_waitcnt vmcnt(0) lgkmcnt(0)
	v_mul_f64 v[75:76], v[75:76], v[80:81]
	s_cbranch_execz .LBB100_362
	s_branch .LBB100_363
.LBB100_361:
                                        ; implicit-def: $vgpr75_vgpr76
.LBB100_362:
	ds_read_b64 v[75:76], v78
.LBB100_363:
	v_mov_b32_e32 v80, 0
	ds_read_b64 v[80:81], v80 offset:8
	s_waitcnt lgkmcnt(0)
	v_mul_f64 v[75:76], v[75:76], v[80:81]
	buffer_store_dword v76, off, s[0:3], 0 offset:12
	buffer_store_dword v75, off, s[0:3], 0 offset:8
.LBB100_364:
	s_or_b64 exec, exec, s[4:5]
	buffer_load_dword v75, off, s[0:3], 0 offset:16
	buffer_load_dword v76, off, s[0:3], 0 offset:20
	v_cndmask_b32_e64 v80, 0, 1, s[10:11]
	v_cmp_gt_u32_e32 vcc, 2, v0
	v_cmp_ne_u32_e64 s[4:5], 1, v80
	s_waitcnt vmcnt(0)
	ds_write_b64 v78, v[75:76]
	s_waitcnt lgkmcnt(0)
	; wave barrier
	s_and_saveexec_b64 s[8:9], vcc
	s_cbranch_execz .LBB100_370
; %bb.365:
	s_and_b64 vcc, exec, s[4:5]
	s_cbranch_vccnz .LBB100_367
; %bb.366:
	buffer_load_dword v75, v79, s[0:3], 0 offen
	buffer_load_dword v76, v79, s[0:3], 0 offen offset:4
	ds_read_b64 v[80:81], v78
	s_waitcnt vmcnt(0) lgkmcnt(0)
	v_mul_f64 v[75:76], v[75:76], v[80:81]
	s_cbranch_execz .LBB100_368
	s_branch .LBB100_369
.LBB100_367:
                                        ; implicit-def: $vgpr75_vgpr76
.LBB100_368:
	ds_read_b64 v[75:76], v78
.LBB100_369:
	buffer_load_dword v84, off, s[0:3], 0 offset:8
	buffer_load_dword v85, off, s[0:3], 0 offset:12
	v_mov_b32_e32 v80, 0
	ds_read2_b64 v[80:83], v80 offset0:2 offset1:39
	s_waitcnt vmcnt(0) lgkmcnt(0)
	v_fma_f64 v[82:83], v[84:85], v[82:83], v[75:76]
	v_cndmask_b32_e64 v76, v76, v83, s[6:7]
	v_cndmask_b32_e64 v75, v75, v82, s[6:7]
	v_mul_f64 v[75:76], v[75:76], v[80:81]
	buffer_store_dword v76, off, s[0:3], 0 offset:20
	buffer_store_dword v75, off, s[0:3], 0 offset:16
.LBB100_370:
	s_or_b64 exec, exec, s[8:9]
	buffer_load_dword v75, off, s[0:3], 0 offset:24
	buffer_load_dword v76, off, s[0:3], 0 offset:28
	v_cmp_gt_u32_e32 vcc, 3, v0
	s_waitcnt vmcnt(0)
	ds_write_b64 v78, v[75:76]
	s_waitcnt lgkmcnt(0)
	; wave barrier
	s_and_saveexec_b64 s[8:9], vcc
	s_cbranch_execz .LBB100_378
; %bb.371:
	s_and_b64 vcc, exec, s[4:5]
	s_cbranch_vccnz .LBB100_373
; %bb.372:
	buffer_load_dword v75, v79, s[0:3], 0 offen
	buffer_load_dword v76, v79, s[0:3], 0 offen offset:4
	ds_read_b64 v[80:81], v78
	s_waitcnt vmcnt(0) lgkmcnt(0)
	v_mul_f64 v[75:76], v[75:76], v[80:81]
	s_cbranch_execz .LBB100_374
	s_branch .LBB100_375
.LBB100_373:
                                        ; implicit-def: $vgpr75_vgpr76
.LBB100_374:
	ds_read_b64 v[75:76], v78
.LBB100_375:
	v_cmp_ne_u32_e32 vcc, 2, v0
	s_and_saveexec_b64 s[10:11], vcc
	s_cbranch_execz .LBB100_377
; %bb.376:
	buffer_load_dword v80, v79, s[0:3], 0 offen offset:8
	buffer_load_dword v81, v79, s[0:3], 0 offen offset:12
	buffer_load_dword v82, off, s[0:3], 0 offset:16
	buffer_load_dword v83, off, s[0:3], 0 offset:20
	ds_read_b64 v[84:85], v78 offset:8
	v_mov_b32_e32 v86, 0
	ds_read_b64 v[86:87], v86 offset:320
	s_waitcnt vmcnt(2) lgkmcnt(1)
	v_fma_f64 v[75:76], v[80:81], v[84:85], v[75:76]
	s_waitcnt vmcnt(0) lgkmcnt(0)
	v_fma_f64 v[80:81], v[82:83], v[86:87], v[75:76]
	v_cndmask_b32_e64 v76, v76, v81, s[6:7]
	v_cndmask_b32_e64 v75, v75, v80, s[6:7]
.LBB100_377:
	s_or_b64 exec, exec, s[10:11]
	v_mov_b32_e32 v80, 0
	ds_read_b64 v[80:81], v80 offset:24
	s_waitcnt lgkmcnt(0)
	v_mul_f64 v[75:76], v[75:76], v[80:81]
	buffer_store_dword v76, off, s[0:3], 0 offset:28
	buffer_store_dword v75, off, s[0:3], 0 offset:24
.LBB100_378:
	s_or_b64 exec, exec, s[8:9]
	buffer_load_dword v75, off, s[0:3], 0 offset:32
	buffer_load_dword v76, off, s[0:3], 0 offset:36
	v_cmp_gt_u32_e32 vcc, 4, v0
	s_waitcnt vmcnt(0)
	ds_write_b64 v78, v[75:76]
	s_waitcnt lgkmcnt(0)
	; wave barrier
	s_and_saveexec_b64 s[6:7], vcc
	s_cbranch_execz .LBB100_388
; %bb.379:
	s_and_b64 vcc, exec, s[4:5]
	s_cbranch_vccnz .LBB100_381
; %bb.380:
	buffer_load_dword v75, v79, s[0:3], 0 offen
	buffer_load_dword v76, v79, s[0:3], 0 offen offset:4
	ds_read_b64 v[80:81], v78
	s_waitcnt vmcnt(0) lgkmcnt(0)
	v_mul_f64 v[75:76], v[75:76], v[80:81]
	s_cbranch_execz .LBB100_382
	s_branch .LBB100_383
.LBB100_381:
                                        ; implicit-def: $vgpr75_vgpr76
.LBB100_382:
	ds_read_b64 v[75:76], v78
.LBB100_383:
	v_cmp_ne_u32_e32 vcc, 3, v0
	s_and_saveexec_b64 s[8:9], vcc
	s_cbranch_execz .LBB100_387
; %bb.384:
	s_mov_b32 s10, 0
	v_add_u32_e32 v80, 0x138, v77
	v_add3_u32 v81, v77, s10, 8
	s_mov_b64 s[10:11], 0
	v_mov_b32_e32 v82, v0
.LBB100_385:                            ; =>This Inner Loop Header: Depth=1
	buffer_load_dword v83, v81, s[0:3], 0 offen
	buffer_load_dword v84, v81, s[0:3], 0 offen offset:4
	ds_read_b64 v[85:86], v80
	v_add_u32_e32 v82, 1, v82
	v_cmp_lt_u32_e32 vcc, 2, v82
	v_add_u32_e32 v80, 8, v80
	s_or_b64 s[10:11], vcc, s[10:11]
	v_add_u32_e32 v81, 8, v81
	s_waitcnt vmcnt(0) lgkmcnt(0)
	v_fma_f64 v[75:76], v[83:84], v[85:86], v[75:76]
	s_andn2_b64 exec, exec, s[10:11]
	s_cbranch_execnz .LBB100_385
; %bb.386:
	s_or_b64 exec, exec, s[10:11]
.LBB100_387:
	s_or_b64 exec, exec, s[8:9]
	v_mov_b32_e32 v80, 0
	ds_read_b64 v[80:81], v80 offset:32
	s_waitcnt lgkmcnt(0)
	v_mul_f64 v[75:76], v[75:76], v[80:81]
	buffer_store_dword v76, off, s[0:3], 0 offset:36
	buffer_store_dword v75, off, s[0:3], 0 offset:32
.LBB100_388:
	s_or_b64 exec, exec, s[6:7]
	buffer_load_dword v75, off, s[0:3], 0 offset:40
	buffer_load_dword v76, off, s[0:3], 0 offset:44
	v_cmp_gt_u32_e32 vcc, 5, v0
	s_waitcnt vmcnt(0)
	ds_write_b64 v78, v[75:76]
	s_waitcnt lgkmcnt(0)
	; wave barrier
	s_and_saveexec_b64 s[6:7], vcc
	s_cbranch_execz .LBB100_398
; %bb.389:
	s_and_b64 vcc, exec, s[4:5]
	s_cbranch_vccnz .LBB100_391
; %bb.390:
	buffer_load_dword v75, v79, s[0:3], 0 offen
	buffer_load_dword v76, v79, s[0:3], 0 offen offset:4
	ds_read_b64 v[80:81], v78
	s_waitcnt vmcnt(0) lgkmcnt(0)
	v_mul_f64 v[75:76], v[75:76], v[80:81]
	s_cbranch_execz .LBB100_392
	s_branch .LBB100_393
.LBB100_391:
                                        ; implicit-def: $vgpr75_vgpr76
.LBB100_392:
	ds_read_b64 v[75:76], v78
.LBB100_393:
	v_cmp_ne_u32_e32 vcc, 4, v0
	s_and_saveexec_b64 s[8:9], vcc
	s_cbranch_execz .LBB100_397
; %bb.394:
	s_mov_b32 s10, 0
	v_add_u32_e32 v80, 0x138, v77
	v_add3_u32 v81, v77, s10, 8
	s_mov_b64 s[10:11], 0
	v_mov_b32_e32 v82, v0
.LBB100_395:                            ; =>This Inner Loop Header: Depth=1
	buffer_load_dword v83, v81, s[0:3], 0 offen
	buffer_load_dword v84, v81, s[0:3], 0 offen offset:4
	ds_read_b64 v[85:86], v80
	v_add_u32_e32 v82, 1, v82
	v_cmp_lt_u32_e32 vcc, 3, v82
	v_add_u32_e32 v80, 8, v80
	s_or_b64 s[10:11], vcc, s[10:11]
	v_add_u32_e32 v81, 8, v81
	s_waitcnt vmcnt(0) lgkmcnt(0)
	v_fma_f64 v[75:76], v[83:84], v[85:86], v[75:76]
	s_andn2_b64 exec, exec, s[10:11]
	s_cbranch_execnz .LBB100_395
; %bb.396:
	s_or_b64 exec, exec, s[10:11]
.LBB100_397:
	s_or_b64 exec, exec, s[8:9]
	v_mov_b32_e32 v80, 0
	ds_read_b64 v[80:81], v80 offset:40
	s_waitcnt lgkmcnt(0)
	v_mul_f64 v[75:76], v[75:76], v[80:81]
	buffer_store_dword v76, off, s[0:3], 0 offset:44
	buffer_store_dword v75, off, s[0:3], 0 offset:40
.LBB100_398:
	;; [unrolled: 59-line block ×31, first 2 shown]
	s_or_b64 exec, exec, s[6:7]
	buffer_load_dword v75, off, s[0:3], 0 offset:280
	buffer_load_dword v76, off, s[0:3], 0 offset:284
	v_cmp_gt_u32_e64 s[6:7], 35, v0
	s_waitcnt vmcnt(0)
	ds_write_b64 v78, v[75:76]
	s_waitcnt lgkmcnt(0)
	; wave barrier
	s_and_saveexec_b64 s[8:9], s[6:7]
	s_cbranch_execz .LBB100_698
; %bb.689:
	s_and_b64 vcc, exec, s[4:5]
	s_cbranch_vccnz .LBB100_691
; %bb.690:
	buffer_load_dword v75, v79, s[0:3], 0 offen
	buffer_load_dword v76, v79, s[0:3], 0 offen offset:4
	ds_read_b64 v[80:81], v78
	s_waitcnt vmcnt(0) lgkmcnt(0)
	v_mul_f64 v[75:76], v[75:76], v[80:81]
	s_cbranch_execz .LBB100_692
	s_branch .LBB100_693
.LBB100_691:
                                        ; implicit-def: $vgpr75_vgpr76
.LBB100_692:
	ds_read_b64 v[75:76], v78
.LBB100_693:
	v_cmp_ne_u32_e32 vcc, 34, v0
	s_and_saveexec_b64 s[10:11], vcc
	s_cbranch_execz .LBB100_697
; %bb.694:
	s_mov_b32 s12, 0
	v_add_u32_e32 v80, 0x138, v77
	v_add3_u32 v81, v77, s12, 8
	s_mov_b64 s[12:13], 0
	v_mov_b32_e32 v82, v0
.LBB100_695:                            ; =>This Inner Loop Header: Depth=1
	buffer_load_dword v83, v81, s[0:3], 0 offen
	buffer_load_dword v84, v81, s[0:3], 0 offen offset:4
	ds_read_b64 v[85:86], v80
	v_add_u32_e32 v82, 1, v82
	v_cmp_lt_u32_e32 vcc, 33, v82
	v_add_u32_e32 v80, 8, v80
	s_or_b64 s[12:13], vcc, s[12:13]
	v_add_u32_e32 v81, 8, v81
	s_waitcnt vmcnt(0) lgkmcnt(0)
	v_fma_f64 v[75:76], v[83:84], v[85:86], v[75:76]
	s_andn2_b64 exec, exec, s[12:13]
	s_cbranch_execnz .LBB100_695
; %bb.696:
	s_or_b64 exec, exec, s[12:13]
.LBB100_697:
	s_or_b64 exec, exec, s[10:11]
	v_mov_b32_e32 v80, 0
	ds_read_b64 v[80:81], v80 offset:280
	s_waitcnt lgkmcnt(0)
	v_mul_f64 v[75:76], v[75:76], v[80:81]
	buffer_store_dword v76, off, s[0:3], 0 offset:284
	buffer_store_dword v75, off, s[0:3], 0 offset:280
.LBB100_698:
	s_or_b64 exec, exec, s[8:9]
	buffer_load_dword v75, off, s[0:3], 0 offset:288
	buffer_load_dword v76, off, s[0:3], 0 offset:292
	v_cmp_ne_u32_e32 vcc, 36, v0
	s_waitcnt vmcnt(0)
	ds_write_b64 v78, v[75:76]
	s_waitcnt lgkmcnt(0)
	; wave barrier
	s_and_saveexec_b64 s[8:9], vcc
	s_cbranch_execz .LBB100_708
; %bb.699:
	s_and_b64 vcc, exec, s[4:5]
	s_cbranch_vccnz .LBB100_701
; %bb.700:
	buffer_load_dword v75, v79, s[0:3], 0 offen
	buffer_load_dword v76, v79, s[0:3], 0 offen offset:4
	ds_read_b64 v[79:80], v78
	s_waitcnt vmcnt(0) lgkmcnt(0)
	v_mul_f64 v[75:76], v[75:76], v[79:80]
	s_cbranch_execz .LBB100_702
	s_branch .LBB100_703
.LBB100_701:
                                        ; implicit-def: $vgpr75_vgpr76
.LBB100_702:
	ds_read_b64 v[75:76], v78
.LBB100_703:
	s_and_saveexec_b64 s[4:5], s[6:7]
	s_cbranch_execz .LBB100_707
; %bb.704:
	s_mov_b32 s6, 0
	v_add_u32_e32 v78, 0x138, v77
	v_add3_u32 v77, v77, s6, 8
	s_mov_b64 s[6:7], 0
.LBB100_705:                            ; =>This Inner Loop Header: Depth=1
	buffer_load_dword v79, v77, s[0:3], 0 offen
	buffer_load_dword v80, v77, s[0:3], 0 offen offset:4
	ds_read_b64 v[81:82], v78
	v_add_u32_e32 v0, 1, v0
	v_cmp_lt_u32_e32 vcc, 34, v0
	v_add_u32_e32 v78, 8, v78
	s_or_b64 s[6:7], vcc, s[6:7]
	v_add_u32_e32 v77, 8, v77
	s_waitcnt vmcnt(0) lgkmcnt(0)
	v_fma_f64 v[75:76], v[79:80], v[81:82], v[75:76]
	s_andn2_b64 exec, exec, s[6:7]
	s_cbranch_execnz .LBB100_705
; %bb.706:
	s_or_b64 exec, exec, s[6:7]
.LBB100_707:
	s_or_b64 exec, exec, s[4:5]
	v_mov_b32_e32 v0, 0
	ds_read_b64 v[77:78], v0 offset:288
	s_waitcnt lgkmcnt(0)
	v_mul_f64 v[75:76], v[75:76], v[77:78]
	buffer_store_dword v76, off, s[0:3], 0 offset:292
	buffer_store_dword v75, off, s[0:3], 0 offset:288
.LBB100_708:
	s_or_b64 exec, exec, s[8:9]
.LBB100_709:
	buffer_load_dword v75, off, s[0:3], 0
	buffer_load_dword v76, off, s[0:3], 0 offset:4
	s_waitcnt vmcnt(0)
	flat_store_dwordx2 v[1:2], v[75:76]
	buffer_load_dword v0, off, s[0:3], 0 offset:8
	s_nop 0
	buffer_load_dword v1, off, s[0:3], 0 offset:12
	s_waitcnt vmcnt(0)
	flat_store_dwordx2 v[3:4], v[0:1]
	buffer_load_dword v0, off, s[0:3], 0 offset:16
	s_nop 0
	buffer_load_dword v1, off, s[0:3], 0 offset:20
	s_waitcnt vmcnt(0)
	flat_store_dwordx2 v[5:6], v[0:1]
	buffer_load_dword v0, off, s[0:3], 0 offset:24
	s_nop 0
	buffer_load_dword v1, off, s[0:3], 0 offset:28
	s_waitcnt vmcnt(0)
	flat_store_dwordx2 v[7:8], v[0:1]
	buffer_load_dword v0, off, s[0:3], 0 offset:32
	s_nop 0
	buffer_load_dword v1, off, s[0:3], 0 offset:36
	s_waitcnt vmcnt(0)
	flat_store_dwordx2 v[9:10], v[0:1]
	buffer_load_dword v0, off, s[0:3], 0 offset:40
	s_nop 0
	buffer_load_dword v1, off, s[0:3], 0 offset:44
	s_waitcnt vmcnt(0)
	flat_store_dwordx2 v[11:12], v[0:1]
	buffer_load_dword v0, off, s[0:3], 0 offset:48
	s_nop 0
	buffer_load_dword v1, off, s[0:3], 0 offset:52
	s_waitcnt vmcnt(0)
	flat_store_dwordx2 v[13:14], v[0:1]
	buffer_load_dword v0, off, s[0:3], 0 offset:56
	s_nop 0
	buffer_load_dword v1, off, s[0:3], 0 offset:60
	s_waitcnt vmcnt(0)
	flat_store_dwordx2 v[15:16], v[0:1]
	buffer_load_dword v0, off, s[0:3], 0 offset:64
	s_nop 0
	buffer_load_dword v1, off, s[0:3], 0 offset:68
	s_waitcnt vmcnt(0)
	flat_store_dwordx2 v[17:18], v[0:1]
	buffer_load_dword v0, off, s[0:3], 0 offset:72
	s_nop 0
	buffer_load_dword v1, off, s[0:3], 0 offset:76
	s_waitcnt vmcnt(0)
	flat_store_dwordx2 v[19:20], v[0:1]
	buffer_load_dword v0, off, s[0:3], 0 offset:80
	s_nop 0
	buffer_load_dword v1, off, s[0:3], 0 offset:84
	s_waitcnt vmcnt(0)
	flat_store_dwordx2 v[21:22], v[0:1]
	buffer_load_dword v0, off, s[0:3], 0 offset:88
	s_nop 0
	buffer_load_dword v1, off, s[0:3], 0 offset:92
	s_waitcnt vmcnt(0)
	flat_store_dwordx2 v[23:24], v[0:1]
	buffer_load_dword v0, off, s[0:3], 0 offset:96
	s_nop 0
	buffer_load_dword v1, off, s[0:3], 0 offset:100
	s_waitcnt vmcnt(0)
	flat_store_dwordx2 v[25:26], v[0:1]
	buffer_load_dword v0, off, s[0:3], 0 offset:104
	s_nop 0
	buffer_load_dword v1, off, s[0:3], 0 offset:108
	s_waitcnt vmcnt(0)
	flat_store_dwordx2 v[27:28], v[0:1]
	buffer_load_dword v0, off, s[0:3], 0 offset:112
	s_nop 0
	buffer_load_dword v1, off, s[0:3], 0 offset:116
	s_waitcnt vmcnt(0)
	flat_store_dwordx2 v[29:30], v[0:1]
	buffer_load_dword v0, off, s[0:3], 0 offset:120
	s_nop 0
	buffer_load_dword v1, off, s[0:3], 0 offset:124
	s_waitcnt vmcnt(0)
	flat_store_dwordx2 v[31:32], v[0:1]
	buffer_load_dword v0, off, s[0:3], 0 offset:128
	s_nop 0
	buffer_load_dword v1, off, s[0:3], 0 offset:132
	s_waitcnt vmcnt(0)
	flat_store_dwordx2 v[33:34], v[0:1]
	buffer_load_dword v0, off, s[0:3], 0 offset:136
	s_nop 0
	buffer_load_dword v1, off, s[0:3], 0 offset:140
	s_waitcnt vmcnt(0)
	flat_store_dwordx2 v[35:36], v[0:1]
	buffer_load_dword v0, off, s[0:3], 0 offset:144
	s_nop 0
	buffer_load_dword v1, off, s[0:3], 0 offset:148
	s_waitcnt vmcnt(0)
	flat_store_dwordx2 v[37:38], v[0:1]
	buffer_load_dword v0, off, s[0:3], 0 offset:152
	s_nop 0
	buffer_load_dword v1, off, s[0:3], 0 offset:156
	s_waitcnt vmcnt(0)
	flat_store_dwordx2 v[39:40], v[0:1]
	buffer_load_dword v0, off, s[0:3], 0 offset:160
	s_nop 0
	buffer_load_dword v1, off, s[0:3], 0 offset:164
	s_waitcnt vmcnt(0)
	flat_store_dwordx2 v[41:42], v[0:1]
	buffer_load_dword v0, off, s[0:3], 0 offset:168
	s_nop 0
	buffer_load_dword v1, off, s[0:3], 0 offset:172
	s_waitcnt vmcnt(0)
	flat_store_dwordx2 v[43:44], v[0:1]
	buffer_load_dword v0, off, s[0:3], 0 offset:176
	s_nop 0
	buffer_load_dword v1, off, s[0:3], 0 offset:180
	s_waitcnt vmcnt(0)
	flat_store_dwordx2 v[45:46], v[0:1]
	buffer_load_dword v0, off, s[0:3], 0 offset:184
	s_nop 0
	buffer_load_dword v1, off, s[0:3], 0 offset:188
	s_waitcnt vmcnt(0)
	flat_store_dwordx2 v[47:48], v[0:1]
	buffer_load_dword v0, off, s[0:3], 0 offset:192
	s_nop 0
	buffer_load_dword v1, off, s[0:3], 0 offset:196
	s_waitcnt vmcnt(0)
	flat_store_dwordx2 v[49:50], v[0:1]
	buffer_load_dword v0, off, s[0:3], 0 offset:200
	s_nop 0
	buffer_load_dword v1, off, s[0:3], 0 offset:204
	s_waitcnt vmcnt(0)
	flat_store_dwordx2 v[51:52], v[0:1]
	buffer_load_dword v0, off, s[0:3], 0 offset:208
	s_nop 0
	buffer_load_dword v1, off, s[0:3], 0 offset:212
	s_waitcnt vmcnt(0)
	flat_store_dwordx2 v[53:54], v[0:1]
	buffer_load_dword v0, off, s[0:3], 0 offset:216
	s_nop 0
	buffer_load_dword v1, off, s[0:3], 0 offset:220
	s_waitcnt vmcnt(0)
	flat_store_dwordx2 v[55:56], v[0:1]
	buffer_load_dword v0, off, s[0:3], 0 offset:224
	s_nop 0
	buffer_load_dword v1, off, s[0:3], 0 offset:228
	s_waitcnt vmcnt(0)
	flat_store_dwordx2 v[57:58], v[0:1]
	buffer_load_dword v0, off, s[0:3], 0 offset:232
	s_nop 0
	buffer_load_dword v1, off, s[0:3], 0 offset:236
	s_waitcnt vmcnt(0)
	flat_store_dwordx2 v[59:60], v[0:1]
	buffer_load_dword v0, off, s[0:3], 0 offset:240
	s_nop 0
	buffer_load_dword v1, off, s[0:3], 0 offset:244
	s_waitcnt vmcnt(0)
	flat_store_dwordx2 v[61:62], v[0:1]
	buffer_load_dword v0, off, s[0:3], 0 offset:248
	s_nop 0
	buffer_load_dword v1, off, s[0:3], 0 offset:252
	s_waitcnt vmcnt(0)
	flat_store_dwordx2 v[63:64], v[0:1]
	buffer_load_dword v0, off, s[0:3], 0 offset:256
	s_nop 0
	buffer_load_dword v1, off, s[0:3], 0 offset:260
	s_waitcnt vmcnt(0)
	flat_store_dwordx2 v[65:66], v[0:1]
	buffer_load_dword v0, off, s[0:3], 0 offset:264
	s_nop 0
	buffer_load_dword v1, off, s[0:3], 0 offset:268
	s_waitcnt vmcnt(0)
	flat_store_dwordx2 v[67:68], v[0:1]
	buffer_load_dword v0, off, s[0:3], 0 offset:272
	s_nop 0
	buffer_load_dword v1, off, s[0:3], 0 offset:276
	s_waitcnt vmcnt(0)
	flat_store_dwordx2 v[69:70], v[0:1]
	buffer_load_dword v0, off, s[0:3], 0 offset:280
	s_nop 0
	buffer_load_dword v1, off, s[0:3], 0 offset:284
	s_waitcnt vmcnt(0)
	flat_store_dwordx2 v[71:72], v[0:1]
	buffer_load_dword v0, off, s[0:3], 0 offset:288
	s_nop 0
	buffer_load_dword v1, off, s[0:3], 0 offset:292
	s_waitcnt vmcnt(0)
	flat_store_dwordx2 v[73:74], v[0:1]
.LBB100_710:
	s_endpgm
	.section	.rodata,"a",@progbits
	.p2align	6, 0x0
	.amdhsa_kernel _ZN9rocsolver6v33100L18trti2_kernel_smallILi37EdPKPdEEv13rocblas_fill_17rocblas_diagonal_T1_iil
		.amdhsa_group_segment_fixed_size 600
		.amdhsa_private_segment_fixed_size 304
		.amdhsa_kernarg_size 32
		.amdhsa_user_sgpr_count 6
		.amdhsa_user_sgpr_private_segment_buffer 1
		.amdhsa_user_sgpr_dispatch_ptr 0
		.amdhsa_user_sgpr_queue_ptr 0
		.amdhsa_user_sgpr_kernarg_segment_ptr 1
		.amdhsa_user_sgpr_dispatch_id 0
		.amdhsa_user_sgpr_flat_scratch_init 0
		.amdhsa_user_sgpr_private_segment_size 0
		.amdhsa_uses_dynamic_stack 0
		.amdhsa_system_sgpr_private_segment_wavefront_offset 1
		.amdhsa_system_sgpr_workgroup_id_x 1
		.amdhsa_system_sgpr_workgroup_id_y 0
		.amdhsa_system_sgpr_workgroup_id_z 0
		.amdhsa_system_sgpr_workgroup_info 0
		.amdhsa_system_vgpr_workitem_id 0
		.amdhsa_next_free_vgpr 88
		.amdhsa_next_free_sgpr 50
		.amdhsa_reserve_vcc 1
		.amdhsa_reserve_flat_scratch 0
		.amdhsa_float_round_mode_32 0
		.amdhsa_float_round_mode_16_64 0
		.amdhsa_float_denorm_mode_32 3
		.amdhsa_float_denorm_mode_16_64 3
		.amdhsa_dx10_clamp 1
		.amdhsa_ieee_mode 1
		.amdhsa_fp16_overflow 0
		.amdhsa_exception_fp_ieee_invalid_op 0
		.amdhsa_exception_fp_denorm_src 0
		.amdhsa_exception_fp_ieee_div_zero 0
		.amdhsa_exception_fp_ieee_overflow 0
		.amdhsa_exception_fp_ieee_underflow 0
		.amdhsa_exception_fp_ieee_inexact 0
		.amdhsa_exception_int_div_zero 0
	.end_amdhsa_kernel
	.section	.text._ZN9rocsolver6v33100L18trti2_kernel_smallILi37EdPKPdEEv13rocblas_fill_17rocblas_diagonal_T1_iil,"axG",@progbits,_ZN9rocsolver6v33100L18trti2_kernel_smallILi37EdPKPdEEv13rocblas_fill_17rocblas_diagonal_T1_iil,comdat
.Lfunc_end100:
	.size	_ZN9rocsolver6v33100L18trti2_kernel_smallILi37EdPKPdEEv13rocblas_fill_17rocblas_diagonal_T1_iil, .Lfunc_end100-_ZN9rocsolver6v33100L18trti2_kernel_smallILi37EdPKPdEEv13rocblas_fill_17rocblas_diagonal_T1_iil
                                        ; -- End function
	.set _ZN9rocsolver6v33100L18trti2_kernel_smallILi37EdPKPdEEv13rocblas_fill_17rocblas_diagonal_T1_iil.num_vgpr, 88
	.set _ZN9rocsolver6v33100L18trti2_kernel_smallILi37EdPKPdEEv13rocblas_fill_17rocblas_diagonal_T1_iil.num_agpr, 0
	.set _ZN9rocsolver6v33100L18trti2_kernel_smallILi37EdPKPdEEv13rocblas_fill_17rocblas_diagonal_T1_iil.numbered_sgpr, 50
	.set _ZN9rocsolver6v33100L18trti2_kernel_smallILi37EdPKPdEEv13rocblas_fill_17rocblas_diagonal_T1_iil.num_named_barrier, 0
	.set _ZN9rocsolver6v33100L18trti2_kernel_smallILi37EdPKPdEEv13rocblas_fill_17rocblas_diagonal_T1_iil.private_seg_size, 304
	.set _ZN9rocsolver6v33100L18trti2_kernel_smallILi37EdPKPdEEv13rocblas_fill_17rocblas_diagonal_T1_iil.uses_vcc, 1
	.set _ZN9rocsolver6v33100L18trti2_kernel_smallILi37EdPKPdEEv13rocblas_fill_17rocblas_diagonal_T1_iil.uses_flat_scratch, 0
	.set _ZN9rocsolver6v33100L18trti2_kernel_smallILi37EdPKPdEEv13rocblas_fill_17rocblas_diagonal_T1_iil.has_dyn_sized_stack, 0
	.set _ZN9rocsolver6v33100L18trti2_kernel_smallILi37EdPKPdEEv13rocblas_fill_17rocblas_diagonal_T1_iil.has_recursion, 0
	.set _ZN9rocsolver6v33100L18trti2_kernel_smallILi37EdPKPdEEv13rocblas_fill_17rocblas_diagonal_T1_iil.has_indirect_call, 0
	.section	.AMDGPU.csdata,"",@progbits
; Kernel info:
; codeLenInByte = 21784
; TotalNumSgprs: 54
; NumVgprs: 88
; ScratchSize: 304
; MemoryBound: 0
; FloatMode: 240
; IeeeMode: 1
; LDSByteSize: 600 bytes/workgroup (compile time only)
; SGPRBlocks: 6
; VGPRBlocks: 21
; NumSGPRsForWavesPerEU: 54
; NumVGPRsForWavesPerEU: 88
; Occupancy: 2
; WaveLimiterHint : 1
; COMPUTE_PGM_RSRC2:SCRATCH_EN: 1
; COMPUTE_PGM_RSRC2:USER_SGPR: 6
; COMPUTE_PGM_RSRC2:TRAP_HANDLER: 0
; COMPUTE_PGM_RSRC2:TGID_X_EN: 1
; COMPUTE_PGM_RSRC2:TGID_Y_EN: 0
; COMPUTE_PGM_RSRC2:TGID_Z_EN: 0
; COMPUTE_PGM_RSRC2:TIDIG_COMP_CNT: 0
	.section	.text._ZN9rocsolver6v33100L18trti2_kernel_smallILi38EdPKPdEEv13rocblas_fill_17rocblas_diagonal_T1_iil,"axG",@progbits,_ZN9rocsolver6v33100L18trti2_kernel_smallILi38EdPKPdEEv13rocblas_fill_17rocblas_diagonal_T1_iil,comdat
	.globl	_ZN9rocsolver6v33100L18trti2_kernel_smallILi38EdPKPdEEv13rocblas_fill_17rocblas_diagonal_T1_iil ; -- Begin function _ZN9rocsolver6v33100L18trti2_kernel_smallILi38EdPKPdEEv13rocblas_fill_17rocblas_diagonal_T1_iil
	.p2align	8
	.type	_ZN9rocsolver6v33100L18trti2_kernel_smallILi38EdPKPdEEv13rocblas_fill_17rocblas_diagonal_T1_iil,@function
_ZN9rocsolver6v33100L18trti2_kernel_smallILi38EdPKPdEEv13rocblas_fill_17rocblas_diagonal_T1_iil: ; @_ZN9rocsolver6v33100L18trti2_kernel_smallILi38EdPKPdEEv13rocblas_fill_17rocblas_diagonal_T1_iil
; %bb.0:
	s_add_u32 s0, s0, s7
	s_addc_u32 s1, s1, 0
	v_cmp_gt_u32_e32 vcc, 38, v0
	s_and_saveexec_b64 s[8:9], vcc
	s_cbranch_execz .LBB101_730
; %bb.1:
	s_load_dwordx2 s[12:13], s[4:5], 0x10
	s_load_dwordx4 s[8:11], s[4:5], 0x0
	s_ashr_i32 s7, s6, 31
	s_lshl_b64 s[6:7], s[6:7], 3
	v_lshlrev_b32_e32 v79, 3, v0
	s_waitcnt lgkmcnt(0)
	s_ashr_i32 s5, s12, 31
	s_add_u32 s6, s10, s6
	s_addc_u32 s7, s11, s7
	s_load_dwordx2 s[6:7], s[6:7], 0x0
	s_mov_b32 s4, s12
	s_lshl_b64 s[4:5], s[4:5], 3
	s_waitcnt lgkmcnt(0)
	s_add_u32 s4, s6, s4
	s_addc_u32 s5, s7, s5
	v_mov_b32_e32 v2, s5
	v_add_co_u32_e32 v1, vcc, s4, v79
	v_addc_co_u32_e32 v2, vcc, 0, v2, vcc
	flat_load_dwordx2 v[5:6], v[1:2]
	s_mov_b32 s6, s13
	s_ashr_i32 s7, s13, 31
	s_lshl_b64 s[6:7], s[6:7], 3
	v_mov_b32_e32 v4, s7
	v_add_co_u32_e32 v3, vcc, s6, v1
	v_addc_co_u32_e32 v4, vcc, v2, v4, vcc
	s_add_i32 s6, s13, s13
	v_add_u32_e32 v9, s6, v0
	v_ashrrev_i32_e32 v10, 31, v9
	v_mov_b32_e32 v11, s5
	v_add_u32_e32 v12, s13, v9
	v_ashrrev_i32_e32 v13, 31, v12
	v_mov_b32_e32 v14, s5
	v_mov_b32_e32 v15, s5
	;; [unrolled: 1-line block ×34, first 2 shown]
	s_cmpk_lg_i32 s9, 0x84
	s_cselect_b64 s[10:11], -1, 0
	s_cmpk_eq_i32 s9, 0x84
	s_waitcnt vmcnt(0) lgkmcnt(0)
	buffer_store_dword v6, off, s[0:3], 0 offset:4
	buffer_store_dword v5, off, s[0:3], 0
	flat_load_dwordx2 v[7:8], v[3:4]
	v_lshlrev_b64 v[5:6], 3, v[9:10]
	s_waitcnt vmcnt(0) lgkmcnt(0)
	buffer_store_dword v8, off, s[0:3], 0 offset:12
	buffer_store_dword v7, off, s[0:3], 0 offset:8
	v_add_co_u32_e32 v5, vcc, s4, v5
	v_addc_co_u32_e32 v6, vcc, v11, v6, vcc
	flat_load_dwordx2 v[10:11], v[5:6]
	v_lshlrev_b64 v[7:8], 3, v[12:13]
	s_waitcnt vmcnt(0) lgkmcnt(0)
	buffer_store_dword v11, off, s[0:3], 0 offset:20
	buffer_store_dword v10, off, s[0:3], 0 offset:16
	v_add_co_u32_e32 v7, vcc, s4, v7
	v_addc_co_u32_e32 v8, vcc, v14, v8, vcc
	flat_load_dwordx2 v[13:14], v[7:8]
	v_add_u32_e32 v11, s13, v12
	v_ashrrev_i32_e32 v12, 31, v11
	v_lshlrev_b64 v[9:10], 3, v[11:12]
	s_waitcnt vmcnt(0) lgkmcnt(0)
	buffer_store_dword v14, off, s[0:3], 0 offset:28
	buffer_store_dword v13, off, s[0:3], 0 offset:24
	v_add_co_u32_e32 v9, vcc, s4, v9
	v_addc_co_u32_e32 v10, vcc, v15, v10, vcc
	flat_load_dwordx2 v[13:14], v[9:10]
	v_add_u32_e32 v15, s13, v11
	v_ashrrev_i32_e32 v16, 31, v15
	v_lshlrev_b64 v[11:12], 3, v[15:16]
	v_add_u32_e32 v18, s13, v15
	v_add_co_u32_e32 v11, vcc, s4, v11
	v_addc_co_u32_e32 v12, vcc, v17, v12, vcc
	v_ashrrev_i32_e32 v19, 31, v18
	s_waitcnt vmcnt(0) lgkmcnt(0)
	buffer_store_dword v14, off, s[0:3], 0 offset:36
	buffer_store_dword v13, off, s[0:3], 0 offset:32
	flat_load_dwordx2 v[16:17], v[11:12]
	v_lshlrev_b64 v[13:14], 3, v[18:19]
	s_waitcnt vmcnt(0) lgkmcnt(0)
	buffer_store_dword v17, off, s[0:3], 0 offset:44
	buffer_store_dword v16, off, s[0:3], 0 offset:40
	v_add_co_u32_e32 v13, vcc, s4, v13
	v_addc_co_u32_e32 v14, vcc, v20, v14, vcc
	flat_load_dwordx2 v[19:20], v[13:14]
	v_add_u32_e32 v17, s13, v18
	v_ashrrev_i32_e32 v18, 31, v17
	v_lshlrev_b64 v[15:16], 3, v[17:18]
	s_waitcnt vmcnt(0) lgkmcnt(0)
	buffer_store_dword v20, off, s[0:3], 0 offset:52
	buffer_store_dword v19, off, s[0:3], 0 offset:48
	v_add_co_u32_e32 v15, vcc, s4, v15
	v_addc_co_u32_e32 v16, vcc, v21, v16, vcc
	flat_load_dwordx2 v[19:20], v[15:16]
	v_add_u32_e32 v21, s13, v17
	v_ashrrev_i32_e32 v22, 31, v21
	v_lshlrev_b64 v[17:18], 3, v[21:22]
	v_add_u32_e32 v24, s13, v21
	v_add_co_u32_e32 v17, vcc, s4, v17
	v_addc_co_u32_e32 v18, vcc, v23, v18, vcc
	v_ashrrev_i32_e32 v25, 31, v24
	s_waitcnt vmcnt(0) lgkmcnt(0)
	buffer_store_dword v20, off, s[0:3], 0 offset:60
	buffer_store_dword v19, off, s[0:3], 0 offset:56
	;; [unrolled: 27-line block ×7, first 2 shown]
	flat_load_dwordx2 v[52:53], v[47:48]
	v_lshlrev_b64 v[49:50], 3, v[54:55]
	s_waitcnt vmcnt(0) lgkmcnt(0)
	buffer_store_dword v53, off, s[0:3], 0 offset:188
	buffer_store_dword v52, off, s[0:3], 0 offset:184
	v_add_co_u32_e32 v49, vcc, s4, v49
	v_addc_co_u32_e32 v50, vcc, v56, v50, vcc
	flat_load_dwordx2 v[55:56], v[49:50]
	v_add_u32_e32 v53, s13, v54
	v_ashrrev_i32_e32 v54, 31, v53
	v_lshlrev_b64 v[51:52], 3, v[53:54]
	s_waitcnt vmcnt(0) lgkmcnt(0)
	buffer_store_dword v56, off, s[0:3], 0 offset:196
	buffer_store_dword v55, off, s[0:3], 0 offset:192
	v_add_co_u32_e32 v51, vcc, s4, v51
	v_addc_co_u32_e32 v52, vcc, v57, v52, vcc
	flat_load_dwordx2 v[55:56], v[51:52]
	v_add_u32_e32 v57, s13, v53
	v_ashrrev_i32_e32 v58, 31, v57
	v_lshlrev_b64 v[53:54], 3, v[57:58]
	v_add_u32_e32 v60, s13, v57
	v_add_co_u32_e32 v53, vcc, s4, v53
	v_addc_co_u32_e32 v54, vcc, v59, v54, vcc
	s_waitcnt vmcnt(0) lgkmcnt(0)
	buffer_store_dword v56, off, s[0:3], 0 offset:204
	buffer_store_dword v55, off, s[0:3], 0 offset:200
	flat_load_dwordx2 v[58:59], v[53:54]
	v_ashrrev_i32_e32 v61, 31, v60
	v_lshlrev_b64 v[55:56], 3, v[60:61]
	s_waitcnt vmcnt(0) lgkmcnt(0)
	buffer_store_dword v59, off, s[0:3], 0 offset:212
	buffer_store_dword v58, off, s[0:3], 0 offset:208
	v_add_co_u32_e32 v55, vcc, s4, v55
	v_addc_co_u32_e32 v56, vcc, v62, v56, vcc
	flat_load_dwordx2 v[61:62], v[55:56]
	v_add_u32_e32 v59, s13, v60
	v_ashrrev_i32_e32 v60, 31, v59
	v_lshlrev_b64 v[57:58], 3, v[59:60]
	s_waitcnt vmcnt(0) lgkmcnt(0)
	buffer_store_dword v62, off, s[0:3], 0 offset:220
	buffer_store_dword v61, off, s[0:3], 0 offset:216
	v_add_co_u32_e32 v57, vcc, s4, v57
	v_addc_co_u32_e32 v58, vcc, v63, v58, vcc
	flat_load_dwordx2 v[61:62], v[57:58]
	v_add_u32_e32 v63, s13, v59
	;; [unrolled: 9-line block ×10, first 2 shown]
	v_ashrrev_i32_e32 v76, 31, v75
	v_lshlrev_b64 v[75:76], 3, v[75:76]
	v_mov_b32_e32 v81, s5
	v_add_co_u32_e32 v75, vcc, s4, v75
	v_addc_co_u32_e32 v76, vcc, v81, v76, vcc
	s_waitcnt vmcnt(0) lgkmcnt(0)
	buffer_store_dword v78, off, s[0:3], 0 offset:292
	buffer_store_dword v77, off, s[0:3], 0 offset:288
	flat_load_dwordx2 v[80:81], v[75:76]
	v_mov_b32_e32 v77, 0
	v_mov_b32_e32 v78, 0xbff00000
	s_waitcnt vmcnt(0) lgkmcnt(0)
	buffer_store_dword v81, off, s[0:3], 0 offset:300
	buffer_store_dword v80, off, s[0:3], 0 offset:296
	s_cbranch_scc1 .LBB101_3
; %bb.2:
	v_mov_b32_e32 v77, 0
	v_lshl_add_u32 v88, v0, 3, v77
	buffer_load_dword v77, v88, s[0:3], 0 offen
	buffer_load_dword v78, v88, s[0:3], 0 offen offset:4
	s_waitcnt vmcnt(0)
	v_div_scale_f64 v[80:81], s[4:5], v[77:78], v[77:78], 1.0
	v_rcp_f64_e32 v[82:83], v[80:81]
	v_fma_f64 v[84:85], -v[80:81], v[82:83], 1.0
	v_fma_f64 v[82:83], v[82:83], v[84:85], v[82:83]
	v_div_scale_f64 v[84:85], vcc, 1.0, v[77:78], 1.0
	v_fma_f64 v[86:87], -v[80:81], v[82:83], 1.0
	v_fma_f64 v[82:83], v[82:83], v[86:87], v[82:83]
	v_mul_f64 v[86:87], v[84:85], v[82:83]
	v_fma_f64 v[80:81], -v[80:81], v[86:87], v[84:85]
	v_div_fmas_f64 v[80:81], v[80:81], v[82:83], v[86:87]
	v_div_fixup_f64 v[77:78], v[80:81], v[77:78], 1.0
	buffer_store_dword v77, v88, s[0:3], 0 offen
	buffer_store_dword v78, v88, s[0:3], 0 offen offset:4
	v_xor_b32_e32 v78, 0x80000000, v78
.LBB101_3:
	s_cmpk_eq_i32 s8, 0x79
	v_add_u32_e32 v80, 0x130, v79
	v_mov_b32_e32 v81, v79
	s_mov_b64 s[4:5], -1
	ds_write_b64 v79, v[77:78]
	s_cbranch_scc1 .LBB101_367
; %bb.4:
	buffer_load_dword v77, off, s[0:3], 0 offset:288
	buffer_load_dword v78, off, s[0:3], 0 offset:292
	s_movk_i32 s12, 0x48
	s_movk_i32 s13, 0x50
	;; [unrolled: 1-line block ×27, first 2 shown]
	v_cmp_eq_u32_e64 s[4:5], 37, v0
	s_waitcnt vmcnt(0)
	ds_write_b64 v80, v[77:78]
	s_waitcnt lgkmcnt(0)
	; wave barrier
	s_and_saveexec_b64 s[6:7], s[4:5]
	s_cbranch_execz .LBB101_10
; %bb.5:
	s_and_b64 vcc, exec, s[10:11]
	s_cbranch_vccz .LBB101_7
; %bb.6:
	buffer_load_dword v77, v81, s[0:3], 0 offen
	buffer_load_dword v78, v81, s[0:3], 0 offen offset:4
	ds_read_b64 v[82:83], v80
	s_waitcnt vmcnt(0) lgkmcnt(0)
	v_mul_f64 v[77:78], v[77:78], v[82:83]
	s_cbranch_execz .LBB101_8
	s_branch .LBB101_9
.LBB101_7:
                                        ; implicit-def: $vgpr77_vgpr78
.LBB101_8:
	ds_read_b64 v[77:78], v80
.LBB101_9:
	v_mov_b32_e32 v82, 0
	ds_read_b64 v[82:83], v82 offset:288
	s_waitcnt lgkmcnt(0)
	v_mul_f64 v[77:78], v[77:78], v[82:83]
	buffer_store_dword v78, off, s[0:3], 0 offset:292
	buffer_store_dword v77, off, s[0:3], 0 offset:288
.LBB101_10:
	s_or_b64 exec, exec, s[6:7]
	buffer_load_dword v77, off, s[0:3], 0 offset:280
	buffer_load_dword v78, off, s[0:3], 0 offset:284
	s_or_b32 s14, 0, 8
	s_mov_b32 s15, 16
	s_mov_b32 s16, 24
	;; [unrolled: 1-line block ×9, first 2 shown]
	v_cmp_lt_u32_e64 s[6:7], 35, v0
	s_waitcnt vmcnt(0)
	ds_write_b64 v80, v[77:78]
	s_waitcnt lgkmcnt(0)
	; wave barrier
	s_and_saveexec_b64 s[8:9], s[6:7]
	s_cbranch_execz .LBB101_16
; %bb.11:
	s_andn2_b64 vcc, exec, s[10:11]
	s_cbranch_vccnz .LBB101_13
; %bb.12:
	buffer_load_dword v77, v81, s[0:3], 0 offen
	buffer_load_dword v78, v81, s[0:3], 0 offen offset:4
	ds_read_b64 v[82:83], v80
	s_waitcnt vmcnt(0) lgkmcnt(0)
	v_mul_f64 v[77:78], v[77:78], v[82:83]
	s_cbranch_execz .LBB101_14
	s_branch .LBB101_15
.LBB101_13:
                                        ; implicit-def: $vgpr77_vgpr78
.LBB101_14:
	ds_read_b64 v[77:78], v80
.LBB101_15:
	buffer_load_dword v86, off, s[0:3], 0 offset:288
	buffer_load_dword v87, off, s[0:3], 0 offset:292
	v_mov_b32_e32 v82, 0
	ds_read2_b64 v[82:85], v82 offset0:35 offset1:74
	s_waitcnt vmcnt(0) lgkmcnt(0)
	v_fma_f64 v[84:85], v[86:87], v[84:85], v[77:78]
	v_cndmask_b32_e64 v78, v78, v85, s[4:5]
	v_cndmask_b32_e64 v77, v77, v84, s[4:5]
	v_mul_f64 v[77:78], v[77:78], v[82:83]
	buffer_store_dword v78, off, s[0:3], 0 offset:284
	buffer_store_dword v77, off, s[0:3], 0 offset:280
.LBB101_16:
	s_or_b64 exec, exec, s[8:9]
	buffer_load_dword v77, off, s[0:3], 0 offset:272
	buffer_load_dword v78, off, s[0:3], 0 offset:276
	v_cmp_lt_u32_e64 s[4:5], 34, v0
	s_waitcnt vmcnt(0)
	ds_write_b64 v80, v[77:78]
	s_waitcnt lgkmcnt(0)
	; wave barrier
	s_and_saveexec_b64 s[8:9], s[4:5]
	s_cbranch_execz .LBB101_26
; %bb.17:
	s_andn2_b64 vcc, exec, s[10:11]
	s_cbranch_vccnz .LBB101_19
; %bb.18:
	buffer_load_dword v77, v81, s[0:3], 0 offen
	buffer_load_dword v78, v81, s[0:3], 0 offen offset:4
	ds_read_b64 v[82:83], v80
	s_waitcnt vmcnt(0) lgkmcnt(0)
	v_mul_f64 v[77:78], v[77:78], v[82:83]
	s_cbranch_execz .LBB101_20
	s_branch .LBB101_21
.LBB101_19:
                                        ; implicit-def: $vgpr77_vgpr78
.LBB101_20:
	ds_read_b64 v[77:78], v80
.LBB101_21:
	s_and_saveexec_b64 s[12:13], s[6:7]
	s_cbranch_execz .LBB101_25
; %bb.22:
	v_subrev_u32_e32 v82, 35, v0
	s_movk_i32 s50, 0x248
	s_mov_b64 s[6:7], 0
.LBB101_23:                             ; =>This Inner Loop Header: Depth=1
	v_mov_b32_e32 v85, s49
	buffer_load_dword v83, v85, s[0:3], 0 offen
	buffer_load_dword v84, v85, s[0:3], 0 offen offset:4
	v_mov_b32_e32 v85, s50
	ds_read_b64 v[85:86], v85
	v_add_u32_e32 v82, -1, v82
	s_add_i32 s50, s50, 8
	s_add_i32 s49, s49, 8
	v_cmp_eq_u32_e32 vcc, 0, v82
	s_or_b64 s[6:7], vcc, s[6:7]
	s_waitcnt vmcnt(0) lgkmcnt(0)
	v_fma_f64 v[77:78], v[83:84], v[85:86], v[77:78]
	s_andn2_b64 exec, exec, s[6:7]
	s_cbranch_execnz .LBB101_23
; %bb.24:
	s_or_b64 exec, exec, s[6:7]
.LBB101_25:
	s_or_b64 exec, exec, s[12:13]
	v_mov_b32_e32 v82, 0
	ds_read_b64 v[82:83], v82 offset:272
	s_waitcnt lgkmcnt(0)
	v_mul_f64 v[77:78], v[77:78], v[82:83]
	buffer_store_dword v78, off, s[0:3], 0 offset:276
	buffer_store_dword v77, off, s[0:3], 0 offset:272
.LBB101_26:
	s_or_b64 exec, exec, s[8:9]
	buffer_load_dword v77, off, s[0:3], 0 offset:264
	buffer_load_dword v78, off, s[0:3], 0 offset:268
	v_cmp_lt_u32_e64 s[6:7], 33, v0
	s_waitcnt vmcnt(0)
	ds_write_b64 v80, v[77:78]
	s_waitcnt lgkmcnt(0)
	; wave barrier
	s_and_saveexec_b64 s[8:9], s[6:7]
	s_cbranch_execz .LBB101_36
; %bb.27:
	s_andn2_b64 vcc, exec, s[10:11]
	s_cbranch_vccnz .LBB101_29
; %bb.28:
	buffer_load_dword v77, v81, s[0:3], 0 offen
	buffer_load_dword v78, v81, s[0:3], 0 offen offset:4
	ds_read_b64 v[82:83], v80
	s_waitcnt vmcnt(0) lgkmcnt(0)
	v_mul_f64 v[77:78], v[77:78], v[82:83]
	s_cbranch_execz .LBB101_30
	s_branch .LBB101_31
.LBB101_29:
                                        ; implicit-def: $vgpr77_vgpr78
.LBB101_30:
	ds_read_b64 v[77:78], v80
.LBB101_31:
	s_and_saveexec_b64 s[12:13], s[4:5]
	s_cbranch_execz .LBB101_35
; %bb.32:
	v_subrev_u32_e32 v82, 34, v0
	s_movk_i32 s49, 0x240
	s_mov_b64 s[4:5], 0
.LBB101_33:                             ; =>This Inner Loop Header: Depth=1
	v_mov_b32_e32 v85, s48
	buffer_load_dword v83, v85, s[0:3], 0 offen
	buffer_load_dword v84, v85, s[0:3], 0 offen offset:4
	v_mov_b32_e32 v85, s49
	ds_read_b64 v[85:86], v85
	v_add_u32_e32 v82, -1, v82
	s_add_i32 s49, s49, 8
	s_add_i32 s48, s48, 8
	v_cmp_eq_u32_e32 vcc, 0, v82
	s_or_b64 s[4:5], vcc, s[4:5]
	s_waitcnt vmcnt(0) lgkmcnt(0)
	v_fma_f64 v[77:78], v[83:84], v[85:86], v[77:78]
	s_andn2_b64 exec, exec, s[4:5]
	s_cbranch_execnz .LBB101_33
; %bb.34:
	s_or_b64 exec, exec, s[4:5]
.LBB101_35:
	s_or_b64 exec, exec, s[12:13]
	v_mov_b32_e32 v82, 0
	ds_read_b64 v[82:83], v82 offset:264
	s_waitcnt lgkmcnt(0)
	v_mul_f64 v[77:78], v[77:78], v[82:83]
	buffer_store_dword v78, off, s[0:3], 0 offset:268
	buffer_store_dword v77, off, s[0:3], 0 offset:264
.LBB101_36:
	;; [unrolled: 58-line block ×8, first 2 shown]
	s_or_b64 exec, exec, s[8:9]
	buffer_load_dword v77, off, s[0:3], 0 offset:208
	buffer_load_dword v78, off, s[0:3], 0 offset:212
	v_cmp_lt_u32_e64 s[4:5], 26, v0
	s_waitcnt vmcnt(0)
	ds_write_b64 v80, v[77:78]
	s_waitcnt lgkmcnt(0)
	; wave barrier
	s_and_saveexec_b64 s[8:9], s[4:5]
	s_cbranch_execz .LBB101_106
; %bb.97:
	s_andn2_b64 vcc, exec, s[10:11]
	s_cbranch_vccnz .LBB101_99
; %bb.98:
	buffer_load_dword v77, v81, s[0:3], 0 offen
	buffer_load_dword v78, v81, s[0:3], 0 offen offset:4
	ds_read_b64 v[82:83], v80
	s_waitcnt vmcnt(0) lgkmcnt(0)
	v_mul_f64 v[77:78], v[77:78], v[82:83]
	s_cbranch_execz .LBB101_100
	s_branch .LBB101_101
.LBB101_99:
                                        ; implicit-def: $vgpr77_vgpr78
.LBB101_100:
	ds_read_b64 v[77:78], v80
.LBB101_101:
	s_and_saveexec_b64 s[12:13], s[6:7]
	s_cbranch_execz .LBB101_105
; %bb.102:
	v_subrev_u32_e32 v82, 27, v0
	s_movk_i32 s42, 0x208
	s_mov_b64 s[6:7], 0
.LBB101_103:                            ; =>This Inner Loop Header: Depth=1
	v_mov_b32_e32 v85, s41
	buffer_load_dword v83, v85, s[0:3], 0 offen
	buffer_load_dword v84, v85, s[0:3], 0 offen offset:4
	v_mov_b32_e32 v85, s42
	ds_read_b64 v[85:86], v85
	v_add_u32_e32 v82, -1, v82
	s_add_i32 s42, s42, 8
	s_add_i32 s41, s41, 8
	v_cmp_eq_u32_e32 vcc, 0, v82
	s_or_b64 s[6:7], vcc, s[6:7]
	s_waitcnt vmcnt(0) lgkmcnt(0)
	v_fma_f64 v[77:78], v[83:84], v[85:86], v[77:78]
	s_andn2_b64 exec, exec, s[6:7]
	s_cbranch_execnz .LBB101_103
; %bb.104:
	s_or_b64 exec, exec, s[6:7]
.LBB101_105:
	s_or_b64 exec, exec, s[12:13]
	v_mov_b32_e32 v82, 0
	ds_read_b64 v[82:83], v82 offset:208
	s_waitcnt lgkmcnt(0)
	v_mul_f64 v[77:78], v[77:78], v[82:83]
	buffer_store_dword v78, off, s[0:3], 0 offset:212
	buffer_store_dword v77, off, s[0:3], 0 offset:208
.LBB101_106:
	s_or_b64 exec, exec, s[8:9]
	buffer_load_dword v77, off, s[0:3], 0 offset:200
	buffer_load_dword v78, off, s[0:3], 0 offset:204
	v_cmp_lt_u32_e64 s[6:7], 25, v0
	s_waitcnt vmcnt(0)
	ds_write_b64 v80, v[77:78]
	s_waitcnt lgkmcnt(0)
	; wave barrier
	s_and_saveexec_b64 s[8:9], s[6:7]
	s_cbranch_execz .LBB101_116
; %bb.107:
	s_andn2_b64 vcc, exec, s[10:11]
	s_cbranch_vccnz .LBB101_109
; %bb.108:
	buffer_load_dword v77, v81, s[0:3], 0 offen
	buffer_load_dword v78, v81, s[0:3], 0 offen offset:4
	ds_read_b64 v[82:83], v80
	s_waitcnt vmcnt(0) lgkmcnt(0)
	v_mul_f64 v[77:78], v[77:78], v[82:83]
	s_cbranch_execz .LBB101_110
	s_branch .LBB101_111
.LBB101_109:
                                        ; implicit-def: $vgpr77_vgpr78
.LBB101_110:
	ds_read_b64 v[77:78], v80
.LBB101_111:
	s_and_saveexec_b64 s[12:13], s[4:5]
	s_cbranch_execz .LBB101_115
; %bb.112:
	v_subrev_u32_e32 v82, 26, v0
	s_movk_i32 s41, 0x200
	s_mov_b64 s[4:5], 0
.LBB101_113:                            ; =>This Inner Loop Header: Depth=1
	v_mov_b32_e32 v85, s40
	buffer_load_dword v83, v85, s[0:3], 0 offen
	buffer_load_dword v84, v85, s[0:3], 0 offen offset:4
	v_mov_b32_e32 v85, s41
	ds_read_b64 v[85:86], v85
	v_add_u32_e32 v82, -1, v82
	s_add_i32 s41, s41, 8
	s_add_i32 s40, s40, 8
	v_cmp_eq_u32_e32 vcc, 0, v82
	s_or_b64 s[4:5], vcc, s[4:5]
	s_waitcnt vmcnt(0) lgkmcnt(0)
	v_fma_f64 v[77:78], v[83:84], v[85:86], v[77:78]
	s_andn2_b64 exec, exec, s[4:5]
	s_cbranch_execnz .LBB101_113
; %bb.114:
	s_or_b64 exec, exec, s[4:5]
.LBB101_115:
	s_or_b64 exec, exec, s[12:13]
	v_mov_b32_e32 v82, 0
	ds_read_b64 v[82:83], v82 offset:200
	s_waitcnt lgkmcnt(0)
	v_mul_f64 v[77:78], v[77:78], v[82:83]
	buffer_store_dword v78, off, s[0:3], 0 offset:204
	buffer_store_dword v77, off, s[0:3], 0 offset:200
.LBB101_116:
	;; [unrolled: 58-line block ×11, first 2 shown]
	s_or_b64 exec, exec, s[8:9]
	buffer_load_dword v77, off, s[0:3], 0 offset:120
	buffer_load_dword v78, off, s[0:3], 0 offset:124
	v_cmp_lt_u32_e64 s[6:7], 15, v0
	s_waitcnt vmcnt(0)
	ds_write_b64 v80, v[77:78]
	s_waitcnt lgkmcnt(0)
	; wave barrier
	s_and_saveexec_b64 s[8:9], s[6:7]
	s_cbranch_execz .LBB101_216
; %bb.207:
	s_andn2_b64 vcc, exec, s[10:11]
	s_cbranch_vccnz .LBB101_209
; %bb.208:
	buffer_load_dword v77, v81, s[0:3], 0 offen
	buffer_load_dword v78, v81, s[0:3], 0 offen offset:4
	ds_read_b64 v[82:83], v80
	s_waitcnt vmcnt(0) lgkmcnt(0)
	v_mul_f64 v[77:78], v[77:78], v[82:83]
	s_cbranch_execz .LBB101_210
	s_branch .LBB101_211
.LBB101_209:
                                        ; implicit-def: $vgpr77_vgpr78
.LBB101_210:
	ds_read_b64 v[77:78], v80
.LBB101_211:
	s_and_saveexec_b64 s[12:13], s[4:5]
	s_cbranch_execz .LBB101_215
; %bb.212:
	v_add_u32_e32 v82, -16, v0
	s_movk_i32 s30, 0x1b0
	s_mov_b64 s[4:5], 0
.LBB101_213:                            ; =>This Inner Loop Header: Depth=1
	v_mov_b32_e32 v85, s29
	buffer_load_dword v83, v85, s[0:3], 0 offen
	buffer_load_dword v84, v85, s[0:3], 0 offen offset:4
	v_mov_b32_e32 v85, s30
	ds_read_b64 v[85:86], v85
	v_add_u32_e32 v82, -1, v82
	s_add_i32 s30, s30, 8
	s_add_i32 s29, s29, 8
	v_cmp_eq_u32_e32 vcc, 0, v82
	s_or_b64 s[4:5], vcc, s[4:5]
	s_waitcnt vmcnt(0) lgkmcnt(0)
	v_fma_f64 v[77:78], v[83:84], v[85:86], v[77:78]
	s_andn2_b64 exec, exec, s[4:5]
	s_cbranch_execnz .LBB101_213
; %bb.214:
	s_or_b64 exec, exec, s[4:5]
.LBB101_215:
	s_or_b64 exec, exec, s[12:13]
	v_mov_b32_e32 v82, 0
	ds_read_b64 v[82:83], v82 offset:120
	s_waitcnt lgkmcnt(0)
	v_mul_f64 v[77:78], v[77:78], v[82:83]
	buffer_store_dword v78, off, s[0:3], 0 offset:124
	buffer_store_dword v77, off, s[0:3], 0 offset:120
.LBB101_216:
	s_or_b64 exec, exec, s[8:9]
	buffer_load_dword v77, off, s[0:3], 0 offset:112
	buffer_load_dword v78, off, s[0:3], 0 offset:116
	v_cmp_lt_u32_e64 s[4:5], 14, v0
	s_waitcnt vmcnt(0)
	ds_write_b64 v80, v[77:78]
	s_waitcnt lgkmcnt(0)
	; wave barrier
	s_and_saveexec_b64 s[8:9], s[4:5]
	s_cbranch_execz .LBB101_226
; %bb.217:
	s_andn2_b64 vcc, exec, s[10:11]
	s_cbranch_vccnz .LBB101_219
; %bb.218:
	buffer_load_dword v77, v81, s[0:3], 0 offen
	buffer_load_dword v78, v81, s[0:3], 0 offen offset:4
	ds_read_b64 v[82:83], v80
	s_waitcnt vmcnt(0) lgkmcnt(0)
	v_mul_f64 v[77:78], v[77:78], v[82:83]
	s_cbranch_execz .LBB101_220
	s_branch .LBB101_221
.LBB101_219:
                                        ; implicit-def: $vgpr77_vgpr78
.LBB101_220:
	ds_read_b64 v[77:78], v80
.LBB101_221:
	s_and_saveexec_b64 s[12:13], s[6:7]
	s_cbranch_execz .LBB101_225
; %bb.222:
	v_add_u32_e32 v82, -15, v0
	s_movk_i32 s29, 0x1a8
	s_mov_b64 s[6:7], 0
.LBB101_223:                            ; =>This Inner Loop Header: Depth=1
	v_mov_b32_e32 v85, s28
	buffer_load_dword v83, v85, s[0:3], 0 offen
	buffer_load_dword v84, v85, s[0:3], 0 offen offset:4
	v_mov_b32_e32 v85, s29
	ds_read_b64 v[85:86], v85
	v_add_u32_e32 v82, -1, v82
	s_add_i32 s29, s29, 8
	s_add_i32 s28, s28, 8
	v_cmp_eq_u32_e32 vcc, 0, v82
	s_or_b64 s[6:7], vcc, s[6:7]
	s_waitcnt vmcnt(0) lgkmcnt(0)
	v_fma_f64 v[77:78], v[83:84], v[85:86], v[77:78]
	s_andn2_b64 exec, exec, s[6:7]
	s_cbranch_execnz .LBB101_223
; %bb.224:
	s_or_b64 exec, exec, s[6:7]
.LBB101_225:
	s_or_b64 exec, exec, s[12:13]
	v_mov_b32_e32 v82, 0
	ds_read_b64 v[82:83], v82 offset:112
	s_waitcnt lgkmcnt(0)
	v_mul_f64 v[77:78], v[77:78], v[82:83]
	buffer_store_dword v78, off, s[0:3], 0 offset:116
	buffer_store_dword v77, off, s[0:3], 0 offset:112
.LBB101_226:
	;; [unrolled: 58-line block ×15, first 2 shown]
	s_or_b64 exec, exec, s[8:9]
	buffer_load_dword v77, off, s[0:3], 0
	buffer_load_dword v78, off, s[0:3], 0 offset:4
	v_cmp_ne_u32_e32 vcc, 0, v0
	s_waitcnt vmcnt(0)
	ds_write_b64 v80, v[77:78]
	s_waitcnt lgkmcnt(0)
	; wave barrier
	s_and_saveexec_b64 s[4:5], vcc
	s_cbranch_execz .LBB101_366
; %bb.357:
	s_andn2_b64 vcc, exec, s[10:11]
	s_cbranch_vccnz .LBB101_359
; %bb.358:
	buffer_load_dword v77, v81, s[0:3], 0 offen
	buffer_load_dword v78, v81, s[0:3], 0 offen offset:4
	ds_read_b64 v[82:83], v80
	s_waitcnt vmcnt(0) lgkmcnt(0)
	v_mul_f64 v[77:78], v[77:78], v[82:83]
	s_cbranch_execz .LBB101_360
	s_branch .LBB101_361
.LBB101_359:
                                        ; implicit-def: $vgpr77_vgpr78
.LBB101_360:
	ds_read_b64 v[77:78], v80
.LBB101_361:
	s_and_saveexec_b64 s[8:9], s[6:7]
	s_cbranch_execz .LBB101_365
; %bb.362:
	v_add_u32_e32 v82, -1, v0
	s_movk_i32 s12, 0x138
	s_mov_b64 s[6:7], 0
.LBB101_363:                            ; =>This Inner Loop Header: Depth=1
	v_mov_b32_e32 v85, s14
	buffer_load_dword v83, v85, s[0:3], 0 offen
	buffer_load_dword v84, v85, s[0:3], 0 offen offset:4
	v_mov_b32_e32 v85, s12
	ds_read_b64 v[85:86], v85
	v_add_u32_e32 v82, -1, v82
	s_add_i32 s12, s12, 8
	s_add_i32 s14, s14, 8
	v_cmp_eq_u32_e32 vcc, 0, v82
	s_or_b64 s[6:7], vcc, s[6:7]
	s_waitcnt vmcnt(0) lgkmcnt(0)
	v_fma_f64 v[77:78], v[83:84], v[85:86], v[77:78]
	s_andn2_b64 exec, exec, s[6:7]
	s_cbranch_execnz .LBB101_363
; %bb.364:
	s_or_b64 exec, exec, s[6:7]
.LBB101_365:
	s_or_b64 exec, exec, s[8:9]
	v_mov_b32_e32 v82, 0
	ds_read_b64 v[82:83], v82
	s_waitcnt lgkmcnt(0)
	v_mul_f64 v[77:78], v[77:78], v[82:83]
	buffer_store_dword v78, off, s[0:3], 0 offset:4
	buffer_store_dword v77, off, s[0:3], 0
.LBB101_366:
	s_or_b64 exec, exec, s[4:5]
	s_mov_b64 s[4:5], 0
.LBB101_367:
	s_and_b64 vcc, exec, s[4:5]
	s_cbranch_vccz .LBB101_729
; %bb.368:
	buffer_load_dword v77, off, s[0:3], 0 offset:8
	buffer_load_dword v78, off, s[0:3], 0 offset:12
	v_cmp_eq_u32_e64 s[6:7], 0, v0
	s_waitcnt vmcnt(0)
	ds_write_b64 v80, v[77:78]
	s_waitcnt lgkmcnt(0)
	; wave barrier
	s_and_saveexec_b64 s[4:5], s[6:7]
	s_cbranch_execz .LBB101_374
; %bb.369:
	s_and_b64 vcc, exec, s[10:11]
	s_cbranch_vccz .LBB101_371
; %bb.370:
	buffer_load_dword v77, v81, s[0:3], 0 offen
	buffer_load_dword v78, v81, s[0:3], 0 offen offset:4
	ds_read_b64 v[82:83], v80
	s_waitcnt vmcnt(0) lgkmcnt(0)
	v_mul_f64 v[77:78], v[77:78], v[82:83]
	s_cbranch_execz .LBB101_372
	s_branch .LBB101_373
.LBB101_371:
                                        ; implicit-def: $vgpr77_vgpr78
.LBB101_372:
	ds_read_b64 v[77:78], v80
.LBB101_373:
	v_mov_b32_e32 v82, 0
	ds_read_b64 v[82:83], v82 offset:8
	s_waitcnt lgkmcnt(0)
	v_mul_f64 v[77:78], v[77:78], v[82:83]
	buffer_store_dword v78, off, s[0:3], 0 offset:12
	buffer_store_dword v77, off, s[0:3], 0 offset:8
.LBB101_374:
	s_or_b64 exec, exec, s[4:5]
	buffer_load_dword v77, off, s[0:3], 0 offset:16
	buffer_load_dword v78, off, s[0:3], 0 offset:20
	v_cndmask_b32_e64 v82, 0, 1, s[10:11]
	v_cmp_gt_u32_e32 vcc, 2, v0
	v_cmp_ne_u32_e64 s[4:5], 1, v82
	s_waitcnt vmcnt(0)
	ds_write_b64 v80, v[77:78]
	s_waitcnt lgkmcnt(0)
	; wave barrier
	s_and_saveexec_b64 s[8:9], vcc
	s_cbranch_execz .LBB101_380
; %bb.375:
	s_and_b64 vcc, exec, s[4:5]
	s_cbranch_vccnz .LBB101_377
; %bb.376:
	buffer_load_dword v77, v81, s[0:3], 0 offen
	buffer_load_dword v78, v81, s[0:3], 0 offen offset:4
	ds_read_b64 v[82:83], v80
	s_waitcnt vmcnt(0) lgkmcnt(0)
	v_mul_f64 v[77:78], v[77:78], v[82:83]
	s_cbranch_execz .LBB101_378
	s_branch .LBB101_379
.LBB101_377:
                                        ; implicit-def: $vgpr77_vgpr78
.LBB101_378:
	ds_read_b64 v[77:78], v80
.LBB101_379:
	buffer_load_dword v86, off, s[0:3], 0 offset:8
	buffer_load_dword v87, off, s[0:3], 0 offset:12
	v_mov_b32_e32 v82, 0
	ds_read2_b64 v[82:85], v82 offset0:2 offset1:39
	s_waitcnt vmcnt(0) lgkmcnt(0)
	v_fma_f64 v[84:85], v[86:87], v[84:85], v[77:78]
	v_cndmask_b32_e64 v78, v78, v85, s[6:7]
	v_cndmask_b32_e64 v77, v77, v84, s[6:7]
	v_mul_f64 v[77:78], v[77:78], v[82:83]
	buffer_store_dword v78, off, s[0:3], 0 offset:20
	buffer_store_dword v77, off, s[0:3], 0 offset:16
.LBB101_380:
	s_or_b64 exec, exec, s[8:9]
	buffer_load_dword v77, off, s[0:3], 0 offset:24
	buffer_load_dword v78, off, s[0:3], 0 offset:28
	v_cmp_gt_u32_e32 vcc, 3, v0
	s_waitcnt vmcnt(0)
	ds_write_b64 v80, v[77:78]
	s_waitcnt lgkmcnt(0)
	; wave barrier
	s_and_saveexec_b64 s[8:9], vcc
	s_cbranch_execz .LBB101_388
; %bb.381:
	s_and_b64 vcc, exec, s[4:5]
	s_cbranch_vccnz .LBB101_383
; %bb.382:
	buffer_load_dword v77, v81, s[0:3], 0 offen
	buffer_load_dword v78, v81, s[0:3], 0 offen offset:4
	ds_read_b64 v[82:83], v80
	s_waitcnt vmcnt(0) lgkmcnt(0)
	v_mul_f64 v[77:78], v[77:78], v[82:83]
	s_cbranch_execz .LBB101_384
	s_branch .LBB101_385
.LBB101_383:
                                        ; implicit-def: $vgpr77_vgpr78
.LBB101_384:
	ds_read_b64 v[77:78], v80
.LBB101_385:
	v_cmp_ne_u32_e32 vcc, 2, v0
	s_and_saveexec_b64 s[10:11], vcc
	s_cbranch_execz .LBB101_387
; %bb.386:
	buffer_load_dword v82, v81, s[0:3], 0 offen offset:8
	buffer_load_dword v83, v81, s[0:3], 0 offen offset:12
	buffer_load_dword v84, off, s[0:3], 0 offset:16
	buffer_load_dword v85, off, s[0:3], 0 offset:20
	ds_read_b64 v[86:87], v80 offset:8
	v_mov_b32_e32 v88, 0
	ds_read_b64 v[88:89], v88 offset:320
	s_waitcnt vmcnt(2) lgkmcnt(1)
	v_fma_f64 v[77:78], v[82:83], v[86:87], v[77:78]
	s_waitcnt vmcnt(0) lgkmcnt(0)
	v_fma_f64 v[82:83], v[84:85], v[88:89], v[77:78]
	v_cndmask_b32_e64 v78, v78, v83, s[6:7]
	v_cndmask_b32_e64 v77, v77, v82, s[6:7]
.LBB101_387:
	s_or_b64 exec, exec, s[10:11]
	v_mov_b32_e32 v82, 0
	ds_read_b64 v[82:83], v82 offset:24
	s_waitcnt lgkmcnt(0)
	v_mul_f64 v[77:78], v[77:78], v[82:83]
	buffer_store_dword v78, off, s[0:3], 0 offset:28
	buffer_store_dword v77, off, s[0:3], 0 offset:24
.LBB101_388:
	s_or_b64 exec, exec, s[8:9]
	buffer_load_dword v77, off, s[0:3], 0 offset:32
	buffer_load_dword v78, off, s[0:3], 0 offset:36
	v_cmp_gt_u32_e32 vcc, 4, v0
	s_waitcnt vmcnt(0)
	ds_write_b64 v80, v[77:78]
	s_waitcnt lgkmcnt(0)
	; wave barrier
	s_and_saveexec_b64 s[6:7], vcc
	s_cbranch_execz .LBB101_398
; %bb.389:
	s_and_b64 vcc, exec, s[4:5]
	s_cbranch_vccnz .LBB101_391
; %bb.390:
	buffer_load_dword v77, v81, s[0:3], 0 offen
	buffer_load_dword v78, v81, s[0:3], 0 offen offset:4
	ds_read_b64 v[82:83], v80
	s_waitcnt vmcnt(0) lgkmcnt(0)
	v_mul_f64 v[77:78], v[77:78], v[82:83]
	s_cbranch_execz .LBB101_392
	s_branch .LBB101_393
.LBB101_391:
                                        ; implicit-def: $vgpr77_vgpr78
.LBB101_392:
	ds_read_b64 v[77:78], v80
.LBB101_393:
	v_cmp_ne_u32_e32 vcc, 3, v0
	s_and_saveexec_b64 s[8:9], vcc
	s_cbranch_execz .LBB101_397
; %bb.394:
	s_mov_b32 s10, 0
	v_add_u32_e32 v82, 0x138, v79
	v_add3_u32 v83, v79, s10, 8
	s_mov_b64 s[10:11], 0
	v_mov_b32_e32 v84, v0
.LBB101_395:                            ; =>This Inner Loop Header: Depth=1
	buffer_load_dword v85, v83, s[0:3], 0 offen
	buffer_load_dword v86, v83, s[0:3], 0 offen offset:4
	ds_read_b64 v[87:88], v82
	v_add_u32_e32 v84, 1, v84
	v_cmp_lt_u32_e32 vcc, 2, v84
	v_add_u32_e32 v82, 8, v82
	s_or_b64 s[10:11], vcc, s[10:11]
	v_add_u32_e32 v83, 8, v83
	s_waitcnt vmcnt(0) lgkmcnt(0)
	v_fma_f64 v[77:78], v[85:86], v[87:88], v[77:78]
	s_andn2_b64 exec, exec, s[10:11]
	s_cbranch_execnz .LBB101_395
; %bb.396:
	s_or_b64 exec, exec, s[10:11]
.LBB101_397:
	s_or_b64 exec, exec, s[8:9]
	v_mov_b32_e32 v82, 0
	ds_read_b64 v[82:83], v82 offset:32
	s_waitcnt lgkmcnt(0)
	v_mul_f64 v[77:78], v[77:78], v[82:83]
	buffer_store_dword v78, off, s[0:3], 0 offset:36
	buffer_store_dword v77, off, s[0:3], 0 offset:32
.LBB101_398:
	s_or_b64 exec, exec, s[6:7]
	buffer_load_dword v77, off, s[0:3], 0 offset:40
	buffer_load_dword v78, off, s[0:3], 0 offset:44
	v_cmp_gt_u32_e32 vcc, 5, v0
	s_waitcnt vmcnt(0)
	ds_write_b64 v80, v[77:78]
	s_waitcnt lgkmcnt(0)
	; wave barrier
	s_and_saveexec_b64 s[6:7], vcc
	s_cbranch_execz .LBB101_408
; %bb.399:
	s_and_b64 vcc, exec, s[4:5]
	s_cbranch_vccnz .LBB101_401
; %bb.400:
	buffer_load_dword v77, v81, s[0:3], 0 offen
	buffer_load_dword v78, v81, s[0:3], 0 offen offset:4
	ds_read_b64 v[82:83], v80
	s_waitcnt vmcnt(0) lgkmcnt(0)
	v_mul_f64 v[77:78], v[77:78], v[82:83]
	s_cbranch_execz .LBB101_402
	s_branch .LBB101_403
.LBB101_401:
                                        ; implicit-def: $vgpr77_vgpr78
.LBB101_402:
	ds_read_b64 v[77:78], v80
.LBB101_403:
	v_cmp_ne_u32_e32 vcc, 4, v0
	s_and_saveexec_b64 s[8:9], vcc
	s_cbranch_execz .LBB101_407
; %bb.404:
	s_mov_b32 s10, 0
	v_add_u32_e32 v82, 0x138, v79
	v_add3_u32 v83, v79, s10, 8
	s_mov_b64 s[10:11], 0
	v_mov_b32_e32 v84, v0
.LBB101_405:                            ; =>This Inner Loop Header: Depth=1
	buffer_load_dword v85, v83, s[0:3], 0 offen
	buffer_load_dword v86, v83, s[0:3], 0 offen offset:4
	ds_read_b64 v[87:88], v82
	v_add_u32_e32 v84, 1, v84
	v_cmp_lt_u32_e32 vcc, 3, v84
	v_add_u32_e32 v82, 8, v82
	s_or_b64 s[10:11], vcc, s[10:11]
	v_add_u32_e32 v83, 8, v83
	s_waitcnt vmcnt(0) lgkmcnt(0)
	v_fma_f64 v[77:78], v[85:86], v[87:88], v[77:78]
	s_andn2_b64 exec, exec, s[10:11]
	s_cbranch_execnz .LBB101_405
; %bb.406:
	s_or_b64 exec, exec, s[10:11]
.LBB101_407:
	s_or_b64 exec, exec, s[8:9]
	v_mov_b32_e32 v82, 0
	ds_read_b64 v[82:83], v82 offset:40
	s_waitcnt lgkmcnt(0)
	v_mul_f64 v[77:78], v[77:78], v[82:83]
	buffer_store_dword v78, off, s[0:3], 0 offset:44
	buffer_store_dword v77, off, s[0:3], 0 offset:40
.LBB101_408:
	;; [unrolled: 59-line block ×32, first 2 shown]
	s_or_b64 exec, exec, s[6:7]
	buffer_load_dword v77, off, s[0:3], 0 offset:288
	buffer_load_dword v78, off, s[0:3], 0 offset:292
	v_cmp_gt_u32_e64 s[6:7], 36, v0
	s_waitcnt vmcnt(0)
	ds_write_b64 v80, v[77:78]
	s_waitcnt lgkmcnt(0)
	; wave barrier
	s_and_saveexec_b64 s[8:9], s[6:7]
	s_cbranch_execz .LBB101_718
; %bb.709:
	s_and_b64 vcc, exec, s[4:5]
	s_cbranch_vccnz .LBB101_711
; %bb.710:
	buffer_load_dword v77, v81, s[0:3], 0 offen
	buffer_load_dword v78, v81, s[0:3], 0 offen offset:4
	ds_read_b64 v[82:83], v80
	s_waitcnt vmcnt(0) lgkmcnt(0)
	v_mul_f64 v[77:78], v[77:78], v[82:83]
	s_cbranch_execz .LBB101_712
	s_branch .LBB101_713
.LBB101_711:
                                        ; implicit-def: $vgpr77_vgpr78
.LBB101_712:
	ds_read_b64 v[77:78], v80
.LBB101_713:
	v_cmp_ne_u32_e32 vcc, 35, v0
	s_and_saveexec_b64 s[10:11], vcc
	s_cbranch_execz .LBB101_717
; %bb.714:
	s_mov_b32 s12, 0
	v_add_u32_e32 v82, 0x138, v79
	v_add3_u32 v83, v79, s12, 8
	s_mov_b64 s[12:13], 0
	v_mov_b32_e32 v84, v0
.LBB101_715:                            ; =>This Inner Loop Header: Depth=1
	buffer_load_dword v85, v83, s[0:3], 0 offen
	buffer_load_dword v86, v83, s[0:3], 0 offen offset:4
	ds_read_b64 v[87:88], v82
	v_add_u32_e32 v84, 1, v84
	v_cmp_lt_u32_e32 vcc, 34, v84
	v_add_u32_e32 v82, 8, v82
	s_or_b64 s[12:13], vcc, s[12:13]
	v_add_u32_e32 v83, 8, v83
	s_waitcnt vmcnt(0) lgkmcnt(0)
	v_fma_f64 v[77:78], v[85:86], v[87:88], v[77:78]
	s_andn2_b64 exec, exec, s[12:13]
	s_cbranch_execnz .LBB101_715
; %bb.716:
	s_or_b64 exec, exec, s[12:13]
.LBB101_717:
	s_or_b64 exec, exec, s[10:11]
	v_mov_b32_e32 v82, 0
	ds_read_b64 v[82:83], v82 offset:288
	s_waitcnt lgkmcnt(0)
	v_mul_f64 v[77:78], v[77:78], v[82:83]
	buffer_store_dword v78, off, s[0:3], 0 offset:292
	buffer_store_dword v77, off, s[0:3], 0 offset:288
.LBB101_718:
	s_or_b64 exec, exec, s[8:9]
	buffer_load_dword v77, off, s[0:3], 0 offset:296
	buffer_load_dword v78, off, s[0:3], 0 offset:300
	v_cmp_ne_u32_e32 vcc, 37, v0
	s_waitcnt vmcnt(0)
	ds_write_b64 v80, v[77:78]
	s_waitcnt lgkmcnt(0)
	; wave barrier
	s_and_saveexec_b64 s[8:9], vcc
	s_cbranch_execz .LBB101_728
; %bb.719:
	s_and_b64 vcc, exec, s[4:5]
	s_cbranch_vccnz .LBB101_721
; %bb.720:
	buffer_load_dword v77, v81, s[0:3], 0 offen
	buffer_load_dword v78, v81, s[0:3], 0 offen offset:4
	ds_read_b64 v[81:82], v80
	s_waitcnt vmcnt(0) lgkmcnt(0)
	v_mul_f64 v[77:78], v[77:78], v[81:82]
	s_cbranch_execz .LBB101_722
	s_branch .LBB101_723
.LBB101_721:
                                        ; implicit-def: $vgpr77_vgpr78
.LBB101_722:
	ds_read_b64 v[77:78], v80
.LBB101_723:
	s_and_saveexec_b64 s[4:5], s[6:7]
	s_cbranch_execz .LBB101_727
; %bb.724:
	s_mov_b32 s6, 0
	v_add_u32_e32 v80, 0x138, v79
	v_add3_u32 v79, v79, s6, 8
	s_mov_b64 s[6:7], 0
.LBB101_725:                            ; =>This Inner Loop Header: Depth=1
	buffer_load_dword v81, v79, s[0:3], 0 offen
	buffer_load_dword v82, v79, s[0:3], 0 offen offset:4
	ds_read_b64 v[83:84], v80
	v_add_u32_e32 v0, 1, v0
	v_cmp_lt_u32_e32 vcc, 35, v0
	v_add_u32_e32 v80, 8, v80
	s_or_b64 s[6:7], vcc, s[6:7]
	v_add_u32_e32 v79, 8, v79
	s_waitcnt vmcnt(0) lgkmcnt(0)
	v_fma_f64 v[77:78], v[81:82], v[83:84], v[77:78]
	s_andn2_b64 exec, exec, s[6:7]
	s_cbranch_execnz .LBB101_725
; %bb.726:
	s_or_b64 exec, exec, s[6:7]
.LBB101_727:
	s_or_b64 exec, exec, s[4:5]
	v_mov_b32_e32 v0, 0
	ds_read_b64 v[79:80], v0 offset:296
	s_waitcnt lgkmcnt(0)
	v_mul_f64 v[77:78], v[77:78], v[79:80]
	buffer_store_dword v78, off, s[0:3], 0 offset:300
	buffer_store_dword v77, off, s[0:3], 0 offset:296
.LBB101_728:
	s_or_b64 exec, exec, s[8:9]
.LBB101_729:
	buffer_load_dword v77, off, s[0:3], 0
	buffer_load_dword v78, off, s[0:3], 0 offset:4
	s_waitcnt vmcnt(0)
	flat_store_dwordx2 v[1:2], v[77:78]
	buffer_load_dword v0, off, s[0:3], 0 offset:8
	s_nop 0
	buffer_load_dword v1, off, s[0:3], 0 offset:12
	s_waitcnt vmcnt(0)
	flat_store_dwordx2 v[3:4], v[0:1]
	buffer_load_dword v0, off, s[0:3], 0 offset:16
	s_nop 0
	;; [unrolled: 5-line block ×37, first 2 shown]
	buffer_load_dword v1, off, s[0:3], 0 offset:300
	s_waitcnt vmcnt(0)
	flat_store_dwordx2 v[75:76], v[0:1]
.LBB101_730:
	s_endpgm
	.section	.rodata,"a",@progbits
	.p2align	6, 0x0
	.amdhsa_kernel _ZN9rocsolver6v33100L18trti2_kernel_smallILi38EdPKPdEEv13rocblas_fill_17rocblas_diagonal_T1_iil
		.amdhsa_group_segment_fixed_size 608
		.amdhsa_private_segment_fixed_size 320
		.amdhsa_kernarg_size 32
		.amdhsa_user_sgpr_count 6
		.amdhsa_user_sgpr_private_segment_buffer 1
		.amdhsa_user_sgpr_dispatch_ptr 0
		.amdhsa_user_sgpr_queue_ptr 0
		.amdhsa_user_sgpr_kernarg_segment_ptr 1
		.amdhsa_user_sgpr_dispatch_id 0
		.amdhsa_user_sgpr_flat_scratch_init 0
		.amdhsa_user_sgpr_private_segment_size 0
		.amdhsa_uses_dynamic_stack 0
		.amdhsa_system_sgpr_private_segment_wavefront_offset 1
		.amdhsa_system_sgpr_workgroup_id_x 1
		.amdhsa_system_sgpr_workgroup_id_y 0
		.amdhsa_system_sgpr_workgroup_id_z 0
		.amdhsa_system_sgpr_workgroup_info 0
		.amdhsa_system_vgpr_workitem_id 0
		.amdhsa_next_free_vgpr 90
		.amdhsa_next_free_sgpr 51
		.amdhsa_reserve_vcc 1
		.amdhsa_reserve_flat_scratch 0
		.amdhsa_float_round_mode_32 0
		.amdhsa_float_round_mode_16_64 0
		.amdhsa_float_denorm_mode_32 3
		.amdhsa_float_denorm_mode_16_64 3
		.amdhsa_dx10_clamp 1
		.amdhsa_ieee_mode 1
		.amdhsa_fp16_overflow 0
		.amdhsa_exception_fp_ieee_invalid_op 0
		.amdhsa_exception_fp_denorm_src 0
		.amdhsa_exception_fp_ieee_div_zero 0
		.amdhsa_exception_fp_ieee_overflow 0
		.amdhsa_exception_fp_ieee_underflow 0
		.amdhsa_exception_fp_ieee_inexact 0
		.amdhsa_exception_int_div_zero 0
	.end_amdhsa_kernel
	.section	.text._ZN9rocsolver6v33100L18trti2_kernel_smallILi38EdPKPdEEv13rocblas_fill_17rocblas_diagonal_T1_iil,"axG",@progbits,_ZN9rocsolver6v33100L18trti2_kernel_smallILi38EdPKPdEEv13rocblas_fill_17rocblas_diagonal_T1_iil,comdat
.Lfunc_end101:
	.size	_ZN9rocsolver6v33100L18trti2_kernel_smallILi38EdPKPdEEv13rocblas_fill_17rocblas_diagonal_T1_iil, .Lfunc_end101-_ZN9rocsolver6v33100L18trti2_kernel_smallILi38EdPKPdEEv13rocblas_fill_17rocblas_diagonal_T1_iil
                                        ; -- End function
	.set _ZN9rocsolver6v33100L18trti2_kernel_smallILi38EdPKPdEEv13rocblas_fill_17rocblas_diagonal_T1_iil.num_vgpr, 90
	.set _ZN9rocsolver6v33100L18trti2_kernel_smallILi38EdPKPdEEv13rocblas_fill_17rocblas_diagonal_T1_iil.num_agpr, 0
	.set _ZN9rocsolver6v33100L18trti2_kernel_smallILi38EdPKPdEEv13rocblas_fill_17rocblas_diagonal_T1_iil.numbered_sgpr, 51
	.set _ZN9rocsolver6v33100L18trti2_kernel_smallILi38EdPKPdEEv13rocblas_fill_17rocblas_diagonal_T1_iil.num_named_barrier, 0
	.set _ZN9rocsolver6v33100L18trti2_kernel_smallILi38EdPKPdEEv13rocblas_fill_17rocblas_diagonal_T1_iil.private_seg_size, 320
	.set _ZN9rocsolver6v33100L18trti2_kernel_smallILi38EdPKPdEEv13rocblas_fill_17rocblas_diagonal_T1_iil.uses_vcc, 1
	.set _ZN9rocsolver6v33100L18trti2_kernel_smallILi38EdPKPdEEv13rocblas_fill_17rocblas_diagonal_T1_iil.uses_flat_scratch, 0
	.set _ZN9rocsolver6v33100L18trti2_kernel_smallILi38EdPKPdEEv13rocblas_fill_17rocblas_diagonal_T1_iil.has_dyn_sized_stack, 0
	.set _ZN9rocsolver6v33100L18trti2_kernel_smallILi38EdPKPdEEv13rocblas_fill_17rocblas_diagonal_T1_iil.has_recursion, 0
	.set _ZN9rocsolver6v33100L18trti2_kernel_smallILi38EdPKPdEEv13rocblas_fill_17rocblas_diagonal_T1_iil.has_indirect_call, 0
	.section	.AMDGPU.csdata,"",@progbits
; Kernel info:
; codeLenInByte = 22388
; TotalNumSgprs: 55
; NumVgprs: 90
; ScratchSize: 320
; MemoryBound: 0
; FloatMode: 240
; IeeeMode: 1
; LDSByteSize: 608 bytes/workgroup (compile time only)
; SGPRBlocks: 6
; VGPRBlocks: 22
; NumSGPRsForWavesPerEU: 55
; NumVGPRsForWavesPerEU: 90
; Occupancy: 2
; WaveLimiterHint : 1
; COMPUTE_PGM_RSRC2:SCRATCH_EN: 1
; COMPUTE_PGM_RSRC2:USER_SGPR: 6
; COMPUTE_PGM_RSRC2:TRAP_HANDLER: 0
; COMPUTE_PGM_RSRC2:TGID_X_EN: 1
; COMPUTE_PGM_RSRC2:TGID_Y_EN: 0
; COMPUTE_PGM_RSRC2:TGID_Z_EN: 0
; COMPUTE_PGM_RSRC2:TIDIG_COMP_CNT: 0
	.section	.text._ZN9rocsolver6v33100L18trti2_kernel_smallILi39EdPKPdEEv13rocblas_fill_17rocblas_diagonal_T1_iil,"axG",@progbits,_ZN9rocsolver6v33100L18trti2_kernel_smallILi39EdPKPdEEv13rocblas_fill_17rocblas_diagonal_T1_iil,comdat
	.globl	_ZN9rocsolver6v33100L18trti2_kernel_smallILi39EdPKPdEEv13rocblas_fill_17rocblas_diagonal_T1_iil ; -- Begin function _ZN9rocsolver6v33100L18trti2_kernel_smallILi39EdPKPdEEv13rocblas_fill_17rocblas_diagonal_T1_iil
	.p2align	8
	.type	_ZN9rocsolver6v33100L18trti2_kernel_smallILi39EdPKPdEEv13rocblas_fill_17rocblas_diagonal_T1_iil,@function
_ZN9rocsolver6v33100L18trti2_kernel_smallILi39EdPKPdEEv13rocblas_fill_17rocblas_diagonal_T1_iil: ; @_ZN9rocsolver6v33100L18trti2_kernel_smallILi39EdPKPdEEv13rocblas_fill_17rocblas_diagonal_T1_iil
; %bb.0:
	s_add_u32 s0, s0, s7
	s_addc_u32 s1, s1, 0
	v_cmp_gt_u32_e32 vcc, 39, v0
	s_and_saveexec_b64 s[8:9], vcc
	s_cbranch_execz .LBB102_750
; %bb.1:
	s_load_dwordx2 s[12:13], s[4:5], 0x10
	s_load_dwordx4 s[8:11], s[4:5], 0x0
	s_ashr_i32 s7, s6, 31
	s_lshl_b64 s[6:7], s[6:7], 3
	v_lshlrev_b32_e32 v81, 3, v0
	s_waitcnt lgkmcnt(0)
	s_ashr_i32 s5, s12, 31
	s_add_u32 s6, s10, s6
	s_addc_u32 s7, s11, s7
	s_load_dwordx2 s[6:7], s[6:7], 0x0
	s_mov_b32 s4, s12
	s_lshl_b64 s[4:5], s[4:5], 3
	s_waitcnt lgkmcnt(0)
	s_add_u32 s4, s6, s4
	s_addc_u32 s5, s7, s5
	v_mov_b32_e32 v2, s5
	v_add_co_u32_e32 v1, vcc, s4, v81
	v_addc_co_u32_e32 v2, vcc, 0, v2, vcc
	flat_load_dwordx2 v[5:6], v[1:2]
	s_mov_b32 s6, s13
	s_ashr_i32 s7, s13, 31
	s_lshl_b64 s[6:7], s[6:7], 3
	v_mov_b32_e32 v4, s7
	v_add_co_u32_e32 v3, vcc, s6, v1
	v_addc_co_u32_e32 v4, vcc, v2, v4, vcc
	s_add_i32 s6, s13, s13
	v_add_u32_e32 v9, s6, v0
	v_ashrrev_i32_e32 v10, 31, v9
	v_mov_b32_e32 v11, s5
	v_add_u32_e32 v12, s13, v9
	v_ashrrev_i32_e32 v13, 31, v12
	v_mov_b32_e32 v14, s5
	v_mov_b32_e32 v15, s5
	;; [unrolled: 1-line block ×35, first 2 shown]
	s_cmpk_lg_i32 s9, 0x84
	s_cselect_b64 s[10:11], -1, 0
	s_cmpk_eq_i32 s9, 0x84
	s_waitcnt vmcnt(0) lgkmcnt(0)
	buffer_store_dword v6, off, s[0:3], 0 offset:4
	buffer_store_dword v5, off, s[0:3], 0
	flat_load_dwordx2 v[7:8], v[3:4]
	v_lshlrev_b64 v[5:6], 3, v[9:10]
	s_waitcnt vmcnt(0) lgkmcnt(0)
	buffer_store_dword v8, off, s[0:3], 0 offset:12
	buffer_store_dword v7, off, s[0:3], 0 offset:8
	v_add_co_u32_e32 v5, vcc, s4, v5
	v_addc_co_u32_e32 v6, vcc, v11, v6, vcc
	flat_load_dwordx2 v[10:11], v[5:6]
	v_lshlrev_b64 v[7:8], 3, v[12:13]
	s_waitcnt vmcnt(0) lgkmcnt(0)
	buffer_store_dword v11, off, s[0:3], 0 offset:20
	buffer_store_dword v10, off, s[0:3], 0 offset:16
	v_add_co_u32_e32 v7, vcc, s4, v7
	v_addc_co_u32_e32 v8, vcc, v14, v8, vcc
	flat_load_dwordx2 v[13:14], v[7:8]
	v_add_u32_e32 v11, s13, v12
	v_ashrrev_i32_e32 v12, 31, v11
	v_lshlrev_b64 v[9:10], 3, v[11:12]
	s_waitcnt vmcnt(0) lgkmcnt(0)
	buffer_store_dword v14, off, s[0:3], 0 offset:28
	buffer_store_dword v13, off, s[0:3], 0 offset:24
	v_add_co_u32_e32 v9, vcc, s4, v9
	v_addc_co_u32_e32 v10, vcc, v15, v10, vcc
	flat_load_dwordx2 v[13:14], v[9:10]
	v_add_u32_e32 v15, s13, v11
	v_ashrrev_i32_e32 v16, 31, v15
	v_lshlrev_b64 v[11:12], 3, v[15:16]
	v_add_u32_e32 v18, s13, v15
	v_add_co_u32_e32 v11, vcc, s4, v11
	v_addc_co_u32_e32 v12, vcc, v17, v12, vcc
	v_ashrrev_i32_e32 v19, 31, v18
	s_waitcnt vmcnt(0) lgkmcnt(0)
	buffer_store_dword v14, off, s[0:3], 0 offset:36
	buffer_store_dword v13, off, s[0:3], 0 offset:32
	flat_load_dwordx2 v[16:17], v[11:12]
	v_lshlrev_b64 v[13:14], 3, v[18:19]
	s_waitcnt vmcnt(0) lgkmcnt(0)
	buffer_store_dword v17, off, s[0:3], 0 offset:44
	buffer_store_dword v16, off, s[0:3], 0 offset:40
	v_add_co_u32_e32 v13, vcc, s4, v13
	v_addc_co_u32_e32 v14, vcc, v20, v14, vcc
	flat_load_dwordx2 v[19:20], v[13:14]
	v_add_u32_e32 v17, s13, v18
	v_ashrrev_i32_e32 v18, 31, v17
	v_lshlrev_b64 v[15:16], 3, v[17:18]
	s_waitcnt vmcnt(0) lgkmcnt(0)
	buffer_store_dword v20, off, s[0:3], 0 offset:52
	buffer_store_dword v19, off, s[0:3], 0 offset:48
	v_add_co_u32_e32 v15, vcc, s4, v15
	v_addc_co_u32_e32 v16, vcc, v21, v16, vcc
	flat_load_dwordx2 v[19:20], v[15:16]
	v_add_u32_e32 v21, s13, v17
	v_ashrrev_i32_e32 v22, 31, v21
	v_lshlrev_b64 v[17:18], 3, v[21:22]
	v_add_u32_e32 v24, s13, v21
	v_add_co_u32_e32 v17, vcc, s4, v17
	v_addc_co_u32_e32 v18, vcc, v23, v18, vcc
	v_ashrrev_i32_e32 v25, 31, v24
	s_waitcnt vmcnt(0) lgkmcnt(0)
	buffer_store_dword v20, off, s[0:3], 0 offset:60
	buffer_store_dword v19, off, s[0:3], 0 offset:56
	;; [unrolled: 27-line block ×7, first 2 shown]
	flat_load_dwordx2 v[52:53], v[47:48]
	v_lshlrev_b64 v[49:50], 3, v[54:55]
	s_waitcnt vmcnt(0) lgkmcnt(0)
	buffer_store_dword v53, off, s[0:3], 0 offset:188
	buffer_store_dword v52, off, s[0:3], 0 offset:184
	v_add_co_u32_e32 v49, vcc, s4, v49
	v_addc_co_u32_e32 v50, vcc, v56, v50, vcc
	flat_load_dwordx2 v[55:56], v[49:50]
	v_add_u32_e32 v53, s13, v54
	v_ashrrev_i32_e32 v54, 31, v53
	v_lshlrev_b64 v[51:52], 3, v[53:54]
	s_waitcnt vmcnt(0) lgkmcnt(0)
	buffer_store_dword v56, off, s[0:3], 0 offset:196
	buffer_store_dword v55, off, s[0:3], 0 offset:192
	v_add_co_u32_e32 v51, vcc, s4, v51
	v_addc_co_u32_e32 v52, vcc, v57, v52, vcc
	flat_load_dwordx2 v[55:56], v[51:52]
	v_add_u32_e32 v57, s13, v53
	v_ashrrev_i32_e32 v58, 31, v57
	v_lshlrev_b64 v[53:54], 3, v[57:58]
	v_add_u32_e32 v60, s13, v57
	v_add_co_u32_e32 v53, vcc, s4, v53
	v_addc_co_u32_e32 v54, vcc, v59, v54, vcc
	s_waitcnt vmcnt(0) lgkmcnt(0)
	buffer_store_dword v56, off, s[0:3], 0 offset:204
	buffer_store_dword v55, off, s[0:3], 0 offset:200
	flat_load_dwordx2 v[58:59], v[53:54]
	v_ashrrev_i32_e32 v61, 31, v60
	v_lshlrev_b64 v[55:56], 3, v[60:61]
	s_waitcnt vmcnt(0) lgkmcnt(0)
	buffer_store_dword v59, off, s[0:3], 0 offset:212
	buffer_store_dword v58, off, s[0:3], 0 offset:208
	v_add_co_u32_e32 v55, vcc, s4, v55
	v_addc_co_u32_e32 v56, vcc, v62, v56, vcc
	flat_load_dwordx2 v[61:62], v[55:56]
	v_add_u32_e32 v59, s13, v60
	v_ashrrev_i32_e32 v60, 31, v59
	v_lshlrev_b64 v[57:58], 3, v[59:60]
	s_waitcnt vmcnt(0) lgkmcnt(0)
	buffer_store_dword v62, off, s[0:3], 0 offset:220
	buffer_store_dword v61, off, s[0:3], 0 offset:216
	v_add_co_u32_e32 v57, vcc, s4, v57
	v_addc_co_u32_e32 v58, vcc, v63, v58, vcc
	flat_load_dwordx2 v[61:62], v[57:58]
	v_add_u32_e32 v63, s13, v59
	;; [unrolled: 9-line block ×11, first 2 shown]
	v_ashrrev_i32_e32 v78, 31, v77
	v_lshlrev_b64 v[77:78], 3, v[77:78]
	s_waitcnt vmcnt(0) lgkmcnt(0)
	buffer_store_dword v80, off, s[0:3], 0 offset:300
	buffer_store_dword v79, off, s[0:3], 0 offset:296
	v_add_co_u32_e32 v77, vcc, s4, v77
	v_addc_co_u32_e32 v78, vcc, v82, v78, vcc
	flat_load_dwordx2 v[82:83], v[77:78]
	v_mov_b32_e32 v79, 0
	v_mov_b32_e32 v80, 0xbff00000
	s_waitcnt vmcnt(0) lgkmcnt(0)
	buffer_store_dword v83, off, s[0:3], 0 offset:308
	buffer_store_dword v82, off, s[0:3], 0 offset:304
	s_cbranch_scc1 .LBB102_3
; %bb.2:
	v_mov_b32_e32 v79, 0
	v_lshl_add_u32 v90, v0, 3, v79
	buffer_load_dword v79, v90, s[0:3], 0 offen
	buffer_load_dword v80, v90, s[0:3], 0 offen offset:4
	s_waitcnt vmcnt(0)
	v_div_scale_f64 v[82:83], s[4:5], v[79:80], v[79:80], 1.0
	v_rcp_f64_e32 v[84:85], v[82:83]
	v_fma_f64 v[86:87], -v[82:83], v[84:85], 1.0
	v_fma_f64 v[84:85], v[84:85], v[86:87], v[84:85]
	v_div_scale_f64 v[86:87], vcc, 1.0, v[79:80], 1.0
	v_fma_f64 v[88:89], -v[82:83], v[84:85], 1.0
	v_fma_f64 v[84:85], v[84:85], v[88:89], v[84:85]
	v_mul_f64 v[88:89], v[86:87], v[84:85]
	v_fma_f64 v[82:83], -v[82:83], v[88:89], v[86:87]
	v_div_fmas_f64 v[82:83], v[82:83], v[84:85], v[88:89]
	v_div_fixup_f64 v[79:80], v[82:83], v[79:80], 1.0
	buffer_store_dword v79, v90, s[0:3], 0 offen
	buffer_store_dword v80, v90, s[0:3], 0 offen offset:4
	v_xor_b32_e32 v80, 0x80000000, v80
.LBB102_3:
	s_cmpk_eq_i32 s8, 0x79
	v_add_u32_e32 v82, 0x140, v81
	v_mov_b32_e32 v83, v81
	s_mov_b64 s[4:5], -1
	ds_write_b64 v81, v[79:80]
	s_cbranch_scc1 .LBB102_377
; %bb.4:
	buffer_load_dword v79, off, s[0:3], 0 offset:296
	buffer_load_dword v80, off, s[0:3], 0 offset:300
	s_movk_i32 s12, 0x48
	s_movk_i32 s13, 0x50
	;; [unrolled: 1-line block ×28, first 2 shown]
	v_cmp_eq_u32_e64 s[4:5], 38, v0
	s_waitcnt vmcnt(0)
	ds_write_b64 v82, v[79:80]
	s_waitcnt lgkmcnt(0)
	; wave barrier
	s_and_saveexec_b64 s[6:7], s[4:5]
	s_cbranch_execz .LBB102_10
; %bb.5:
	s_and_b64 vcc, exec, s[10:11]
	s_cbranch_vccz .LBB102_7
; %bb.6:
	buffer_load_dword v79, v83, s[0:3], 0 offen
	buffer_load_dword v80, v83, s[0:3], 0 offen offset:4
	ds_read_b64 v[84:85], v82
	s_waitcnt vmcnt(0) lgkmcnt(0)
	v_mul_f64 v[79:80], v[79:80], v[84:85]
	s_cbranch_execz .LBB102_8
	s_branch .LBB102_9
.LBB102_7:
                                        ; implicit-def: $vgpr79_vgpr80
.LBB102_8:
	ds_read_b64 v[79:80], v82
.LBB102_9:
	v_mov_b32_e32 v84, 0
	ds_read_b64 v[84:85], v84 offset:296
	s_waitcnt lgkmcnt(0)
	v_mul_f64 v[79:80], v[79:80], v[84:85]
	buffer_store_dword v80, off, s[0:3], 0 offset:300
	buffer_store_dword v79, off, s[0:3], 0 offset:296
.LBB102_10:
	s_or_b64 exec, exec, s[6:7]
	buffer_load_dword v79, off, s[0:3], 0 offset:288
	buffer_load_dword v80, off, s[0:3], 0 offset:292
	s_or_b32 s14, 0, 8
	s_mov_b32 s15, 16
	s_mov_b32 s16, 24
	;; [unrolled: 1-line block ×9, first 2 shown]
	v_cmp_lt_u32_e64 s[6:7], 36, v0
	s_waitcnt vmcnt(0)
	ds_write_b64 v82, v[79:80]
	s_waitcnt lgkmcnt(0)
	; wave barrier
	s_and_saveexec_b64 s[8:9], s[6:7]
	s_cbranch_execz .LBB102_16
; %bb.11:
	s_andn2_b64 vcc, exec, s[10:11]
	s_cbranch_vccnz .LBB102_13
; %bb.12:
	buffer_load_dword v79, v83, s[0:3], 0 offen
	buffer_load_dword v80, v83, s[0:3], 0 offen offset:4
	ds_read_b64 v[84:85], v82
	s_waitcnt vmcnt(0) lgkmcnt(0)
	v_mul_f64 v[79:80], v[79:80], v[84:85]
	s_cbranch_execz .LBB102_14
	s_branch .LBB102_15
.LBB102_13:
                                        ; implicit-def: $vgpr79_vgpr80
.LBB102_14:
	ds_read_b64 v[79:80], v82
.LBB102_15:
	buffer_load_dword v88, off, s[0:3], 0 offset:296
	buffer_load_dword v89, off, s[0:3], 0 offset:300
	v_mov_b32_e32 v84, 0
	ds_read2_b64 v[84:87], v84 offset0:36 offset1:77
	s_waitcnt vmcnt(0) lgkmcnt(0)
	v_fma_f64 v[86:87], v[88:89], v[86:87], v[79:80]
	v_cndmask_b32_e64 v80, v80, v87, s[4:5]
	v_cndmask_b32_e64 v79, v79, v86, s[4:5]
	v_mul_f64 v[79:80], v[79:80], v[84:85]
	buffer_store_dword v80, off, s[0:3], 0 offset:292
	buffer_store_dword v79, off, s[0:3], 0 offset:288
.LBB102_16:
	s_or_b64 exec, exec, s[8:9]
	buffer_load_dword v79, off, s[0:3], 0 offset:280
	buffer_load_dword v80, off, s[0:3], 0 offset:284
	v_cmp_lt_u32_e64 s[4:5], 35, v0
	s_waitcnt vmcnt(0)
	ds_write_b64 v82, v[79:80]
	s_waitcnt lgkmcnt(0)
	; wave barrier
	s_and_saveexec_b64 s[8:9], s[4:5]
	s_cbranch_execz .LBB102_26
; %bb.17:
	s_andn2_b64 vcc, exec, s[10:11]
	s_cbranch_vccnz .LBB102_19
; %bb.18:
	buffer_load_dword v79, v83, s[0:3], 0 offen
	buffer_load_dword v80, v83, s[0:3], 0 offen offset:4
	ds_read_b64 v[84:85], v82
	s_waitcnt vmcnt(0) lgkmcnt(0)
	v_mul_f64 v[79:80], v[79:80], v[84:85]
	s_cbranch_execz .LBB102_20
	s_branch .LBB102_21
.LBB102_19:
                                        ; implicit-def: $vgpr79_vgpr80
.LBB102_20:
	ds_read_b64 v[79:80], v82
.LBB102_21:
	s_and_saveexec_b64 s[12:13], s[6:7]
	s_cbranch_execz .LBB102_25
; %bb.22:
	v_subrev_u32_e32 v84, 36, v0
	s_movk_i32 s51, 0x260
	s_mov_b64 s[6:7], 0
.LBB102_23:                             ; =>This Inner Loop Header: Depth=1
	v_mov_b32_e32 v87, s50
	buffer_load_dword v85, v87, s[0:3], 0 offen
	buffer_load_dword v86, v87, s[0:3], 0 offen offset:4
	v_mov_b32_e32 v87, s51
	ds_read_b64 v[87:88], v87
	v_add_u32_e32 v84, -1, v84
	s_add_i32 s51, s51, 8
	s_add_i32 s50, s50, 8
	v_cmp_eq_u32_e32 vcc, 0, v84
	s_or_b64 s[6:7], vcc, s[6:7]
	s_waitcnt vmcnt(0) lgkmcnt(0)
	v_fma_f64 v[79:80], v[85:86], v[87:88], v[79:80]
	s_andn2_b64 exec, exec, s[6:7]
	s_cbranch_execnz .LBB102_23
; %bb.24:
	s_or_b64 exec, exec, s[6:7]
.LBB102_25:
	s_or_b64 exec, exec, s[12:13]
	v_mov_b32_e32 v84, 0
	ds_read_b64 v[84:85], v84 offset:280
	s_waitcnt lgkmcnt(0)
	v_mul_f64 v[79:80], v[79:80], v[84:85]
	buffer_store_dword v80, off, s[0:3], 0 offset:284
	buffer_store_dword v79, off, s[0:3], 0 offset:280
.LBB102_26:
	s_or_b64 exec, exec, s[8:9]
	buffer_load_dword v79, off, s[0:3], 0 offset:272
	buffer_load_dword v80, off, s[0:3], 0 offset:276
	v_cmp_lt_u32_e64 s[6:7], 34, v0
	s_waitcnt vmcnt(0)
	ds_write_b64 v82, v[79:80]
	s_waitcnt lgkmcnt(0)
	; wave barrier
	s_and_saveexec_b64 s[8:9], s[6:7]
	s_cbranch_execz .LBB102_36
; %bb.27:
	s_andn2_b64 vcc, exec, s[10:11]
	s_cbranch_vccnz .LBB102_29
; %bb.28:
	buffer_load_dword v79, v83, s[0:3], 0 offen
	buffer_load_dword v80, v83, s[0:3], 0 offen offset:4
	ds_read_b64 v[84:85], v82
	s_waitcnt vmcnt(0) lgkmcnt(0)
	v_mul_f64 v[79:80], v[79:80], v[84:85]
	s_cbranch_execz .LBB102_30
	s_branch .LBB102_31
.LBB102_29:
                                        ; implicit-def: $vgpr79_vgpr80
.LBB102_30:
	ds_read_b64 v[79:80], v82
.LBB102_31:
	s_and_saveexec_b64 s[12:13], s[4:5]
	s_cbranch_execz .LBB102_35
; %bb.32:
	v_subrev_u32_e32 v84, 35, v0
	s_movk_i32 s50, 0x258
	s_mov_b64 s[4:5], 0
.LBB102_33:                             ; =>This Inner Loop Header: Depth=1
	v_mov_b32_e32 v87, s49
	buffer_load_dword v85, v87, s[0:3], 0 offen
	buffer_load_dword v86, v87, s[0:3], 0 offen offset:4
	v_mov_b32_e32 v87, s50
	ds_read_b64 v[87:88], v87
	v_add_u32_e32 v84, -1, v84
	s_add_i32 s50, s50, 8
	s_add_i32 s49, s49, 8
	v_cmp_eq_u32_e32 vcc, 0, v84
	s_or_b64 s[4:5], vcc, s[4:5]
	s_waitcnt vmcnt(0) lgkmcnt(0)
	v_fma_f64 v[79:80], v[85:86], v[87:88], v[79:80]
	s_andn2_b64 exec, exec, s[4:5]
	s_cbranch_execnz .LBB102_33
; %bb.34:
	s_or_b64 exec, exec, s[4:5]
.LBB102_35:
	s_or_b64 exec, exec, s[12:13]
	v_mov_b32_e32 v84, 0
	ds_read_b64 v[84:85], v84 offset:272
	s_waitcnt lgkmcnt(0)
	v_mul_f64 v[79:80], v[79:80], v[84:85]
	buffer_store_dword v80, off, s[0:3], 0 offset:276
	buffer_store_dword v79, off, s[0:3], 0 offset:272
.LBB102_36:
	;; [unrolled: 58-line block ×8, first 2 shown]
	s_or_b64 exec, exec, s[8:9]
	buffer_load_dword v79, off, s[0:3], 0 offset:216
	buffer_load_dword v80, off, s[0:3], 0 offset:220
	v_cmp_lt_u32_e64 s[4:5], 27, v0
	s_waitcnt vmcnt(0)
	ds_write_b64 v82, v[79:80]
	s_waitcnt lgkmcnt(0)
	; wave barrier
	s_and_saveexec_b64 s[8:9], s[4:5]
	s_cbranch_execz .LBB102_106
; %bb.97:
	s_andn2_b64 vcc, exec, s[10:11]
	s_cbranch_vccnz .LBB102_99
; %bb.98:
	buffer_load_dword v79, v83, s[0:3], 0 offen
	buffer_load_dword v80, v83, s[0:3], 0 offen offset:4
	ds_read_b64 v[84:85], v82
	s_waitcnt vmcnt(0) lgkmcnt(0)
	v_mul_f64 v[79:80], v[79:80], v[84:85]
	s_cbranch_execz .LBB102_100
	s_branch .LBB102_101
.LBB102_99:
                                        ; implicit-def: $vgpr79_vgpr80
.LBB102_100:
	ds_read_b64 v[79:80], v82
.LBB102_101:
	s_and_saveexec_b64 s[12:13], s[6:7]
	s_cbranch_execz .LBB102_105
; %bb.102:
	v_subrev_u32_e32 v84, 28, v0
	s_movk_i32 s43, 0x220
	s_mov_b64 s[6:7], 0
.LBB102_103:                            ; =>This Inner Loop Header: Depth=1
	v_mov_b32_e32 v87, s42
	buffer_load_dword v85, v87, s[0:3], 0 offen
	buffer_load_dword v86, v87, s[0:3], 0 offen offset:4
	v_mov_b32_e32 v87, s43
	ds_read_b64 v[87:88], v87
	v_add_u32_e32 v84, -1, v84
	s_add_i32 s43, s43, 8
	s_add_i32 s42, s42, 8
	v_cmp_eq_u32_e32 vcc, 0, v84
	s_or_b64 s[6:7], vcc, s[6:7]
	s_waitcnt vmcnt(0) lgkmcnt(0)
	v_fma_f64 v[79:80], v[85:86], v[87:88], v[79:80]
	s_andn2_b64 exec, exec, s[6:7]
	s_cbranch_execnz .LBB102_103
; %bb.104:
	s_or_b64 exec, exec, s[6:7]
.LBB102_105:
	s_or_b64 exec, exec, s[12:13]
	v_mov_b32_e32 v84, 0
	ds_read_b64 v[84:85], v84 offset:216
	s_waitcnt lgkmcnt(0)
	v_mul_f64 v[79:80], v[79:80], v[84:85]
	buffer_store_dword v80, off, s[0:3], 0 offset:220
	buffer_store_dword v79, off, s[0:3], 0 offset:216
.LBB102_106:
	s_or_b64 exec, exec, s[8:9]
	buffer_load_dword v79, off, s[0:3], 0 offset:208
	buffer_load_dword v80, off, s[0:3], 0 offset:212
	v_cmp_lt_u32_e64 s[6:7], 26, v0
	s_waitcnt vmcnt(0)
	ds_write_b64 v82, v[79:80]
	s_waitcnt lgkmcnt(0)
	; wave barrier
	s_and_saveexec_b64 s[8:9], s[6:7]
	s_cbranch_execz .LBB102_116
; %bb.107:
	s_andn2_b64 vcc, exec, s[10:11]
	s_cbranch_vccnz .LBB102_109
; %bb.108:
	buffer_load_dword v79, v83, s[0:3], 0 offen
	buffer_load_dword v80, v83, s[0:3], 0 offen offset:4
	ds_read_b64 v[84:85], v82
	s_waitcnt vmcnt(0) lgkmcnt(0)
	v_mul_f64 v[79:80], v[79:80], v[84:85]
	s_cbranch_execz .LBB102_110
	s_branch .LBB102_111
.LBB102_109:
                                        ; implicit-def: $vgpr79_vgpr80
.LBB102_110:
	ds_read_b64 v[79:80], v82
.LBB102_111:
	s_and_saveexec_b64 s[12:13], s[4:5]
	s_cbranch_execz .LBB102_115
; %bb.112:
	v_subrev_u32_e32 v84, 27, v0
	s_movk_i32 s42, 0x218
	s_mov_b64 s[4:5], 0
.LBB102_113:                            ; =>This Inner Loop Header: Depth=1
	v_mov_b32_e32 v87, s41
	buffer_load_dword v85, v87, s[0:3], 0 offen
	buffer_load_dword v86, v87, s[0:3], 0 offen offset:4
	v_mov_b32_e32 v87, s42
	ds_read_b64 v[87:88], v87
	v_add_u32_e32 v84, -1, v84
	s_add_i32 s42, s42, 8
	s_add_i32 s41, s41, 8
	v_cmp_eq_u32_e32 vcc, 0, v84
	s_or_b64 s[4:5], vcc, s[4:5]
	s_waitcnt vmcnt(0) lgkmcnt(0)
	v_fma_f64 v[79:80], v[85:86], v[87:88], v[79:80]
	s_andn2_b64 exec, exec, s[4:5]
	s_cbranch_execnz .LBB102_113
; %bb.114:
	s_or_b64 exec, exec, s[4:5]
.LBB102_115:
	s_or_b64 exec, exec, s[12:13]
	v_mov_b32_e32 v84, 0
	ds_read_b64 v[84:85], v84 offset:208
	s_waitcnt lgkmcnt(0)
	v_mul_f64 v[79:80], v[79:80], v[84:85]
	buffer_store_dword v80, off, s[0:3], 0 offset:212
	buffer_store_dword v79, off, s[0:3], 0 offset:208
.LBB102_116:
	s_or_b64 exec, exec, s[8:9]
	buffer_load_dword v79, off, s[0:3], 0 offset:200
	buffer_load_dword v80, off, s[0:3], 0 offset:204
	v_cmp_lt_u32_e64 s[4:5], 25, v0
	s_waitcnt vmcnt(0)
	ds_write_b64 v82, v[79:80]
	s_waitcnt lgkmcnt(0)
	; wave barrier
	s_and_saveexec_b64 s[8:9], s[4:5]
	s_cbranch_execz .LBB102_126
; %bb.117:
	s_andn2_b64 vcc, exec, s[10:11]
	s_cbranch_vccnz .LBB102_119
; %bb.118:
	buffer_load_dword v79, v83, s[0:3], 0 offen
	buffer_load_dword v80, v83, s[0:3], 0 offen offset:4
	ds_read_b64 v[84:85], v82
	s_waitcnt vmcnt(0) lgkmcnt(0)
	v_mul_f64 v[79:80], v[79:80], v[84:85]
	s_cbranch_execz .LBB102_120
	s_branch .LBB102_121
.LBB102_119:
                                        ; implicit-def: $vgpr79_vgpr80
.LBB102_120:
	ds_read_b64 v[79:80], v82
.LBB102_121:
	s_and_saveexec_b64 s[12:13], s[6:7]
	s_cbranch_execz .LBB102_125
; %bb.122:
	v_subrev_u32_e32 v84, 26, v0
	s_movk_i32 s41, 0x210
	s_mov_b64 s[6:7], 0
.LBB102_123:                            ; =>This Inner Loop Header: Depth=1
	v_mov_b32_e32 v87, s40
	buffer_load_dword v85, v87, s[0:3], 0 offen
	buffer_load_dword v86, v87, s[0:3], 0 offen offset:4
	v_mov_b32_e32 v87, s41
	ds_read_b64 v[87:88], v87
	v_add_u32_e32 v84, -1, v84
	s_add_i32 s41, s41, 8
	s_add_i32 s40, s40, 8
	v_cmp_eq_u32_e32 vcc, 0, v84
	s_or_b64 s[6:7], vcc, s[6:7]
	s_waitcnt vmcnt(0) lgkmcnt(0)
	v_fma_f64 v[79:80], v[85:86], v[87:88], v[79:80]
	s_andn2_b64 exec, exec, s[6:7]
	s_cbranch_execnz .LBB102_123
; %bb.124:
	s_or_b64 exec, exec, s[6:7]
.LBB102_125:
	s_or_b64 exec, exec, s[12:13]
	v_mov_b32_e32 v84, 0
	ds_read_b64 v[84:85], v84 offset:200
	s_waitcnt lgkmcnt(0)
	v_mul_f64 v[79:80], v[79:80], v[84:85]
	buffer_store_dword v80, off, s[0:3], 0 offset:204
	buffer_store_dword v79, off, s[0:3], 0 offset:200
.LBB102_126:
	s_or_b64 exec, exec, s[8:9]
	buffer_load_dword v79, off, s[0:3], 0 offset:192
	buffer_load_dword v80, off, s[0:3], 0 offset:196
	v_cmp_lt_u32_e64 s[6:7], 24, v0
	s_waitcnt vmcnt(0)
	ds_write_b64 v82, v[79:80]
	s_waitcnt lgkmcnt(0)
	; wave barrier
	s_and_saveexec_b64 s[8:9], s[6:7]
	s_cbranch_execz .LBB102_136
; %bb.127:
	s_andn2_b64 vcc, exec, s[10:11]
	s_cbranch_vccnz .LBB102_129
; %bb.128:
	buffer_load_dword v79, v83, s[0:3], 0 offen
	buffer_load_dword v80, v83, s[0:3], 0 offen offset:4
	ds_read_b64 v[84:85], v82
	s_waitcnt vmcnt(0) lgkmcnt(0)
	v_mul_f64 v[79:80], v[79:80], v[84:85]
	s_cbranch_execz .LBB102_130
	s_branch .LBB102_131
.LBB102_129:
                                        ; implicit-def: $vgpr79_vgpr80
.LBB102_130:
	ds_read_b64 v[79:80], v82
.LBB102_131:
	s_and_saveexec_b64 s[12:13], s[4:5]
	s_cbranch_execz .LBB102_135
; %bb.132:
	v_subrev_u32_e32 v84, 25, v0
	s_movk_i32 s40, 0x208
	s_mov_b64 s[4:5], 0
.LBB102_133:                            ; =>This Inner Loop Header: Depth=1
	v_mov_b32_e32 v87, s39
	buffer_load_dword v85, v87, s[0:3], 0 offen
	buffer_load_dword v86, v87, s[0:3], 0 offen offset:4
	v_mov_b32_e32 v87, s40
	ds_read_b64 v[87:88], v87
	v_add_u32_e32 v84, -1, v84
	s_add_i32 s40, s40, 8
	s_add_i32 s39, s39, 8
	v_cmp_eq_u32_e32 vcc, 0, v84
	s_or_b64 s[4:5], vcc, s[4:5]
	s_waitcnt vmcnt(0) lgkmcnt(0)
	v_fma_f64 v[79:80], v[85:86], v[87:88], v[79:80]
	s_andn2_b64 exec, exec, s[4:5]
	s_cbranch_execnz .LBB102_133
; %bb.134:
	s_or_b64 exec, exec, s[4:5]
.LBB102_135:
	s_or_b64 exec, exec, s[12:13]
	v_mov_b32_e32 v84, 0
	ds_read_b64 v[84:85], v84 offset:192
	s_waitcnt lgkmcnt(0)
	v_mul_f64 v[79:80], v[79:80], v[84:85]
	buffer_store_dword v80, off, s[0:3], 0 offset:196
	buffer_store_dword v79, off, s[0:3], 0 offset:192
.LBB102_136:
	s_or_b64 exec, exec, s[8:9]
	buffer_load_dword v79, off, s[0:3], 0 offset:184
	buffer_load_dword v80, off, s[0:3], 0 offset:188
	v_cmp_lt_u32_e64 s[4:5], 23, v0
	s_waitcnt vmcnt(0)
	ds_write_b64 v82, v[79:80]
	s_waitcnt lgkmcnt(0)
	; wave barrier
	s_and_saveexec_b64 s[8:9], s[4:5]
	s_cbranch_execz .LBB102_146
; %bb.137:
	s_andn2_b64 vcc, exec, s[10:11]
	s_cbranch_vccnz .LBB102_139
; %bb.138:
	buffer_load_dword v79, v83, s[0:3], 0 offen
	buffer_load_dword v80, v83, s[0:3], 0 offen offset:4
	ds_read_b64 v[84:85], v82
	s_waitcnt vmcnt(0) lgkmcnt(0)
	v_mul_f64 v[79:80], v[79:80], v[84:85]
	s_cbranch_execz .LBB102_140
	s_branch .LBB102_141
.LBB102_139:
                                        ; implicit-def: $vgpr79_vgpr80
.LBB102_140:
	ds_read_b64 v[79:80], v82
.LBB102_141:
	s_and_saveexec_b64 s[12:13], s[6:7]
	s_cbranch_execz .LBB102_145
; %bb.142:
	v_subrev_u32_e32 v84, 24, v0
	s_movk_i32 s39, 0x200
	s_mov_b64 s[6:7], 0
.LBB102_143:                            ; =>This Inner Loop Header: Depth=1
	v_mov_b32_e32 v87, s38
	buffer_load_dword v85, v87, s[0:3], 0 offen
	buffer_load_dword v86, v87, s[0:3], 0 offen offset:4
	v_mov_b32_e32 v87, s39
	ds_read_b64 v[87:88], v87
	v_add_u32_e32 v84, -1, v84
	s_add_i32 s39, s39, 8
	s_add_i32 s38, s38, 8
	v_cmp_eq_u32_e32 vcc, 0, v84
	s_or_b64 s[6:7], vcc, s[6:7]
	s_waitcnt vmcnt(0) lgkmcnt(0)
	v_fma_f64 v[79:80], v[85:86], v[87:88], v[79:80]
	s_andn2_b64 exec, exec, s[6:7]
	s_cbranch_execnz .LBB102_143
; %bb.144:
	s_or_b64 exec, exec, s[6:7]
.LBB102_145:
	s_or_b64 exec, exec, s[12:13]
	v_mov_b32_e32 v84, 0
	ds_read_b64 v[84:85], v84 offset:184
	s_waitcnt lgkmcnt(0)
	v_mul_f64 v[79:80], v[79:80], v[84:85]
	buffer_store_dword v80, off, s[0:3], 0 offset:188
	buffer_store_dword v79, off, s[0:3], 0 offset:184
.LBB102_146:
	s_or_b64 exec, exec, s[8:9]
	buffer_load_dword v79, off, s[0:3], 0 offset:176
	buffer_load_dword v80, off, s[0:3], 0 offset:180
	v_cmp_lt_u32_e64 s[6:7], 22, v0
	s_waitcnt vmcnt(0)
	ds_write_b64 v82, v[79:80]
	s_waitcnt lgkmcnt(0)
	; wave barrier
	s_and_saveexec_b64 s[8:9], s[6:7]
	s_cbranch_execz .LBB102_156
; %bb.147:
	s_andn2_b64 vcc, exec, s[10:11]
	s_cbranch_vccnz .LBB102_149
; %bb.148:
	buffer_load_dword v79, v83, s[0:3], 0 offen
	buffer_load_dword v80, v83, s[0:3], 0 offen offset:4
	ds_read_b64 v[84:85], v82
	s_waitcnt vmcnt(0) lgkmcnt(0)
	v_mul_f64 v[79:80], v[79:80], v[84:85]
	s_cbranch_execz .LBB102_150
	s_branch .LBB102_151
.LBB102_149:
                                        ; implicit-def: $vgpr79_vgpr80
.LBB102_150:
	ds_read_b64 v[79:80], v82
.LBB102_151:
	s_and_saveexec_b64 s[12:13], s[4:5]
	s_cbranch_execz .LBB102_155
; %bb.152:
	v_subrev_u32_e32 v84, 23, v0
	s_movk_i32 s38, 0x1f8
	s_mov_b64 s[4:5], 0
.LBB102_153:                            ; =>This Inner Loop Header: Depth=1
	v_mov_b32_e32 v87, s37
	buffer_load_dword v85, v87, s[0:3], 0 offen
	buffer_load_dword v86, v87, s[0:3], 0 offen offset:4
	v_mov_b32_e32 v87, s38
	ds_read_b64 v[87:88], v87
	v_add_u32_e32 v84, -1, v84
	s_add_i32 s38, s38, 8
	s_add_i32 s37, s37, 8
	v_cmp_eq_u32_e32 vcc, 0, v84
	s_or_b64 s[4:5], vcc, s[4:5]
	s_waitcnt vmcnt(0) lgkmcnt(0)
	v_fma_f64 v[79:80], v[85:86], v[87:88], v[79:80]
	s_andn2_b64 exec, exec, s[4:5]
	s_cbranch_execnz .LBB102_153
; %bb.154:
	s_or_b64 exec, exec, s[4:5]
.LBB102_155:
	s_or_b64 exec, exec, s[12:13]
	v_mov_b32_e32 v84, 0
	ds_read_b64 v[84:85], v84 offset:176
	s_waitcnt lgkmcnt(0)
	v_mul_f64 v[79:80], v[79:80], v[84:85]
	buffer_store_dword v80, off, s[0:3], 0 offset:180
	buffer_store_dword v79, off, s[0:3], 0 offset:176
.LBB102_156:
	s_or_b64 exec, exec, s[8:9]
	buffer_load_dword v79, off, s[0:3], 0 offset:168
	buffer_load_dword v80, off, s[0:3], 0 offset:172
	v_cmp_lt_u32_e64 s[4:5], 21, v0
	s_waitcnt vmcnt(0)
	ds_write_b64 v82, v[79:80]
	s_waitcnt lgkmcnt(0)
	; wave barrier
	s_and_saveexec_b64 s[8:9], s[4:5]
	s_cbranch_execz .LBB102_166
; %bb.157:
	s_andn2_b64 vcc, exec, s[10:11]
	s_cbranch_vccnz .LBB102_159
; %bb.158:
	buffer_load_dword v79, v83, s[0:3], 0 offen
	buffer_load_dword v80, v83, s[0:3], 0 offen offset:4
	ds_read_b64 v[84:85], v82
	s_waitcnt vmcnt(0) lgkmcnt(0)
	v_mul_f64 v[79:80], v[79:80], v[84:85]
	s_cbranch_execz .LBB102_160
	s_branch .LBB102_161
.LBB102_159:
                                        ; implicit-def: $vgpr79_vgpr80
.LBB102_160:
	ds_read_b64 v[79:80], v82
.LBB102_161:
	s_and_saveexec_b64 s[12:13], s[6:7]
	s_cbranch_execz .LBB102_165
; %bb.162:
	v_subrev_u32_e32 v84, 22, v0
	s_movk_i32 s37, 0x1f0
	s_mov_b64 s[6:7], 0
.LBB102_163:                            ; =>This Inner Loop Header: Depth=1
	v_mov_b32_e32 v87, s36
	buffer_load_dword v85, v87, s[0:3], 0 offen
	buffer_load_dword v86, v87, s[0:3], 0 offen offset:4
	v_mov_b32_e32 v87, s37
	ds_read_b64 v[87:88], v87
	v_add_u32_e32 v84, -1, v84
	s_add_i32 s37, s37, 8
	s_add_i32 s36, s36, 8
	v_cmp_eq_u32_e32 vcc, 0, v84
	s_or_b64 s[6:7], vcc, s[6:7]
	s_waitcnt vmcnt(0) lgkmcnt(0)
	v_fma_f64 v[79:80], v[85:86], v[87:88], v[79:80]
	s_andn2_b64 exec, exec, s[6:7]
	s_cbranch_execnz .LBB102_163
; %bb.164:
	s_or_b64 exec, exec, s[6:7]
.LBB102_165:
	s_or_b64 exec, exec, s[12:13]
	v_mov_b32_e32 v84, 0
	ds_read_b64 v[84:85], v84 offset:168
	s_waitcnt lgkmcnt(0)
	v_mul_f64 v[79:80], v[79:80], v[84:85]
	buffer_store_dword v80, off, s[0:3], 0 offset:172
	buffer_store_dword v79, off, s[0:3], 0 offset:168
.LBB102_166:
	s_or_b64 exec, exec, s[8:9]
	buffer_load_dword v79, off, s[0:3], 0 offset:160
	buffer_load_dword v80, off, s[0:3], 0 offset:164
	v_cmp_lt_u32_e64 s[6:7], 20, v0
	s_waitcnt vmcnt(0)
	ds_write_b64 v82, v[79:80]
	s_waitcnt lgkmcnt(0)
	; wave barrier
	s_and_saveexec_b64 s[8:9], s[6:7]
	s_cbranch_execz .LBB102_176
; %bb.167:
	s_andn2_b64 vcc, exec, s[10:11]
	s_cbranch_vccnz .LBB102_169
; %bb.168:
	buffer_load_dword v79, v83, s[0:3], 0 offen
	buffer_load_dword v80, v83, s[0:3], 0 offen offset:4
	ds_read_b64 v[84:85], v82
	s_waitcnt vmcnt(0) lgkmcnt(0)
	v_mul_f64 v[79:80], v[79:80], v[84:85]
	s_cbranch_execz .LBB102_170
	s_branch .LBB102_171
.LBB102_169:
                                        ; implicit-def: $vgpr79_vgpr80
.LBB102_170:
	ds_read_b64 v[79:80], v82
.LBB102_171:
	s_and_saveexec_b64 s[12:13], s[4:5]
	s_cbranch_execz .LBB102_175
; %bb.172:
	v_subrev_u32_e32 v84, 21, v0
	s_movk_i32 s36, 0x1e8
	s_mov_b64 s[4:5], 0
.LBB102_173:                            ; =>This Inner Loop Header: Depth=1
	v_mov_b32_e32 v87, s35
	buffer_load_dword v85, v87, s[0:3], 0 offen
	buffer_load_dword v86, v87, s[0:3], 0 offen offset:4
	v_mov_b32_e32 v87, s36
	ds_read_b64 v[87:88], v87
	v_add_u32_e32 v84, -1, v84
	s_add_i32 s36, s36, 8
	s_add_i32 s35, s35, 8
	v_cmp_eq_u32_e32 vcc, 0, v84
	s_or_b64 s[4:5], vcc, s[4:5]
	s_waitcnt vmcnt(0) lgkmcnt(0)
	v_fma_f64 v[79:80], v[85:86], v[87:88], v[79:80]
	s_andn2_b64 exec, exec, s[4:5]
	s_cbranch_execnz .LBB102_173
; %bb.174:
	s_or_b64 exec, exec, s[4:5]
.LBB102_175:
	s_or_b64 exec, exec, s[12:13]
	v_mov_b32_e32 v84, 0
	ds_read_b64 v[84:85], v84 offset:160
	s_waitcnt lgkmcnt(0)
	v_mul_f64 v[79:80], v[79:80], v[84:85]
	buffer_store_dword v80, off, s[0:3], 0 offset:164
	buffer_store_dword v79, off, s[0:3], 0 offset:160
.LBB102_176:
	s_or_b64 exec, exec, s[8:9]
	buffer_load_dword v79, off, s[0:3], 0 offset:152
	buffer_load_dword v80, off, s[0:3], 0 offset:156
	v_cmp_lt_u32_e64 s[4:5], 19, v0
	s_waitcnt vmcnt(0)
	ds_write_b64 v82, v[79:80]
	s_waitcnt lgkmcnt(0)
	; wave barrier
	s_and_saveexec_b64 s[8:9], s[4:5]
	s_cbranch_execz .LBB102_186
; %bb.177:
	s_andn2_b64 vcc, exec, s[10:11]
	s_cbranch_vccnz .LBB102_179
; %bb.178:
	buffer_load_dword v79, v83, s[0:3], 0 offen
	buffer_load_dword v80, v83, s[0:3], 0 offen offset:4
	ds_read_b64 v[84:85], v82
	s_waitcnt vmcnt(0) lgkmcnt(0)
	v_mul_f64 v[79:80], v[79:80], v[84:85]
	s_cbranch_execz .LBB102_180
	s_branch .LBB102_181
.LBB102_179:
                                        ; implicit-def: $vgpr79_vgpr80
.LBB102_180:
	ds_read_b64 v[79:80], v82
.LBB102_181:
	s_and_saveexec_b64 s[12:13], s[6:7]
	s_cbranch_execz .LBB102_185
; %bb.182:
	v_subrev_u32_e32 v84, 20, v0
	s_movk_i32 s35, 0x1e0
	s_mov_b64 s[6:7], 0
.LBB102_183:                            ; =>This Inner Loop Header: Depth=1
	v_mov_b32_e32 v87, s34
	buffer_load_dword v85, v87, s[0:3], 0 offen
	buffer_load_dword v86, v87, s[0:3], 0 offen offset:4
	v_mov_b32_e32 v87, s35
	ds_read_b64 v[87:88], v87
	v_add_u32_e32 v84, -1, v84
	s_add_i32 s35, s35, 8
	s_add_i32 s34, s34, 8
	v_cmp_eq_u32_e32 vcc, 0, v84
	s_or_b64 s[6:7], vcc, s[6:7]
	s_waitcnt vmcnt(0) lgkmcnt(0)
	v_fma_f64 v[79:80], v[85:86], v[87:88], v[79:80]
	s_andn2_b64 exec, exec, s[6:7]
	s_cbranch_execnz .LBB102_183
; %bb.184:
	s_or_b64 exec, exec, s[6:7]
.LBB102_185:
	s_or_b64 exec, exec, s[12:13]
	v_mov_b32_e32 v84, 0
	ds_read_b64 v[84:85], v84 offset:152
	s_waitcnt lgkmcnt(0)
	v_mul_f64 v[79:80], v[79:80], v[84:85]
	buffer_store_dword v80, off, s[0:3], 0 offset:156
	buffer_store_dword v79, off, s[0:3], 0 offset:152
.LBB102_186:
	s_or_b64 exec, exec, s[8:9]
	buffer_load_dword v79, off, s[0:3], 0 offset:144
	buffer_load_dword v80, off, s[0:3], 0 offset:148
	v_cmp_lt_u32_e64 s[6:7], 18, v0
	s_waitcnt vmcnt(0)
	ds_write_b64 v82, v[79:80]
	s_waitcnt lgkmcnt(0)
	; wave barrier
	s_and_saveexec_b64 s[8:9], s[6:7]
	s_cbranch_execz .LBB102_196
; %bb.187:
	s_andn2_b64 vcc, exec, s[10:11]
	s_cbranch_vccnz .LBB102_189
; %bb.188:
	buffer_load_dword v79, v83, s[0:3], 0 offen
	buffer_load_dword v80, v83, s[0:3], 0 offen offset:4
	ds_read_b64 v[84:85], v82
	s_waitcnt vmcnt(0) lgkmcnt(0)
	v_mul_f64 v[79:80], v[79:80], v[84:85]
	s_cbranch_execz .LBB102_190
	s_branch .LBB102_191
.LBB102_189:
                                        ; implicit-def: $vgpr79_vgpr80
.LBB102_190:
	ds_read_b64 v[79:80], v82
.LBB102_191:
	s_and_saveexec_b64 s[12:13], s[4:5]
	s_cbranch_execz .LBB102_195
; %bb.192:
	v_subrev_u32_e32 v84, 19, v0
	s_movk_i32 s34, 0x1d8
	s_mov_b64 s[4:5], 0
.LBB102_193:                            ; =>This Inner Loop Header: Depth=1
	v_mov_b32_e32 v87, s33
	buffer_load_dword v85, v87, s[0:3], 0 offen
	buffer_load_dword v86, v87, s[0:3], 0 offen offset:4
	v_mov_b32_e32 v87, s34
	ds_read_b64 v[87:88], v87
	v_add_u32_e32 v84, -1, v84
	s_add_i32 s34, s34, 8
	s_add_i32 s33, s33, 8
	v_cmp_eq_u32_e32 vcc, 0, v84
	s_or_b64 s[4:5], vcc, s[4:5]
	s_waitcnt vmcnt(0) lgkmcnt(0)
	v_fma_f64 v[79:80], v[85:86], v[87:88], v[79:80]
	s_andn2_b64 exec, exec, s[4:5]
	s_cbranch_execnz .LBB102_193
; %bb.194:
	s_or_b64 exec, exec, s[4:5]
.LBB102_195:
	s_or_b64 exec, exec, s[12:13]
	v_mov_b32_e32 v84, 0
	ds_read_b64 v[84:85], v84 offset:144
	s_waitcnt lgkmcnt(0)
	v_mul_f64 v[79:80], v[79:80], v[84:85]
	buffer_store_dword v80, off, s[0:3], 0 offset:148
	buffer_store_dword v79, off, s[0:3], 0 offset:144
.LBB102_196:
	s_or_b64 exec, exec, s[8:9]
	buffer_load_dword v79, off, s[0:3], 0 offset:136
	buffer_load_dword v80, off, s[0:3], 0 offset:140
	v_cmp_lt_u32_e64 s[4:5], 17, v0
	s_waitcnt vmcnt(0)
	ds_write_b64 v82, v[79:80]
	s_waitcnt lgkmcnt(0)
	; wave barrier
	s_and_saveexec_b64 s[8:9], s[4:5]
	s_cbranch_execz .LBB102_206
; %bb.197:
	s_andn2_b64 vcc, exec, s[10:11]
	s_cbranch_vccnz .LBB102_199
; %bb.198:
	buffer_load_dword v79, v83, s[0:3], 0 offen
	buffer_load_dword v80, v83, s[0:3], 0 offen offset:4
	ds_read_b64 v[84:85], v82
	s_waitcnt vmcnt(0) lgkmcnt(0)
	v_mul_f64 v[79:80], v[79:80], v[84:85]
	s_cbranch_execz .LBB102_200
	s_branch .LBB102_201
.LBB102_199:
                                        ; implicit-def: $vgpr79_vgpr80
.LBB102_200:
	ds_read_b64 v[79:80], v82
.LBB102_201:
	s_and_saveexec_b64 s[12:13], s[6:7]
	s_cbranch_execz .LBB102_205
; %bb.202:
	v_subrev_u32_e32 v84, 18, v0
	s_movk_i32 s33, 0x1d0
	s_mov_b64 s[6:7], 0
.LBB102_203:                            ; =>This Inner Loop Header: Depth=1
	v_mov_b32_e32 v87, s31
	buffer_load_dword v85, v87, s[0:3], 0 offen
	buffer_load_dword v86, v87, s[0:3], 0 offen offset:4
	v_mov_b32_e32 v87, s33
	ds_read_b64 v[87:88], v87
	v_add_u32_e32 v84, -1, v84
	s_add_i32 s33, s33, 8
	s_add_i32 s31, s31, 8
	v_cmp_eq_u32_e32 vcc, 0, v84
	s_or_b64 s[6:7], vcc, s[6:7]
	s_waitcnt vmcnt(0) lgkmcnt(0)
	v_fma_f64 v[79:80], v[85:86], v[87:88], v[79:80]
	s_andn2_b64 exec, exec, s[6:7]
	s_cbranch_execnz .LBB102_203
; %bb.204:
	s_or_b64 exec, exec, s[6:7]
.LBB102_205:
	s_or_b64 exec, exec, s[12:13]
	v_mov_b32_e32 v84, 0
	ds_read_b64 v[84:85], v84 offset:136
	s_waitcnt lgkmcnt(0)
	v_mul_f64 v[79:80], v[79:80], v[84:85]
	buffer_store_dword v80, off, s[0:3], 0 offset:140
	buffer_store_dword v79, off, s[0:3], 0 offset:136
.LBB102_206:
	s_or_b64 exec, exec, s[8:9]
	buffer_load_dword v79, off, s[0:3], 0 offset:128
	buffer_load_dword v80, off, s[0:3], 0 offset:132
	v_cmp_lt_u32_e64 s[6:7], 16, v0
	s_waitcnt vmcnt(0)
	ds_write_b64 v82, v[79:80]
	s_waitcnt lgkmcnt(0)
	; wave barrier
	s_and_saveexec_b64 s[8:9], s[6:7]
	s_cbranch_execz .LBB102_216
; %bb.207:
	s_andn2_b64 vcc, exec, s[10:11]
	s_cbranch_vccnz .LBB102_209
; %bb.208:
	buffer_load_dword v79, v83, s[0:3], 0 offen
	buffer_load_dword v80, v83, s[0:3], 0 offen offset:4
	ds_read_b64 v[84:85], v82
	s_waitcnt vmcnt(0) lgkmcnt(0)
	v_mul_f64 v[79:80], v[79:80], v[84:85]
	s_cbranch_execz .LBB102_210
	s_branch .LBB102_211
.LBB102_209:
                                        ; implicit-def: $vgpr79_vgpr80
.LBB102_210:
	ds_read_b64 v[79:80], v82
.LBB102_211:
	s_and_saveexec_b64 s[12:13], s[4:5]
	s_cbranch_execz .LBB102_215
; %bb.212:
	v_subrev_u32_e32 v84, 17, v0
	s_movk_i32 s31, 0x1c8
	s_mov_b64 s[4:5], 0
.LBB102_213:                            ; =>This Inner Loop Header: Depth=1
	v_mov_b32_e32 v87, s30
	buffer_load_dword v85, v87, s[0:3], 0 offen
	buffer_load_dword v86, v87, s[0:3], 0 offen offset:4
	v_mov_b32_e32 v87, s31
	ds_read_b64 v[87:88], v87
	v_add_u32_e32 v84, -1, v84
	s_add_i32 s31, s31, 8
	s_add_i32 s30, s30, 8
	v_cmp_eq_u32_e32 vcc, 0, v84
	s_or_b64 s[4:5], vcc, s[4:5]
	s_waitcnt vmcnt(0) lgkmcnt(0)
	v_fma_f64 v[79:80], v[85:86], v[87:88], v[79:80]
	s_andn2_b64 exec, exec, s[4:5]
	s_cbranch_execnz .LBB102_213
; %bb.214:
	s_or_b64 exec, exec, s[4:5]
.LBB102_215:
	s_or_b64 exec, exec, s[12:13]
	v_mov_b32_e32 v84, 0
	ds_read_b64 v[84:85], v84 offset:128
	s_waitcnt lgkmcnt(0)
	v_mul_f64 v[79:80], v[79:80], v[84:85]
	buffer_store_dword v80, off, s[0:3], 0 offset:132
	buffer_store_dword v79, off, s[0:3], 0 offset:128
.LBB102_216:
	s_or_b64 exec, exec, s[8:9]
	buffer_load_dword v79, off, s[0:3], 0 offset:120
	buffer_load_dword v80, off, s[0:3], 0 offset:124
	v_cmp_lt_u32_e64 s[4:5], 15, v0
	s_waitcnt vmcnt(0)
	ds_write_b64 v82, v[79:80]
	s_waitcnt lgkmcnt(0)
	; wave barrier
	s_and_saveexec_b64 s[8:9], s[4:5]
	s_cbranch_execz .LBB102_226
; %bb.217:
	s_andn2_b64 vcc, exec, s[10:11]
	s_cbranch_vccnz .LBB102_219
; %bb.218:
	buffer_load_dword v79, v83, s[0:3], 0 offen
	buffer_load_dword v80, v83, s[0:3], 0 offen offset:4
	ds_read_b64 v[84:85], v82
	s_waitcnt vmcnt(0) lgkmcnt(0)
	v_mul_f64 v[79:80], v[79:80], v[84:85]
	s_cbranch_execz .LBB102_220
	s_branch .LBB102_221
.LBB102_219:
                                        ; implicit-def: $vgpr79_vgpr80
.LBB102_220:
	ds_read_b64 v[79:80], v82
.LBB102_221:
	s_and_saveexec_b64 s[12:13], s[6:7]
	s_cbranch_execz .LBB102_225
; %bb.222:
	v_add_u32_e32 v84, -16, v0
	s_movk_i32 s30, 0x1c0
	s_mov_b64 s[6:7], 0
.LBB102_223:                            ; =>This Inner Loop Header: Depth=1
	v_mov_b32_e32 v87, s29
	buffer_load_dword v85, v87, s[0:3], 0 offen
	buffer_load_dword v86, v87, s[0:3], 0 offen offset:4
	v_mov_b32_e32 v87, s30
	ds_read_b64 v[87:88], v87
	v_add_u32_e32 v84, -1, v84
	s_add_i32 s30, s30, 8
	s_add_i32 s29, s29, 8
	v_cmp_eq_u32_e32 vcc, 0, v84
	s_or_b64 s[6:7], vcc, s[6:7]
	s_waitcnt vmcnt(0) lgkmcnt(0)
	v_fma_f64 v[79:80], v[85:86], v[87:88], v[79:80]
	s_andn2_b64 exec, exec, s[6:7]
	s_cbranch_execnz .LBB102_223
; %bb.224:
	s_or_b64 exec, exec, s[6:7]
.LBB102_225:
	s_or_b64 exec, exec, s[12:13]
	v_mov_b32_e32 v84, 0
	ds_read_b64 v[84:85], v84 offset:120
	s_waitcnt lgkmcnt(0)
	v_mul_f64 v[79:80], v[79:80], v[84:85]
	buffer_store_dword v80, off, s[0:3], 0 offset:124
	buffer_store_dword v79, off, s[0:3], 0 offset:120
.LBB102_226:
	s_or_b64 exec, exec, s[8:9]
	buffer_load_dword v79, off, s[0:3], 0 offset:112
	buffer_load_dword v80, off, s[0:3], 0 offset:116
	v_cmp_lt_u32_e64 s[6:7], 14, v0
	s_waitcnt vmcnt(0)
	ds_write_b64 v82, v[79:80]
	s_waitcnt lgkmcnt(0)
	; wave barrier
	s_and_saveexec_b64 s[8:9], s[6:7]
	s_cbranch_execz .LBB102_236
; %bb.227:
	s_andn2_b64 vcc, exec, s[10:11]
	s_cbranch_vccnz .LBB102_229
; %bb.228:
	buffer_load_dword v79, v83, s[0:3], 0 offen
	buffer_load_dword v80, v83, s[0:3], 0 offen offset:4
	ds_read_b64 v[84:85], v82
	s_waitcnt vmcnt(0) lgkmcnt(0)
	v_mul_f64 v[79:80], v[79:80], v[84:85]
	s_cbranch_execz .LBB102_230
	s_branch .LBB102_231
.LBB102_229:
                                        ; implicit-def: $vgpr79_vgpr80
.LBB102_230:
	ds_read_b64 v[79:80], v82
.LBB102_231:
	s_and_saveexec_b64 s[12:13], s[4:5]
	s_cbranch_execz .LBB102_235
; %bb.232:
	v_add_u32_e32 v84, -15, v0
	s_movk_i32 s29, 0x1b8
	s_mov_b64 s[4:5], 0
.LBB102_233:                            ; =>This Inner Loop Header: Depth=1
	v_mov_b32_e32 v87, s28
	buffer_load_dword v85, v87, s[0:3], 0 offen
	buffer_load_dword v86, v87, s[0:3], 0 offen offset:4
	v_mov_b32_e32 v87, s29
	ds_read_b64 v[87:88], v87
	v_add_u32_e32 v84, -1, v84
	s_add_i32 s29, s29, 8
	s_add_i32 s28, s28, 8
	v_cmp_eq_u32_e32 vcc, 0, v84
	s_or_b64 s[4:5], vcc, s[4:5]
	s_waitcnt vmcnt(0) lgkmcnt(0)
	v_fma_f64 v[79:80], v[85:86], v[87:88], v[79:80]
	s_andn2_b64 exec, exec, s[4:5]
	s_cbranch_execnz .LBB102_233
; %bb.234:
	s_or_b64 exec, exec, s[4:5]
.LBB102_235:
	s_or_b64 exec, exec, s[12:13]
	v_mov_b32_e32 v84, 0
	ds_read_b64 v[84:85], v84 offset:112
	s_waitcnt lgkmcnt(0)
	v_mul_f64 v[79:80], v[79:80], v[84:85]
	buffer_store_dword v80, off, s[0:3], 0 offset:116
	buffer_store_dword v79, off, s[0:3], 0 offset:112
.LBB102_236:
	s_or_b64 exec, exec, s[8:9]
	buffer_load_dword v79, off, s[0:3], 0 offset:104
	buffer_load_dword v80, off, s[0:3], 0 offset:108
	v_cmp_lt_u32_e64 s[4:5], 13, v0
	s_waitcnt vmcnt(0)
	ds_write_b64 v82, v[79:80]
	s_waitcnt lgkmcnt(0)
	; wave barrier
	s_and_saveexec_b64 s[8:9], s[4:5]
	s_cbranch_execz .LBB102_246
; %bb.237:
	s_andn2_b64 vcc, exec, s[10:11]
	s_cbranch_vccnz .LBB102_239
; %bb.238:
	buffer_load_dword v79, v83, s[0:3], 0 offen
	buffer_load_dword v80, v83, s[0:3], 0 offen offset:4
	ds_read_b64 v[84:85], v82
	s_waitcnt vmcnt(0) lgkmcnt(0)
	v_mul_f64 v[79:80], v[79:80], v[84:85]
	s_cbranch_execz .LBB102_240
	s_branch .LBB102_241
.LBB102_239:
                                        ; implicit-def: $vgpr79_vgpr80
.LBB102_240:
	ds_read_b64 v[79:80], v82
.LBB102_241:
	s_and_saveexec_b64 s[12:13], s[6:7]
	s_cbranch_execz .LBB102_245
; %bb.242:
	v_add_u32_e32 v84, -14, v0
	s_movk_i32 s28, 0x1b0
	s_mov_b64 s[6:7], 0
.LBB102_243:                            ; =>This Inner Loop Header: Depth=1
	v_mov_b32_e32 v87, s27
	buffer_load_dword v85, v87, s[0:3], 0 offen
	buffer_load_dword v86, v87, s[0:3], 0 offen offset:4
	v_mov_b32_e32 v87, s28
	ds_read_b64 v[87:88], v87
	v_add_u32_e32 v84, -1, v84
	s_add_i32 s28, s28, 8
	s_add_i32 s27, s27, 8
	v_cmp_eq_u32_e32 vcc, 0, v84
	s_or_b64 s[6:7], vcc, s[6:7]
	s_waitcnt vmcnt(0) lgkmcnt(0)
	v_fma_f64 v[79:80], v[85:86], v[87:88], v[79:80]
	s_andn2_b64 exec, exec, s[6:7]
	s_cbranch_execnz .LBB102_243
; %bb.244:
	s_or_b64 exec, exec, s[6:7]
.LBB102_245:
	s_or_b64 exec, exec, s[12:13]
	v_mov_b32_e32 v84, 0
	ds_read_b64 v[84:85], v84 offset:104
	s_waitcnt lgkmcnt(0)
	v_mul_f64 v[79:80], v[79:80], v[84:85]
	buffer_store_dword v80, off, s[0:3], 0 offset:108
	buffer_store_dword v79, off, s[0:3], 0 offset:104
.LBB102_246:
	s_or_b64 exec, exec, s[8:9]
	buffer_load_dword v79, off, s[0:3], 0 offset:96
	buffer_load_dword v80, off, s[0:3], 0 offset:100
	v_cmp_lt_u32_e64 s[6:7], 12, v0
	s_waitcnt vmcnt(0)
	ds_write_b64 v82, v[79:80]
	s_waitcnt lgkmcnt(0)
	; wave barrier
	s_and_saveexec_b64 s[8:9], s[6:7]
	s_cbranch_execz .LBB102_256
; %bb.247:
	s_andn2_b64 vcc, exec, s[10:11]
	s_cbranch_vccnz .LBB102_249
; %bb.248:
	buffer_load_dword v79, v83, s[0:3], 0 offen
	buffer_load_dword v80, v83, s[0:3], 0 offen offset:4
	ds_read_b64 v[84:85], v82
	s_waitcnt vmcnt(0) lgkmcnt(0)
	v_mul_f64 v[79:80], v[79:80], v[84:85]
	s_cbranch_execz .LBB102_250
	s_branch .LBB102_251
.LBB102_249:
                                        ; implicit-def: $vgpr79_vgpr80
.LBB102_250:
	ds_read_b64 v[79:80], v82
.LBB102_251:
	s_and_saveexec_b64 s[12:13], s[4:5]
	s_cbranch_execz .LBB102_255
; %bb.252:
	v_add_u32_e32 v84, -13, v0
	s_movk_i32 s27, 0x1a8
	s_mov_b64 s[4:5], 0
.LBB102_253:                            ; =>This Inner Loop Header: Depth=1
	v_mov_b32_e32 v87, s26
	buffer_load_dword v85, v87, s[0:3], 0 offen
	buffer_load_dword v86, v87, s[0:3], 0 offen offset:4
	v_mov_b32_e32 v87, s27
	ds_read_b64 v[87:88], v87
	v_add_u32_e32 v84, -1, v84
	s_add_i32 s27, s27, 8
	s_add_i32 s26, s26, 8
	v_cmp_eq_u32_e32 vcc, 0, v84
	s_or_b64 s[4:5], vcc, s[4:5]
	s_waitcnt vmcnt(0) lgkmcnt(0)
	v_fma_f64 v[79:80], v[85:86], v[87:88], v[79:80]
	s_andn2_b64 exec, exec, s[4:5]
	s_cbranch_execnz .LBB102_253
; %bb.254:
	s_or_b64 exec, exec, s[4:5]
.LBB102_255:
	s_or_b64 exec, exec, s[12:13]
	v_mov_b32_e32 v84, 0
	ds_read_b64 v[84:85], v84 offset:96
	s_waitcnt lgkmcnt(0)
	v_mul_f64 v[79:80], v[79:80], v[84:85]
	buffer_store_dword v80, off, s[0:3], 0 offset:100
	buffer_store_dword v79, off, s[0:3], 0 offset:96
.LBB102_256:
	s_or_b64 exec, exec, s[8:9]
	buffer_load_dword v79, off, s[0:3], 0 offset:88
	buffer_load_dword v80, off, s[0:3], 0 offset:92
	v_cmp_lt_u32_e64 s[4:5], 11, v0
	s_waitcnt vmcnt(0)
	ds_write_b64 v82, v[79:80]
	s_waitcnt lgkmcnt(0)
	; wave barrier
	s_and_saveexec_b64 s[8:9], s[4:5]
	s_cbranch_execz .LBB102_266
; %bb.257:
	s_andn2_b64 vcc, exec, s[10:11]
	s_cbranch_vccnz .LBB102_259
; %bb.258:
	buffer_load_dword v79, v83, s[0:3], 0 offen
	buffer_load_dword v80, v83, s[0:3], 0 offen offset:4
	ds_read_b64 v[84:85], v82
	s_waitcnt vmcnt(0) lgkmcnt(0)
	v_mul_f64 v[79:80], v[79:80], v[84:85]
	s_cbranch_execz .LBB102_260
	s_branch .LBB102_261
.LBB102_259:
                                        ; implicit-def: $vgpr79_vgpr80
.LBB102_260:
	ds_read_b64 v[79:80], v82
.LBB102_261:
	s_and_saveexec_b64 s[12:13], s[6:7]
	s_cbranch_execz .LBB102_265
; %bb.262:
	v_add_u32_e32 v84, -12, v0
	s_movk_i32 s26, 0x1a0
	s_mov_b64 s[6:7], 0
.LBB102_263:                            ; =>This Inner Loop Header: Depth=1
	v_mov_b32_e32 v87, s25
	buffer_load_dword v85, v87, s[0:3], 0 offen
	buffer_load_dword v86, v87, s[0:3], 0 offen offset:4
	v_mov_b32_e32 v87, s26
	ds_read_b64 v[87:88], v87
	v_add_u32_e32 v84, -1, v84
	s_add_i32 s26, s26, 8
	s_add_i32 s25, s25, 8
	v_cmp_eq_u32_e32 vcc, 0, v84
	s_or_b64 s[6:7], vcc, s[6:7]
	s_waitcnt vmcnt(0) lgkmcnt(0)
	v_fma_f64 v[79:80], v[85:86], v[87:88], v[79:80]
	s_andn2_b64 exec, exec, s[6:7]
	s_cbranch_execnz .LBB102_263
; %bb.264:
	s_or_b64 exec, exec, s[6:7]
.LBB102_265:
	s_or_b64 exec, exec, s[12:13]
	v_mov_b32_e32 v84, 0
	ds_read_b64 v[84:85], v84 offset:88
	s_waitcnt lgkmcnt(0)
	v_mul_f64 v[79:80], v[79:80], v[84:85]
	buffer_store_dword v80, off, s[0:3], 0 offset:92
	buffer_store_dword v79, off, s[0:3], 0 offset:88
.LBB102_266:
	s_or_b64 exec, exec, s[8:9]
	buffer_load_dword v79, off, s[0:3], 0 offset:80
	buffer_load_dword v80, off, s[0:3], 0 offset:84
	v_cmp_lt_u32_e64 s[6:7], 10, v0
	s_waitcnt vmcnt(0)
	ds_write_b64 v82, v[79:80]
	s_waitcnt lgkmcnt(0)
	; wave barrier
	s_and_saveexec_b64 s[8:9], s[6:7]
	s_cbranch_execz .LBB102_276
; %bb.267:
	s_andn2_b64 vcc, exec, s[10:11]
	s_cbranch_vccnz .LBB102_269
; %bb.268:
	buffer_load_dword v79, v83, s[0:3], 0 offen
	buffer_load_dword v80, v83, s[0:3], 0 offen offset:4
	ds_read_b64 v[84:85], v82
	s_waitcnt vmcnt(0) lgkmcnt(0)
	v_mul_f64 v[79:80], v[79:80], v[84:85]
	s_cbranch_execz .LBB102_270
	s_branch .LBB102_271
.LBB102_269:
                                        ; implicit-def: $vgpr79_vgpr80
.LBB102_270:
	ds_read_b64 v[79:80], v82
.LBB102_271:
	s_and_saveexec_b64 s[12:13], s[4:5]
	s_cbranch_execz .LBB102_275
; %bb.272:
	v_add_u32_e32 v84, -11, v0
	s_movk_i32 s25, 0x198
	s_mov_b64 s[4:5], 0
.LBB102_273:                            ; =>This Inner Loop Header: Depth=1
	v_mov_b32_e32 v87, s24
	buffer_load_dword v85, v87, s[0:3], 0 offen
	buffer_load_dword v86, v87, s[0:3], 0 offen offset:4
	v_mov_b32_e32 v87, s25
	ds_read_b64 v[87:88], v87
	v_add_u32_e32 v84, -1, v84
	s_add_i32 s25, s25, 8
	s_add_i32 s24, s24, 8
	v_cmp_eq_u32_e32 vcc, 0, v84
	s_or_b64 s[4:5], vcc, s[4:5]
	s_waitcnt vmcnt(0) lgkmcnt(0)
	v_fma_f64 v[79:80], v[85:86], v[87:88], v[79:80]
	s_andn2_b64 exec, exec, s[4:5]
	s_cbranch_execnz .LBB102_273
; %bb.274:
	s_or_b64 exec, exec, s[4:5]
.LBB102_275:
	s_or_b64 exec, exec, s[12:13]
	v_mov_b32_e32 v84, 0
	ds_read_b64 v[84:85], v84 offset:80
	s_waitcnt lgkmcnt(0)
	v_mul_f64 v[79:80], v[79:80], v[84:85]
	buffer_store_dword v80, off, s[0:3], 0 offset:84
	buffer_store_dword v79, off, s[0:3], 0 offset:80
.LBB102_276:
	s_or_b64 exec, exec, s[8:9]
	buffer_load_dword v79, off, s[0:3], 0 offset:72
	buffer_load_dword v80, off, s[0:3], 0 offset:76
	v_cmp_lt_u32_e64 s[4:5], 9, v0
	s_waitcnt vmcnt(0)
	ds_write_b64 v82, v[79:80]
	s_waitcnt lgkmcnt(0)
	; wave barrier
	s_and_saveexec_b64 s[8:9], s[4:5]
	s_cbranch_execz .LBB102_286
; %bb.277:
	s_andn2_b64 vcc, exec, s[10:11]
	s_cbranch_vccnz .LBB102_279
; %bb.278:
	buffer_load_dword v79, v83, s[0:3], 0 offen
	buffer_load_dword v80, v83, s[0:3], 0 offen offset:4
	ds_read_b64 v[84:85], v82
	s_waitcnt vmcnt(0) lgkmcnt(0)
	v_mul_f64 v[79:80], v[79:80], v[84:85]
	s_cbranch_execz .LBB102_280
	s_branch .LBB102_281
.LBB102_279:
                                        ; implicit-def: $vgpr79_vgpr80
.LBB102_280:
	ds_read_b64 v[79:80], v82
.LBB102_281:
	s_and_saveexec_b64 s[12:13], s[6:7]
	s_cbranch_execz .LBB102_285
; %bb.282:
	v_add_u32_e32 v84, -10, v0
	s_movk_i32 s24, 0x190
	s_mov_b64 s[6:7], 0
.LBB102_283:                            ; =>This Inner Loop Header: Depth=1
	v_mov_b32_e32 v87, s23
	buffer_load_dword v85, v87, s[0:3], 0 offen
	buffer_load_dword v86, v87, s[0:3], 0 offen offset:4
	v_mov_b32_e32 v87, s24
	ds_read_b64 v[87:88], v87
	v_add_u32_e32 v84, -1, v84
	s_add_i32 s24, s24, 8
	s_add_i32 s23, s23, 8
	v_cmp_eq_u32_e32 vcc, 0, v84
	s_or_b64 s[6:7], vcc, s[6:7]
	s_waitcnt vmcnt(0) lgkmcnt(0)
	v_fma_f64 v[79:80], v[85:86], v[87:88], v[79:80]
	s_andn2_b64 exec, exec, s[6:7]
	s_cbranch_execnz .LBB102_283
; %bb.284:
	s_or_b64 exec, exec, s[6:7]
.LBB102_285:
	s_or_b64 exec, exec, s[12:13]
	v_mov_b32_e32 v84, 0
	ds_read_b64 v[84:85], v84 offset:72
	s_waitcnt lgkmcnt(0)
	v_mul_f64 v[79:80], v[79:80], v[84:85]
	buffer_store_dword v80, off, s[0:3], 0 offset:76
	buffer_store_dword v79, off, s[0:3], 0 offset:72
.LBB102_286:
	s_or_b64 exec, exec, s[8:9]
	buffer_load_dword v79, off, s[0:3], 0 offset:64
	buffer_load_dword v80, off, s[0:3], 0 offset:68
	v_cmp_lt_u32_e64 s[6:7], 8, v0
	s_waitcnt vmcnt(0)
	ds_write_b64 v82, v[79:80]
	s_waitcnt lgkmcnt(0)
	; wave barrier
	s_and_saveexec_b64 s[8:9], s[6:7]
	s_cbranch_execz .LBB102_296
; %bb.287:
	s_andn2_b64 vcc, exec, s[10:11]
	s_cbranch_vccnz .LBB102_289
; %bb.288:
	buffer_load_dword v79, v83, s[0:3], 0 offen
	buffer_load_dword v80, v83, s[0:3], 0 offen offset:4
	ds_read_b64 v[84:85], v82
	s_waitcnt vmcnt(0) lgkmcnt(0)
	v_mul_f64 v[79:80], v[79:80], v[84:85]
	s_cbranch_execz .LBB102_290
	s_branch .LBB102_291
.LBB102_289:
                                        ; implicit-def: $vgpr79_vgpr80
.LBB102_290:
	ds_read_b64 v[79:80], v82
.LBB102_291:
	s_and_saveexec_b64 s[12:13], s[4:5]
	s_cbranch_execz .LBB102_295
; %bb.292:
	v_add_u32_e32 v84, -9, v0
	s_movk_i32 s23, 0x188
	s_mov_b64 s[4:5], 0
.LBB102_293:                            ; =>This Inner Loop Header: Depth=1
	v_mov_b32_e32 v87, s22
	buffer_load_dword v85, v87, s[0:3], 0 offen
	buffer_load_dword v86, v87, s[0:3], 0 offen offset:4
	v_mov_b32_e32 v87, s23
	ds_read_b64 v[87:88], v87
	v_add_u32_e32 v84, -1, v84
	s_add_i32 s23, s23, 8
	s_add_i32 s22, s22, 8
	v_cmp_eq_u32_e32 vcc, 0, v84
	s_or_b64 s[4:5], vcc, s[4:5]
	s_waitcnt vmcnt(0) lgkmcnt(0)
	v_fma_f64 v[79:80], v[85:86], v[87:88], v[79:80]
	s_andn2_b64 exec, exec, s[4:5]
	s_cbranch_execnz .LBB102_293
; %bb.294:
	s_or_b64 exec, exec, s[4:5]
.LBB102_295:
	s_or_b64 exec, exec, s[12:13]
	v_mov_b32_e32 v84, 0
	ds_read_b64 v[84:85], v84 offset:64
	s_waitcnt lgkmcnt(0)
	v_mul_f64 v[79:80], v[79:80], v[84:85]
	buffer_store_dword v80, off, s[0:3], 0 offset:68
	buffer_store_dword v79, off, s[0:3], 0 offset:64
.LBB102_296:
	s_or_b64 exec, exec, s[8:9]
	buffer_load_dword v79, off, s[0:3], 0 offset:56
	buffer_load_dword v80, off, s[0:3], 0 offset:60
	v_cmp_lt_u32_e64 s[4:5], 7, v0
	s_waitcnt vmcnt(0)
	ds_write_b64 v82, v[79:80]
	s_waitcnt lgkmcnt(0)
	; wave barrier
	s_and_saveexec_b64 s[8:9], s[4:5]
	s_cbranch_execz .LBB102_306
; %bb.297:
	s_andn2_b64 vcc, exec, s[10:11]
	s_cbranch_vccnz .LBB102_299
; %bb.298:
	buffer_load_dword v79, v83, s[0:3], 0 offen
	buffer_load_dword v80, v83, s[0:3], 0 offen offset:4
	ds_read_b64 v[84:85], v82
	s_waitcnt vmcnt(0) lgkmcnt(0)
	v_mul_f64 v[79:80], v[79:80], v[84:85]
	s_cbranch_execz .LBB102_300
	s_branch .LBB102_301
.LBB102_299:
                                        ; implicit-def: $vgpr79_vgpr80
.LBB102_300:
	ds_read_b64 v[79:80], v82
.LBB102_301:
	s_and_saveexec_b64 s[12:13], s[6:7]
	s_cbranch_execz .LBB102_305
; %bb.302:
	v_add_u32_e32 v84, -8, v0
	s_movk_i32 s22, 0x180
	s_mov_b64 s[6:7], 0
.LBB102_303:                            ; =>This Inner Loop Header: Depth=1
	v_mov_b32_e32 v87, s21
	buffer_load_dword v85, v87, s[0:3], 0 offen
	buffer_load_dword v86, v87, s[0:3], 0 offen offset:4
	v_mov_b32_e32 v87, s22
	ds_read_b64 v[87:88], v87
	v_add_u32_e32 v84, -1, v84
	s_add_i32 s22, s22, 8
	s_add_i32 s21, s21, 8
	v_cmp_eq_u32_e32 vcc, 0, v84
	s_or_b64 s[6:7], vcc, s[6:7]
	s_waitcnt vmcnt(0) lgkmcnt(0)
	v_fma_f64 v[79:80], v[85:86], v[87:88], v[79:80]
	s_andn2_b64 exec, exec, s[6:7]
	s_cbranch_execnz .LBB102_303
; %bb.304:
	s_or_b64 exec, exec, s[6:7]
.LBB102_305:
	s_or_b64 exec, exec, s[12:13]
	v_mov_b32_e32 v84, 0
	ds_read_b64 v[84:85], v84 offset:56
	s_waitcnt lgkmcnt(0)
	v_mul_f64 v[79:80], v[79:80], v[84:85]
	buffer_store_dword v80, off, s[0:3], 0 offset:60
	buffer_store_dword v79, off, s[0:3], 0 offset:56
.LBB102_306:
	s_or_b64 exec, exec, s[8:9]
	buffer_load_dword v79, off, s[0:3], 0 offset:48
	buffer_load_dword v80, off, s[0:3], 0 offset:52
	v_cmp_lt_u32_e64 s[6:7], 6, v0
	s_waitcnt vmcnt(0)
	ds_write_b64 v82, v[79:80]
	s_waitcnt lgkmcnt(0)
	; wave barrier
	s_and_saveexec_b64 s[8:9], s[6:7]
	s_cbranch_execz .LBB102_316
; %bb.307:
	s_andn2_b64 vcc, exec, s[10:11]
	s_cbranch_vccnz .LBB102_309
; %bb.308:
	buffer_load_dword v79, v83, s[0:3], 0 offen
	buffer_load_dword v80, v83, s[0:3], 0 offen offset:4
	ds_read_b64 v[84:85], v82
	s_waitcnt vmcnt(0) lgkmcnt(0)
	v_mul_f64 v[79:80], v[79:80], v[84:85]
	s_cbranch_execz .LBB102_310
	s_branch .LBB102_311
.LBB102_309:
                                        ; implicit-def: $vgpr79_vgpr80
.LBB102_310:
	ds_read_b64 v[79:80], v82
.LBB102_311:
	s_and_saveexec_b64 s[12:13], s[4:5]
	s_cbranch_execz .LBB102_315
; %bb.312:
	v_add_u32_e32 v84, -7, v0
	s_movk_i32 s21, 0x178
	s_mov_b64 s[4:5], 0
.LBB102_313:                            ; =>This Inner Loop Header: Depth=1
	v_mov_b32_e32 v87, s20
	buffer_load_dword v85, v87, s[0:3], 0 offen
	buffer_load_dword v86, v87, s[0:3], 0 offen offset:4
	v_mov_b32_e32 v87, s21
	ds_read_b64 v[87:88], v87
	v_add_u32_e32 v84, -1, v84
	s_add_i32 s21, s21, 8
	s_add_i32 s20, s20, 8
	v_cmp_eq_u32_e32 vcc, 0, v84
	s_or_b64 s[4:5], vcc, s[4:5]
	s_waitcnt vmcnt(0) lgkmcnt(0)
	v_fma_f64 v[79:80], v[85:86], v[87:88], v[79:80]
	s_andn2_b64 exec, exec, s[4:5]
	s_cbranch_execnz .LBB102_313
; %bb.314:
	s_or_b64 exec, exec, s[4:5]
.LBB102_315:
	s_or_b64 exec, exec, s[12:13]
	v_mov_b32_e32 v84, 0
	ds_read_b64 v[84:85], v84 offset:48
	s_waitcnt lgkmcnt(0)
	v_mul_f64 v[79:80], v[79:80], v[84:85]
	buffer_store_dword v80, off, s[0:3], 0 offset:52
	buffer_store_dword v79, off, s[0:3], 0 offset:48
.LBB102_316:
	s_or_b64 exec, exec, s[8:9]
	buffer_load_dword v79, off, s[0:3], 0 offset:40
	buffer_load_dword v80, off, s[0:3], 0 offset:44
	v_cmp_lt_u32_e64 s[4:5], 5, v0
	s_waitcnt vmcnt(0)
	ds_write_b64 v82, v[79:80]
	s_waitcnt lgkmcnt(0)
	; wave barrier
	s_and_saveexec_b64 s[8:9], s[4:5]
	s_cbranch_execz .LBB102_326
; %bb.317:
	s_andn2_b64 vcc, exec, s[10:11]
	s_cbranch_vccnz .LBB102_319
; %bb.318:
	buffer_load_dword v79, v83, s[0:3], 0 offen
	buffer_load_dword v80, v83, s[0:3], 0 offen offset:4
	ds_read_b64 v[84:85], v82
	s_waitcnt vmcnt(0) lgkmcnt(0)
	v_mul_f64 v[79:80], v[79:80], v[84:85]
	s_cbranch_execz .LBB102_320
	s_branch .LBB102_321
.LBB102_319:
                                        ; implicit-def: $vgpr79_vgpr80
.LBB102_320:
	ds_read_b64 v[79:80], v82
.LBB102_321:
	s_and_saveexec_b64 s[12:13], s[6:7]
	s_cbranch_execz .LBB102_325
; %bb.322:
	v_add_u32_e32 v84, -6, v0
	s_movk_i32 s20, 0x170
	s_mov_b64 s[6:7], 0
.LBB102_323:                            ; =>This Inner Loop Header: Depth=1
	v_mov_b32_e32 v87, s19
	buffer_load_dword v85, v87, s[0:3], 0 offen
	buffer_load_dword v86, v87, s[0:3], 0 offen offset:4
	v_mov_b32_e32 v87, s20
	ds_read_b64 v[87:88], v87
	v_add_u32_e32 v84, -1, v84
	s_add_i32 s20, s20, 8
	s_add_i32 s19, s19, 8
	v_cmp_eq_u32_e32 vcc, 0, v84
	s_or_b64 s[6:7], vcc, s[6:7]
	s_waitcnt vmcnt(0) lgkmcnt(0)
	v_fma_f64 v[79:80], v[85:86], v[87:88], v[79:80]
	s_andn2_b64 exec, exec, s[6:7]
	s_cbranch_execnz .LBB102_323
; %bb.324:
	s_or_b64 exec, exec, s[6:7]
.LBB102_325:
	s_or_b64 exec, exec, s[12:13]
	v_mov_b32_e32 v84, 0
	ds_read_b64 v[84:85], v84 offset:40
	s_waitcnt lgkmcnt(0)
	v_mul_f64 v[79:80], v[79:80], v[84:85]
	buffer_store_dword v80, off, s[0:3], 0 offset:44
	buffer_store_dword v79, off, s[0:3], 0 offset:40
.LBB102_326:
	s_or_b64 exec, exec, s[8:9]
	buffer_load_dword v79, off, s[0:3], 0 offset:32
	buffer_load_dword v80, off, s[0:3], 0 offset:36
	v_cmp_lt_u32_e64 s[6:7], 4, v0
	s_waitcnt vmcnt(0)
	ds_write_b64 v82, v[79:80]
	s_waitcnt lgkmcnt(0)
	; wave barrier
	s_and_saveexec_b64 s[8:9], s[6:7]
	s_cbranch_execz .LBB102_336
; %bb.327:
	s_andn2_b64 vcc, exec, s[10:11]
	s_cbranch_vccnz .LBB102_329
; %bb.328:
	buffer_load_dword v79, v83, s[0:3], 0 offen
	buffer_load_dword v80, v83, s[0:3], 0 offen offset:4
	ds_read_b64 v[84:85], v82
	s_waitcnt vmcnt(0) lgkmcnt(0)
	v_mul_f64 v[79:80], v[79:80], v[84:85]
	s_cbranch_execz .LBB102_330
	s_branch .LBB102_331
.LBB102_329:
                                        ; implicit-def: $vgpr79_vgpr80
.LBB102_330:
	ds_read_b64 v[79:80], v82
.LBB102_331:
	s_and_saveexec_b64 s[12:13], s[4:5]
	s_cbranch_execz .LBB102_335
; %bb.332:
	v_add_u32_e32 v84, -5, v0
	s_movk_i32 s19, 0x168
	s_mov_b64 s[4:5], 0
.LBB102_333:                            ; =>This Inner Loop Header: Depth=1
	v_mov_b32_e32 v87, s18
	buffer_load_dword v85, v87, s[0:3], 0 offen
	buffer_load_dword v86, v87, s[0:3], 0 offen offset:4
	v_mov_b32_e32 v87, s19
	ds_read_b64 v[87:88], v87
	v_add_u32_e32 v84, -1, v84
	s_add_i32 s19, s19, 8
	s_add_i32 s18, s18, 8
	v_cmp_eq_u32_e32 vcc, 0, v84
	s_or_b64 s[4:5], vcc, s[4:5]
	s_waitcnt vmcnt(0) lgkmcnt(0)
	v_fma_f64 v[79:80], v[85:86], v[87:88], v[79:80]
	s_andn2_b64 exec, exec, s[4:5]
	s_cbranch_execnz .LBB102_333
; %bb.334:
	s_or_b64 exec, exec, s[4:5]
.LBB102_335:
	s_or_b64 exec, exec, s[12:13]
	v_mov_b32_e32 v84, 0
	ds_read_b64 v[84:85], v84 offset:32
	s_waitcnt lgkmcnt(0)
	v_mul_f64 v[79:80], v[79:80], v[84:85]
	buffer_store_dword v80, off, s[0:3], 0 offset:36
	buffer_store_dword v79, off, s[0:3], 0 offset:32
.LBB102_336:
	s_or_b64 exec, exec, s[8:9]
	buffer_load_dword v79, off, s[0:3], 0 offset:24
	buffer_load_dword v80, off, s[0:3], 0 offset:28
	v_cmp_lt_u32_e64 s[4:5], 3, v0
	s_waitcnt vmcnt(0)
	ds_write_b64 v82, v[79:80]
	s_waitcnt lgkmcnt(0)
	; wave barrier
	s_and_saveexec_b64 s[8:9], s[4:5]
	s_cbranch_execz .LBB102_346
; %bb.337:
	s_andn2_b64 vcc, exec, s[10:11]
	s_cbranch_vccnz .LBB102_339
; %bb.338:
	buffer_load_dword v79, v83, s[0:3], 0 offen
	buffer_load_dword v80, v83, s[0:3], 0 offen offset:4
	ds_read_b64 v[84:85], v82
	s_waitcnt vmcnt(0) lgkmcnt(0)
	v_mul_f64 v[79:80], v[79:80], v[84:85]
	s_cbranch_execz .LBB102_340
	s_branch .LBB102_341
.LBB102_339:
                                        ; implicit-def: $vgpr79_vgpr80
.LBB102_340:
	ds_read_b64 v[79:80], v82
.LBB102_341:
	s_and_saveexec_b64 s[12:13], s[6:7]
	s_cbranch_execz .LBB102_345
; %bb.342:
	v_add_u32_e32 v84, -4, v0
	s_movk_i32 s18, 0x160
	s_mov_b64 s[6:7], 0
.LBB102_343:                            ; =>This Inner Loop Header: Depth=1
	v_mov_b32_e32 v87, s17
	buffer_load_dword v85, v87, s[0:3], 0 offen
	buffer_load_dword v86, v87, s[0:3], 0 offen offset:4
	v_mov_b32_e32 v87, s18
	ds_read_b64 v[87:88], v87
	v_add_u32_e32 v84, -1, v84
	s_add_i32 s18, s18, 8
	s_add_i32 s17, s17, 8
	v_cmp_eq_u32_e32 vcc, 0, v84
	s_or_b64 s[6:7], vcc, s[6:7]
	s_waitcnt vmcnt(0) lgkmcnt(0)
	v_fma_f64 v[79:80], v[85:86], v[87:88], v[79:80]
	s_andn2_b64 exec, exec, s[6:7]
	s_cbranch_execnz .LBB102_343
; %bb.344:
	s_or_b64 exec, exec, s[6:7]
.LBB102_345:
	s_or_b64 exec, exec, s[12:13]
	v_mov_b32_e32 v84, 0
	ds_read_b64 v[84:85], v84 offset:24
	s_waitcnt lgkmcnt(0)
	v_mul_f64 v[79:80], v[79:80], v[84:85]
	buffer_store_dword v80, off, s[0:3], 0 offset:28
	buffer_store_dword v79, off, s[0:3], 0 offset:24
.LBB102_346:
	s_or_b64 exec, exec, s[8:9]
	buffer_load_dword v79, off, s[0:3], 0 offset:16
	buffer_load_dword v80, off, s[0:3], 0 offset:20
	v_cmp_lt_u32_e64 s[6:7], 2, v0
	s_waitcnt vmcnt(0)
	ds_write_b64 v82, v[79:80]
	s_waitcnt lgkmcnt(0)
	; wave barrier
	s_and_saveexec_b64 s[8:9], s[6:7]
	s_cbranch_execz .LBB102_356
; %bb.347:
	s_andn2_b64 vcc, exec, s[10:11]
	s_cbranch_vccnz .LBB102_349
; %bb.348:
	buffer_load_dword v79, v83, s[0:3], 0 offen
	buffer_load_dword v80, v83, s[0:3], 0 offen offset:4
	ds_read_b64 v[84:85], v82
	s_waitcnt vmcnt(0) lgkmcnt(0)
	v_mul_f64 v[79:80], v[79:80], v[84:85]
	s_cbranch_execz .LBB102_350
	s_branch .LBB102_351
.LBB102_349:
                                        ; implicit-def: $vgpr79_vgpr80
.LBB102_350:
	ds_read_b64 v[79:80], v82
.LBB102_351:
	s_and_saveexec_b64 s[12:13], s[4:5]
	s_cbranch_execz .LBB102_355
; %bb.352:
	v_add_u32_e32 v84, -3, v0
	s_movk_i32 s17, 0x158
	s_mov_b64 s[4:5], 0
.LBB102_353:                            ; =>This Inner Loop Header: Depth=1
	v_mov_b32_e32 v87, s16
	buffer_load_dword v85, v87, s[0:3], 0 offen
	buffer_load_dword v86, v87, s[0:3], 0 offen offset:4
	v_mov_b32_e32 v87, s17
	ds_read_b64 v[87:88], v87
	v_add_u32_e32 v84, -1, v84
	s_add_i32 s17, s17, 8
	s_add_i32 s16, s16, 8
	v_cmp_eq_u32_e32 vcc, 0, v84
	s_or_b64 s[4:5], vcc, s[4:5]
	s_waitcnt vmcnt(0) lgkmcnt(0)
	v_fma_f64 v[79:80], v[85:86], v[87:88], v[79:80]
	s_andn2_b64 exec, exec, s[4:5]
	s_cbranch_execnz .LBB102_353
; %bb.354:
	s_or_b64 exec, exec, s[4:5]
.LBB102_355:
	s_or_b64 exec, exec, s[12:13]
	v_mov_b32_e32 v84, 0
	ds_read_b64 v[84:85], v84 offset:16
	s_waitcnt lgkmcnt(0)
	v_mul_f64 v[79:80], v[79:80], v[84:85]
	buffer_store_dword v80, off, s[0:3], 0 offset:20
	buffer_store_dword v79, off, s[0:3], 0 offset:16
.LBB102_356:
	s_or_b64 exec, exec, s[8:9]
	buffer_load_dword v79, off, s[0:3], 0 offset:8
	buffer_load_dword v80, off, s[0:3], 0 offset:12
	v_cmp_lt_u32_e64 s[4:5], 1, v0
	s_waitcnt vmcnt(0)
	ds_write_b64 v82, v[79:80]
	s_waitcnt lgkmcnt(0)
	; wave barrier
	s_and_saveexec_b64 s[8:9], s[4:5]
	s_cbranch_execz .LBB102_366
; %bb.357:
	s_andn2_b64 vcc, exec, s[10:11]
	s_cbranch_vccnz .LBB102_359
; %bb.358:
	buffer_load_dword v79, v83, s[0:3], 0 offen
	buffer_load_dword v80, v83, s[0:3], 0 offen offset:4
	ds_read_b64 v[84:85], v82
	s_waitcnt vmcnt(0) lgkmcnt(0)
	v_mul_f64 v[79:80], v[79:80], v[84:85]
	s_cbranch_execz .LBB102_360
	s_branch .LBB102_361
.LBB102_359:
                                        ; implicit-def: $vgpr79_vgpr80
.LBB102_360:
	ds_read_b64 v[79:80], v82
.LBB102_361:
	s_and_saveexec_b64 s[12:13], s[6:7]
	s_cbranch_execz .LBB102_365
; %bb.362:
	v_add_u32_e32 v84, -2, v0
	s_movk_i32 s16, 0x150
	s_mov_b64 s[6:7], 0
.LBB102_363:                            ; =>This Inner Loop Header: Depth=1
	v_mov_b32_e32 v87, s15
	buffer_load_dword v85, v87, s[0:3], 0 offen
	buffer_load_dword v86, v87, s[0:3], 0 offen offset:4
	v_mov_b32_e32 v87, s16
	ds_read_b64 v[87:88], v87
	v_add_u32_e32 v84, -1, v84
	s_add_i32 s16, s16, 8
	s_add_i32 s15, s15, 8
	v_cmp_eq_u32_e32 vcc, 0, v84
	s_or_b64 s[6:7], vcc, s[6:7]
	s_waitcnt vmcnt(0) lgkmcnt(0)
	v_fma_f64 v[79:80], v[85:86], v[87:88], v[79:80]
	s_andn2_b64 exec, exec, s[6:7]
	s_cbranch_execnz .LBB102_363
; %bb.364:
	s_or_b64 exec, exec, s[6:7]
.LBB102_365:
	s_or_b64 exec, exec, s[12:13]
	v_mov_b32_e32 v84, 0
	ds_read_b64 v[84:85], v84 offset:8
	s_waitcnt lgkmcnt(0)
	v_mul_f64 v[79:80], v[79:80], v[84:85]
	buffer_store_dword v80, off, s[0:3], 0 offset:12
	buffer_store_dword v79, off, s[0:3], 0 offset:8
.LBB102_366:
	s_or_b64 exec, exec, s[8:9]
	buffer_load_dword v79, off, s[0:3], 0
	buffer_load_dword v80, off, s[0:3], 0 offset:4
	v_cmp_ne_u32_e32 vcc, 0, v0
	s_waitcnt vmcnt(0)
	ds_write_b64 v82, v[79:80]
	s_waitcnt lgkmcnt(0)
	; wave barrier
	s_and_saveexec_b64 s[6:7], vcc
	s_cbranch_execz .LBB102_376
; %bb.367:
	s_andn2_b64 vcc, exec, s[10:11]
	s_cbranch_vccnz .LBB102_369
; %bb.368:
	buffer_load_dword v79, v83, s[0:3], 0 offen
	buffer_load_dword v80, v83, s[0:3], 0 offen offset:4
	ds_read_b64 v[84:85], v82
	s_waitcnt vmcnt(0) lgkmcnt(0)
	v_mul_f64 v[79:80], v[79:80], v[84:85]
	s_cbranch_execz .LBB102_370
	s_branch .LBB102_371
.LBB102_369:
                                        ; implicit-def: $vgpr79_vgpr80
.LBB102_370:
	ds_read_b64 v[79:80], v82
.LBB102_371:
	s_and_saveexec_b64 s[8:9], s[4:5]
	s_cbranch_execz .LBB102_375
; %bb.372:
	v_add_u32_e32 v84, -1, v0
	s_movk_i32 s12, 0x148
	s_mov_b64 s[4:5], 0
.LBB102_373:                            ; =>This Inner Loop Header: Depth=1
	v_mov_b32_e32 v87, s14
	buffer_load_dword v85, v87, s[0:3], 0 offen
	buffer_load_dword v86, v87, s[0:3], 0 offen offset:4
	v_mov_b32_e32 v87, s12
	ds_read_b64 v[87:88], v87
	v_add_u32_e32 v84, -1, v84
	s_add_i32 s12, s12, 8
	s_add_i32 s14, s14, 8
	v_cmp_eq_u32_e32 vcc, 0, v84
	s_or_b64 s[4:5], vcc, s[4:5]
	s_waitcnt vmcnt(0) lgkmcnt(0)
	v_fma_f64 v[79:80], v[85:86], v[87:88], v[79:80]
	s_andn2_b64 exec, exec, s[4:5]
	s_cbranch_execnz .LBB102_373
; %bb.374:
	s_or_b64 exec, exec, s[4:5]
.LBB102_375:
	s_or_b64 exec, exec, s[8:9]
	v_mov_b32_e32 v84, 0
	ds_read_b64 v[84:85], v84
	s_waitcnt lgkmcnt(0)
	v_mul_f64 v[79:80], v[79:80], v[84:85]
	buffer_store_dword v80, off, s[0:3], 0 offset:4
	buffer_store_dword v79, off, s[0:3], 0
.LBB102_376:
	s_or_b64 exec, exec, s[6:7]
	s_mov_b64 s[4:5], 0
.LBB102_377:
	s_and_b64 vcc, exec, s[4:5]
	s_cbranch_vccz .LBB102_749
; %bb.378:
	buffer_load_dword v79, off, s[0:3], 0 offset:8
	buffer_load_dword v80, off, s[0:3], 0 offset:12
	v_cmp_eq_u32_e64 s[6:7], 0, v0
	s_waitcnt vmcnt(0)
	ds_write_b64 v82, v[79:80]
	s_waitcnt lgkmcnt(0)
	; wave barrier
	s_and_saveexec_b64 s[4:5], s[6:7]
	s_cbranch_execz .LBB102_384
; %bb.379:
	s_and_b64 vcc, exec, s[10:11]
	s_cbranch_vccz .LBB102_381
; %bb.380:
	buffer_load_dword v79, v83, s[0:3], 0 offen
	buffer_load_dword v80, v83, s[0:3], 0 offen offset:4
	ds_read_b64 v[84:85], v82
	s_waitcnt vmcnt(0) lgkmcnt(0)
	v_mul_f64 v[79:80], v[79:80], v[84:85]
	s_cbranch_execz .LBB102_382
	s_branch .LBB102_383
.LBB102_381:
                                        ; implicit-def: $vgpr79_vgpr80
.LBB102_382:
	ds_read_b64 v[79:80], v82
.LBB102_383:
	v_mov_b32_e32 v84, 0
	ds_read_b64 v[84:85], v84 offset:8
	s_waitcnt lgkmcnt(0)
	v_mul_f64 v[79:80], v[79:80], v[84:85]
	buffer_store_dword v80, off, s[0:3], 0 offset:12
	buffer_store_dword v79, off, s[0:3], 0 offset:8
.LBB102_384:
	s_or_b64 exec, exec, s[4:5]
	buffer_load_dword v79, off, s[0:3], 0 offset:16
	buffer_load_dword v80, off, s[0:3], 0 offset:20
	v_cndmask_b32_e64 v84, 0, 1, s[10:11]
	v_cmp_gt_u32_e32 vcc, 2, v0
	v_cmp_ne_u32_e64 s[4:5], 1, v84
	s_waitcnt vmcnt(0)
	ds_write_b64 v82, v[79:80]
	s_waitcnt lgkmcnt(0)
	; wave barrier
	s_and_saveexec_b64 s[8:9], vcc
	s_cbranch_execz .LBB102_390
; %bb.385:
	s_and_b64 vcc, exec, s[4:5]
	s_cbranch_vccnz .LBB102_387
; %bb.386:
	buffer_load_dword v79, v83, s[0:3], 0 offen
	buffer_load_dword v80, v83, s[0:3], 0 offen offset:4
	ds_read_b64 v[84:85], v82
	s_waitcnt vmcnt(0) lgkmcnt(0)
	v_mul_f64 v[79:80], v[79:80], v[84:85]
	s_cbranch_execz .LBB102_388
	s_branch .LBB102_389
.LBB102_387:
                                        ; implicit-def: $vgpr79_vgpr80
.LBB102_388:
	ds_read_b64 v[79:80], v82
.LBB102_389:
	buffer_load_dword v88, off, s[0:3], 0 offset:8
	buffer_load_dword v89, off, s[0:3], 0 offset:12
	v_mov_b32_e32 v84, 0
	ds_read2_b64 v[84:87], v84 offset0:2 offset1:41
	s_waitcnt vmcnt(0) lgkmcnt(0)
	v_fma_f64 v[86:87], v[88:89], v[86:87], v[79:80]
	v_cndmask_b32_e64 v80, v80, v87, s[6:7]
	v_cndmask_b32_e64 v79, v79, v86, s[6:7]
	v_mul_f64 v[79:80], v[79:80], v[84:85]
	buffer_store_dword v80, off, s[0:3], 0 offset:20
	buffer_store_dword v79, off, s[0:3], 0 offset:16
.LBB102_390:
	s_or_b64 exec, exec, s[8:9]
	buffer_load_dword v79, off, s[0:3], 0 offset:24
	buffer_load_dword v80, off, s[0:3], 0 offset:28
	v_cmp_gt_u32_e32 vcc, 3, v0
	s_waitcnt vmcnt(0)
	ds_write_b64 v82, v[79:80]
	s_waitcnt lgkmcnt(0)
	; wave barrier
	s_and_saveexec_b64 s[8:9], vcc
	s_cbranch_execz .LBB102_398
; %bb.391:
	s_and_b64 vcc, exec, s[4:5]
	s_cbranch_vccnz .LBB102_393
; %bb.392:
	buffer_load_dword v79, v83, s[0:3], 0 offen
	buffer_load_dword v80, v83, s[0:3], 0 offen offset:4
	ds_read_b64 v[84:85], v82
	s_waitcnt vmcnt(0) lgkmcnt(0)
	v_mul_f64 v[79:80], v[79:80], v[84:85]
	s_cbranch_execz .LBB102_394
	s_branch .LBB102_395
.LBB102_393:
                                        ; implicit-def: $vgpr79_vgpr80
.LBB102_394:
	ds_read_b64 v[79:80], v82
.LBB102_395:
	v_cmp_ne_u32_e32 vcc, 2, v0
	s_and_saveexec_b64 s[10:11], vcc
	s_cbranch_execz .LBB102_397
; %bb.396:
	buffer_load_dword v84, v83, s[0:3], 0 offen offset:8
	buffer_load_dword v85, v83, s[0:3], 0 offen offset:12
	buffer_load_dword v86, off, s[0:3], 0 offset:16
	buffer_load_dword v87, off, s[0:3], 0 offset:20
	ds_read_b64 v[88:89], v82 offset:8
	v_mov_b32_e32 v90, 0
	ds_read_b64 v[90:91], v90 offset:336
	s_waitcnt vmcnt(2) lgkmcnt(1)
	v_fma_f64 v[79:80], v[84:85], v[88:89], v[79:80]
	s_waitcnt vmcnt(0) lgkmcnt(0)
	v_fma_f64 v[84:85], v[86:87], v[90:91], v[79:80]
	v_cndmask_b32_e64 v80, v80, v85, s[6:7]
	v_cndmask_b32_e64 v79, v79, v84, s[6:7]
.LBB102_397:
	s_or_b64 exec, exec, s[10:11]
	v_mov_b32_e32 v84, 0
	ds_read_b64 v[84:85], v84 offset:24
	s_waitcnt lgkmcnt(0)
	v_mul_f64 v[79:80], v[79:80], v[84:85]
	buffer_store_dword v80, off, s[0:3], 0 offset:28
	buffer_store_dword v79, off, s[0:3], 0 offset:24
.LBB102_398:
	s_or_b64 exec, exec, s[8:9]
	buffer_load_dword v79, off, s[0:3], 0 offset:32
	buffer_load_dword v80, off, s[0:3], 0 offset:36
	v_cmp_gt_u32_e32 vcc, 4, v0
	s_waitcnt vmcnt(0)
	ds_write_b64 v82, v[79:80]
	s_waitcnt lgkmcnt(0)
	; wave barrier
	s_and_saveexec_b64 s[6:7], vcc
	s_cbranch_execz .LBB102_408
; %bb.399:
	s_and_b64 vcc, exec, s[4:5]
	s_cbranch_vccnz .LBB102_401
; %bb.400:
	buffer_load_dword v79, v83, s[0:3], 0 offen
	buffer_load_dword v80, v83, s[0:3], 0 offen offset:4
	ds_read_b64 v[84:85], v82
	s_waitcnt vmcnt(0) lgkmcnt(0)
	v_mul_f64 v[79:80], v[79:80], v[84:85]
	s_cbranch_execz .LBB102_402
	s_branch .LBB102_403
.LBB102_401:
                                        ; implicit-def: $vgpr79_vgpr80
.LBB102_402:
	ds_read_b64 v[79:80], v82
.LBB102_403:
	v_cmp_ne_u32_e32 vcc, 3, v0
	s_and_saveexec_b64 s[8:9], vcc
	s_cbranch_execz .LBB102_407
; %bb.404:
	s_mov_b32 s10, 0
	v_add_u32_e32 v84, 0x148, v81
	v_add3_u32 v85, v81, s10, 8
	s_mov_b64 s[10:11], 0
	v_mov_b32_e32 v86, v0
.LBB102_405:                            ; =>This Inner Loop Header: Depth=1
	buffer_load_dword v87, v85, s[0:3], 0 offen
	buffer_load_dword v88, v85, s[0:3], 0 offen offset:4
	ds_read_b64 v[89:90], v84
	v_add_u32_e32 v86, 1, v86
	v_cmp_lt_u32_e32 vcc, 2, v86
	v_add_u32_e32 v84, 8, v84
	s_or_b64 s[10:11], vcc, s[10:11]
	v_add_u32_e32 v85, 8, v85
	s_waitcnt vmcnt(0) lgkmcnt(0)
	v_fma_f64 v[79:80], v[87:88], v[89:90], v[79:80]
	s_andn2_b64 exec, exec, s[10:11]
	s_cbranch_execnz .LBB102_405
; %bb.406:
	s_or_b64 exec, exec, s[10:11]
.LBB102_407:
	s_or_b64 exec, exec, s[8:9]
	v_mov_b32_e32 v84, 0
	ds_read_b64 v[84:85], v84 offset:32
	s_waitcnt lgkmcnt(0)
	v_mul_f64 v[79:80], v[79:80], v[84:85]
	buffer_store_dword v80, off, s[0:3], 0 offset:36
	buffer_store_dword v79, off, s[0:3], 0 offset:32
.LBB102_408:
	s_or_b64 exec, exec, s[6:7]
	buffer_load_dword v79, off, s[0:3], 0 offset:40
	buffer_load_dword v80, off, s[0:3], 0 offset:44
	v_cmp_gt_u32_e32 vcc, 5, v0
	s_waitcnt vmcnt(0)
	ds_write_b64 v82, v[79:80]
	s_waitcnt lgkmcnt(0)
	; wave barrier
	s_and_saveexec_b64 s[6:7], vcc
	s_cbranch_execz .LBB102_418
; %bb.409:
	s_and_b64 vcc, exec, s[4:5]
	s_cbranch_vccnz .LBB102_411
; %bb.410:
	buffer_load_dword v79, v83, s[0:3], 0 offen
	buffer_load_dword v80, v83, s[0:3], 0 offen offset:4
	ds_read_b64 v[84:85], v82
	s_waitcnt vmcnt(0) lgkmcnt(0)
	v_mul_f64 v[79:80], v[79:80], v[84:85]
	s_cbranch_execz .LBB102_412
	s_branch .LBB102_413
.LBB102_411:
                                        ; implicit-def: $vgpr79_vgpr80
.LBB102_412:
	ds_read_b64 v[79:80], v82
.LBB102_413:
	v_cmp_ne_u32_e32 vcc, 4, v0
	s_and_saveexec_b64 s[8:9], vcc
	s_cbranch_execz .LBB102_417
; %bb.414:
	s_mov_b32 s10, 0
	v_add_u32_e32 v84, 0x148, v81
	v_add3_u32 v85, v81, s10, 8
	s_mov_b64 s[10:11], 0
	v_mov_b32_e32 v86, v0
.LBB102_415:                            ; =>This Inner Loop Header: Depth=1
	buffer_load_dword v87, v85, s[0:3], 0 offen
	buffer_load_dword v88, v85, s[0:3], 0 offen offset:4
	ds_read_b64 v[89:90], v84
	v_add_u32_e32 v86, 1, v86
	v_cmp_lt_u32_e32 vcc, 3, v86
	v_add_u32_e32 v84, 8, v84
	s_or_b64 s[10:11], vcc, s[10:11]
	v_add_u32_e32 v85, 8, v85
	s_waitcnt vmcnt(0) lgkmcnt(0)
	v_fma_f64 v[79:80], v[87:88], v[89:90], v[79:80]
	s_andn2_b64 exec, exec, s[10:11]
	s_cbranch_execnz .LBB102_415
; %bb.416:
	s_or_b64 exec, exec, s[10:11]
.LBB102_417:
	s_or_b64 exec, exec, s[8:9]
	v_mov_b32_e32 v84, 0
	ds_read_b64 v[84:85], v84 offset:40
	s_waitcnt lgkmcnt(0)
	v_mul_f64 v[79:80], v[79:80], v[84:85]
	buffer_store_dword v80, off, s[0:3], 0 offset:44
	buffer_store_dword v79, off, s[0:3], 0 offset:40
.LBB102_418:
	;; [unrolled: 59-line block ×33, first 2 shown]
	s_or_b64 exec, exec, s[6:7]
	buffer_load_dword v79, off, s[0:3], 0 offset:296
	buffer_load_dword v80, off, s[0:3], 0 offset:300
	v_cmp_gt_u32_e64 s[6:7], 37, v0
	s_waitcnt vmcnt(0)
	ds_write_b64 v82, v[79:80]
	s_waitcnt lgkmcnt(0)
	; wave barrier
	s_and_saveexec_b64 s[8:9], s[6:7]
	s_cbranch_execz .LBB102_738
; %bb.729:
	s_and_b64 vcc, exec, s[4:5]
	s_cbranch_vccnz .LBB102_731
; %bb.730:
	buffer_load_dword v79, v83, s[0:3], 0 offen
	buffer_load_dword v80, v83, s[0:3], 0 offen offset:4
	ds_read_b64 v[84:85], v82
	s_waitcnt vmcnt(0) lgkmcnt(0)
	v_mul_f64 v[79:80], v[79:80], v[84:85]
	s_cbranch_execz .LBB102_732
	s_branch .LBB102_733
.LBB102_731:
                                        ; implicit-def: $vgpr79_vgpr80
.LBB102_732:
	ds_read_b64 v[79:80], v82
.LBB102_733:
	v_cmp_ne_u32_e32 vcc, 36, v0
	s_and_saveexec_b64 s[10:11], vcc
	s_cbranch_execz .LBB102_737
; %bb.734:
	s_mov_b32 s12, 0
	v_add_u32_e32 v84, 0x148, v81
	v_add3_u32 v85, v81, s12, 8
	s_mov_b64 s[12:13], 0
	v_mov_b32_e32 v86, v0
.LBB102_735:                            ; =>This Inner Loop Header: Depth=1
	buffer_load_dword v87, v85, s[0:3], 0 offen
	buffer_load_dword v88, v85, s[0:3], 0 offen offset:4
	ds_read_b64 v[89:90], v84
	v_add_u32_e32 v86, 1, v86
	v_cmp_lt_u32_e32 vcc, 35, v86
	v_add_u32_e32 v84, 8, v84
	s_or_b64 s[12:13], vcc, s[12:13]
	v_add_u32_e32 v85, 8, v85
	s_waitcnt vmcnt(0) lgkmcnt(0)
	v_fma_f64 v[79:80], v[87:88], v[89:90], v[79:80]
	s_andn2_b64 exec, exec, s[12:13]
	s_cbranch_execnz .LBB102_735
; %bb.736:
	s_or_b64 exec, exec, s[12:13]
.LBB102_737:
	s_or_b64 exec, exec, s[10:11]
	v_mov_b32_e32 v84, 0
	ds_read_b64 v[84:85], v84 offset:296
	s_waitcnt lgkmcnt(0)
	v_mul_f64 v[79:80], v[79:80], v[84:85]
	buffer_store_dword v80, off, s[0:3], 0 offset:300
	buffer_store_dword v79, off, s[0:3], 0 offset:296
.LBB102_738:
	s_or_b64 exec, exec, s[8:9]
	buffer_load_dword v79, off, s[0:3], 0 offset:304
	buffer_load_dword v80, off, s[0:3], 0 offset:308
	v_cmp_ne_u32_e32 vcc, 38, v0
	s_waitcnt vmcnt(0)
	ds_write_b64 v82, v[79:80]
	s_waitcnt lgkmcnt(0)
	; wave barrier
	s_and_saveexec_b64 s[8:9], vcc
	s_cbranch_execz .LBB102_748
; %bb.739:
	s_and_b64 vcc, exec, s[4:5]
	s_cbranch_vccnz .LBB102_741
; %bb.740:
	buffer_load_dword v79, v83, s[0:3], 0 offen
	buffer_load_dword v80, v83, s[0:3], 0 offen offset:4
	ds_read_b64 v[83:84], v82
	s_waitcnt vmcnt(0) lgkmcnt(0)
	v_mul_f64 v[79:80], v[79:80], v[83:84]
	s_cbranch_execz .LBB102_742
	s_branch .LBB102_743
.LBB102_741:
                                        ; implicit-def: $vgpr79_vgpr80
.LBB102_742:
	ds_read_b64 v[79:80], v82
.LBB102_743:
	s_and_saveexec_b64 s[4:5], s[6:7]
	s_cbranch_execz .LBB102_747
; %bb.744:
	s_mov_b32 s6, 0
	v_add_u32_e32 v82, 0x148, v81
	v_add3_u32 v81, v81, s6, 8
	s_mov_b64 s[6:7], 0
.LBB102_745:                            ; =>This Inner Loop Header: Depth=1
	buffer_load_dword v83, v81, s[0:3], 0 offen
	buffer_load_dword v84, v81, s[0:3], 0 offen offset:4
	ds_read_b64 v[85:86], v82
	v_add_u32_e32 v0, 1, v0
	v_cmp_lt_u32_e32 vcc, 36, v0
	v_add_u32_e32 v82, 8, v82
	s_or_b64 s[6:7], vcc, s[6:7]
	v_add_u32_e32 v81, 8, v81
	s_waitcnt vmcnt(0) lgkmcnt(0)
	v_fma_f64 v[79:80], v[83:84], v[85:86], v[79:80]
	s_andn2_b64 exec, exec, s[6:7]
	s_cbranch_execnz .LBB102_745
; %bb.746:
	s_or_b64 exec, exec, s[6:7]
.LBB102_747:
	s_or_b64 exec, exec, s[4:5]
	v_mov_b32_e32 v0, 0
	ds_read_b64 v[81:82], v0 offset:304
	s_waitcnt lgkmcnt(0)
	v_mul_f64 v[79:80], v[79:80], v[81:82]
	buffer_store_dword v80, off, s[0:3], 0 offset:308
	buffer_store_dword v79, off, s[0:3], 0 offset:304
.LBB102_748:
	s_or_b64 exec, exec, s[8:9]
.LBB102_749:
	buffer_load_dword v79, off, s[0:3], 0
	buffer_load_dword v80, off, s[0:3], 0 offset:4
	s_waitcnt vmcnt(0)
	flat_store_dwordx2 v[1:2], v[79:80]
	buffer_load_dword v0, off, s[0:3], 0 offset:8
	s_nop 0
	buffer_load_dword v1, off, s[0:3], 0 offset:12
	s_waitcnt vmcnt(0)
	flat_store_dwordx2 v[3:4], v[0:1]
	buffer_load_dword v0, off, s[0:3], 0 offset:16
	s_nop 0
	;; [unrolled: 5-line block ×38, first 2 shown]
	buffer_load_dword v1, off, s[0:3], 0 offset:308
	s_waitcnt vmcnt(0)
	flat_store_dwordx2 v[77:78], v[0:1]
.LBB102_750:
	s_endpgm
	.section	.rodata,"a",@progbits
	.p2align	6, 0x0
	.amdhsa_kernel _ZN9rocsolver6v33100L18trti2_kernel_smallILi39EdPKPdEEv13rocblas_fill_17rocblas_diagonal_T1_iil
		.amdhsa_group_segment_fixed_size 632
		.amdhsa_private_segment_fixed_size 320
		.amdhsa_kernarg_size 32
		.amdhsa_user_sgpr_count 6
		.amdhsa_user_sgpr_private_segment_buffer 1
		.amdhsa_user_sgpr_dispatch_ptr 0
		.amdhsa_user_sgpr_queue_ptr 0
		.amdhsa_user_sgpr_kernarg_segment_ptr 1
		.amdhsa_user_sgpr_dispatch_id 0
		.amdhsa_user_sgpr_flat_scratch_init 0
		.amdhsa_user_sgpr_private_segment_size 0
		.amdhsa_uses_dynamic_stack 0
		.amdhsa_system_sgpr_private_segment_wavefront_offset 1
		.amdhsa_system_sgpr_workgroup_id_x 1
		.amdhsa_system_sgpr_workgroup_id_y 0
		.amdhsa_system_sgpr_workgroup_id_z 0
		.amdhsa_system_sgpr_workgroup_info 0
		.amdhsa_system_vgpr_workitem_id 0
		.amdhsa_next_free_vgpr 92
		.amdhsa_next_free_sgpr 52
		.amdhsa_reserve_vcc 1
		.amdhsa_reserve_flat_scratch 0
		.amdhsa_float_round_mode_32 0
		.amdhsa_float_round_mode_16_64 0
		.amdhsa_float_denorm_mode_32 3
		.amdhsa_float_denorm_mode_16_64 3
		.amdhsa_dx10_clamp 1
		.amdhsa_ieee_mode 1
		.amdhsa_fp16_overflow 0
		.amdhsa_exception_fp_ieee_invalid_op 0
		.amdhsa_exception_fp_denorm_src 0
		.amdhsa_exception_fp_ieee_div_zero 0
		.amdhsa_exception_fp_ieee_overflow 0
		.amdhsa_exception_fp_ieee_underflow 0
		.amdhsa_exception_fp_ieee_inexact 0
		.amdhsa_exception_int_div_zero 0
	.end_amdhsa_kernel
	.section	.text._ZN9rocsolver6v33100L18trti2_kernel_smallILi39EdPKPdEEv13rocblas_fill_17rocblas_diagonal_T1_iil,"axG",@progbits,_ZN9rocsolver6v33100L18trti2_kernel_smallILi39EdPKPdEEv13rocblas_fill_17rocblas_diagonal_T1_iil,comdat
.Lfunc_end102:
	.size	_ZN9rocsolver6v33100L18trti2_kernel_smallILi39EdPKPdEEv13rocblas_fill_17rocblas_diagonal_T1_iil, .Lfunc_end102-_ZN9rocsolver6v33100L18trti2_kernel_smallILi39EdPKPdEEv13rocblas_fill_17rocblas_diagonal_T1_iil
                                        ; -- End function
	.set _ZN9rocsolver6v33100L18trti2_kernel_smallILi39EdPKPdEEv13rocblas_fill_17rocblas_diagonal_T1_iil.num_vgpr, 92
	.set _ZN9rocsolver6v33100L18trti2_kernel_smallILi39EdPKPdEEv13rocblas_fill_17rocblas_diagonal_T1_iil.num_agpr, 0
	.set _ZN9rocsolver6v33100L18trti2_kernel_smallILi39EdPKPdEEv13rocblas_fill_17rocblas_diagonal_T1_iil.numbered_sgpr, 52
	.set _ZN9rocsolver6v33100L18trti2_kernel_smallILi39EdPKPdEEv13rocblas_fill_17rocblas_diagonal_T1_iil.num_named_barrier, 0
	.set _ZN9rocsolver6v33100L18trti2_kernel_smallILi39EdPKPdEEv13rocblas_fill_17rocblas_diagonal_T1_iil.private_seg_size, 320
	.set _ZN9rocsolver6v33100L18trti2_kernel_smallILi39EdPKPdEEv13rocblas_fill_17rocblas_diagonal_T1_iil.uses_vcc, 1
	.set _ZN9rocsolver6v33100L18trti2_kernel_smallILi39EdPKPdEEv13rocblas_fill_17rocblas_diagonal_T1_iil.uses_flat_scratch, 0
	.set _ZN9rocsolver6v33100L18trti2_kernel_smallILi39EdPKPdEEv13rocblas_fill_17rocblas_diagonal_T1_iil.has_dyn_sized_stack, 0
	.set _ZN9rocsolver6v33100L18trti2_kernel_smallILi39EdPKPdEEv13rocblas_fill_17rocblas_diagonal_T1_iil.has_recursion, 0
	.set _ZN9rocsolver6v33100L18trti2_kernel_smallILi39EdPKPdEEv13rocblas_fill_17rocblas_diagonal_T1_iil.has_indirect_call, 0
	.section	.AMDGPU.csdata,"",@progbits
; Kernel info:
; codeLenInByte = 22988
; TotalNumSgprs: 56
; NumVgprs: 92
; ScratchSize: 320
; MemoryBound: 0
; FloatMode: 240
; IeeeMode: 1
; LDSByteSize: 632 bytes/workgroup (compile time only)
; SGPRBlocks: 6
; VGPRBlocks: 22
; NumSGPRsForWavesPerEU: 56
; NumVGPRsForWavesPerEU: 92
; Occupancy: 2
; WaveLimiterHint : 1
; COMPUTE_PGM_RSRC2:SCRATCH_EN: 1
; COMPUTE_PGM_RSRC2:USER_SGPR: 6
; COMPUTE_PGM_RSRC2:TRAP_HANDLER: 0
; COMPUTE_PGM_RSRC2:TGID_X_EN: 1
; COMPUTE_PGM_RSRC2:TGID_Y_EN: 0
; COMPUTE_PGM_RSRC2:TGID_Z_EN: 0
; COMPUTE_PGM_RSRC2:TIDIG_COMP_CNT: 0
	.section	.text._ZN9rocsolver6v33100L18trti2_kernel_smallILi40EdPKPdEEv13rocblas_fill_17rocblas_diagonal_T1_iil,"axG",@progbits,_ZN9rocsolver6v33100L18trti2_kernel_smallILi40EdPKPdEEv13rocblas_fill_17rocblas_diagonal_T1_iil,comdat
	.globl	_ZN9rocsolver6v33100L18trti2_kernel_smallILi40EdPKPdEEv13rocblas_fill_17rocblas_diagonal_T1_iil ; -- Begin function _ZN9rocsolver6v33100L18trti2_kernel_smallILi40EdPKPdEEv13rocblas_fill_17rocblas_diagonal_T1_iil
	.p2align	8
	.type	_ZN9rocsolver6v33100L18trti2_kernel_smallILi40EdPKPdEEv13rocblas_fill_17rocblas_diagonal_T1_iil,@function
_ZN9rocsolver6v33100L18trti2_kernel_smallILi40EdPKPdEEv13rocblas_fill_17rocblas_diagonal_T1_iil: ; @_ZN9rocsolver6v33100L18trti2_kernel_smallILi40EdPKPdEEv13rocblas_fill_17rocblas_diagonal_T1_iil
; %bb.0:
	s_add_u32 s0, s0, s7
	s_addc_u32 s1, s1, 0
	v_cmp_gt_u32_e32 vcc, 40, v0
	s_and_saveexec_b64 s[8:9], vcc
	s_cbranch_execz .LBB103_770
; %bb.1:
	s_load_dwordx2 s[12:13], s[4:5], 0x10
	s_load_dwordx4 s[8:11], s[4:5], 0x0
	s_ashr_i32 s7, s6, 31
	s_lshl_b64 s[6:7], s[6:7], 3
	v_lshlrev_b32_e32 v83, 3, v0
	s_waitcnt lgkmcnt(0)
	s_ashr_i32 s5, s12, 31
	s_add_u32 s6, s10, s6
	s_addc_u32 s7, s11, s7
	s_load_dwordx2 s[6:7], s[6:7], 0x0
	s_mov_b32 s4, s12
	s_lshl_b64 s[4:5], s[4:5], 3
	s_waitcnt lgkmcnt(0)
	s_add_u32 s4, s6, s4
	s_addc_u32 s5, s7, s5
	v_mov_b32_e32 v2, s5
	v_add_co_u32_e32 v1, vcc, s4, v83
	v_addc_co_u32_e32 v2, vcc, 0, v2, vcc
	flat_load_dwordx2 v[5:6], v[1:2]
	s_mov_b32 s6, s13
	s_ashr_i32 s7, s13, 31
	s_lshl_b64 s[6:7], s[6:7], 3
	v_mov_b32_e32 v4, s7
	v_add_co_u32_e32 v3, vcc, s6, v1
	v_addc_co_u32_e32 v4, vcc, v2, v4, vcc
	s_add_i32 s6, s13, s13
	v_add_u32_e32 v9, s6, v0
	v_ashrrev_i32_e32 v10, 31, v9
	v_mov_b32_e32 v11, s5
	v_add_u32_e32 v12, s13, v9
	v_ashrrev_i32_e32 v13, 31, v12
	v_mov_b32_e32 v14, s5
	v_mov_b32_e32 v15, s5
	;; [unrolled: 1-line block ×36, first 2 shown]
	s_cmpk_lg_i32 s9, 0x84
	s_cselect_b64 s[10:11], -1, 0
	s_cmpk_eq_i32 s9, 0x84
	s_waitcnt vmcnt(0) lgkmcnt(0)
	buffer_store_dword v6, off, s[0:3], 0 offset:4
	buffer_store_dword v5, off, s[0:3], 0
	flat_load_dwordx2 v[7:8], v[3:4]
	v_lshlrev_b64 v[5:6], 3, v[9:10]
	s_waitcnt vmcnt(0) lgkmcnt(0)
	buffer_store_dword v8, off, s[0:3], 0 offset:12
	buffer_store_dword v7, off, s[0:3], 0 offset:8
	v_add_co_u32_e32 v5, vcc, s4, v5
	v_addc_co_u32_e32 v6, vcc, v11, v6, vcc
	flat_load_dwordx2 v[10:11], v[5:6]
	v_lshlrev_b64 v[7:8], 3, v[12:13]
	s_waitcnt vmcnt(0) lgkmcnt(0)
	buffer_store_dword v11, off, s[0:3], 0 offset:20
	buffer_store_dword v10, off, s[0:3], 0 offset:16
	v_add_co_u32_e32 v7, vcc, s4, v7
	v_addc_co_u32_e32 v8, vcc, v14, v8, vcc
	flat_load_dwordx2 v[13:14], v[7:8]
	v_add_u32_e32 v11, s13, v12
	v_ashrrev_i32_e32 v12, 31, v11
	v_lshlrev_b64 v[9:10], 3, v[11:12]
	s_waitcnt vmcnt(0) lgkmcnt(0)
	buffer_store_dword v14, off, s[0:3], 0 offset:28
	buffer_store_dword v13, off, s[0:3], 0 offset:24
	v_add_co_u32_e32 v9, vcc, s4, v9
	v_addc_co_u32_e32 v10, vcc, v15, v10, vcc
	flat_load_dwordx2 v[13:14], v[9:10]
	v_add_u32_e32 v15, s13, v11
	v_ashrrev_i32_e32 v16, 31, v15
	v_lshlrev_b64 v[11:12], 3, v[15:16]
	v_add_u32_e32 v18, s13, v15
	v_add_co_u32_e32 v11, vcc, s4, v11
	v_addc_co_u32_e32 v12, vcc, v17, v12, vcc
	v_ashrrev_i32_e32 v19, 31, v18
	s_waitcnt vmcnt(0) lgkmcnt(0)
	buffer_store_dword v14, off, s[0:3], 0 offset:36
	buffer_store_dword v13, off, s[0:3], 0 offset:32
	flat_load_dwordx2 v[16:17], v[11:12]
	v_lshlrev_b64 v[13:14], 3, v[18:19]
	s_waitcnt vmcnt(0) lgkmcnt(0)
	buffer_store_dword v17, off, s[0:3], 0 offset:44
	buffer_store_dword v16, off, s[0:3], 0 offset:40
	v_add_co_u32_e32 v13, vcc, s4, v13
	v_addc_co_u32_e32 v14, vcc, v20, v14, vcc
	flat_load_dwordx2 v[19:20], v[13:14]
	v_add_u32_e32 v17, s13, v18
	v_ashrrev_i32_e32 v18, 31, v17
	v_lshlrev_b64 v[15:16], 3, v[17:18]
	s_waitcnt vmcnt(0) lgkmcnt(0)
	buffer_store_dword v20, off, s[0:3], 0 offset:52
	buffer_store_dword v19, off, s[0:3], 0 offset:48
	v_add_co_u32_e32 v15, vcc, s4, v15
	v_addc_co_u32_e32 v16, vcc, v21, v16, vcc
	flat_load_dwordx2 v[19:20], v[15:16]
	v_add_u32_e32 v21, s13, v17
	v_ashrrev_i32_e32 v22, 31, v21
	v_lshlrev_b64 v[17:18], 3, v[21:22]
	v_add_u32_e32 v24, s13, v21
	v_add_co_u32_e32 v17, vcc, s4, v17
	v_addc_co_u32_e32 v18, vcc, v23, v18, vcc
	v_ashrrev_i32_e32 v25, 31, v24
	s_waitcnt vmcnt(0) lgkmcnt(0)
	buffer_store_dword v20, off, s[0:3], 0 offset:60
	buffer_store_dword v19, off, s[0:3], 0 offset:56
	;; [unrolled: 27-line block ×7, first 2 shown]
	flat_load_dwordx2 v[52:53], v[47:48]
	v_lshlrev_b64 v[49:50], 3, v[54:55]
	s_waitcnt vmcnt(0) lgkmcnt(0)
	buffer_store_dword v53, off, s[0:3], 0 offset:188
	buffer_store_dword v52, off, s[0:3], 0 offset:184
	v_add_co_u32_e32 v49, vcc, s4, v49
	v_addc_co_u32_e32 v50, vcc, v56, v50, vcc
	flat_load_dwordx2 v[55:56], v[49:50]
	v_add_u32_e32 v53, s13, v54
	v_ashrrev_i32_e32 v54, 31, v53
	v_lshlrev_b64 v[51:52], 3, v[53:54]
	s_waitcnt vmcnt(0) lgkmcnt(0)
	buffer_store_dword v56, off, s[0:3], 0 offset:196
	buffer_store_dword v55, off, s[0:3], 0 offset:192
	v_add_co_u32_e32 v51, vcc, s4, v51
	v_addc_co_u32_e32 v52, vcc, v57, v52, vcc
	flat_load_dwordx2 v[55:56], v[51:52]
	v_add_u32_e32 v57, s13, v53
	v_ashrrev_i32_e32 v58, 31, v57
	v_lshlrev_b64 v[53:54], 3, v[57:58]
	v_add_u32_e32 v60, s13, v57
	v_add_co_u32_e32 v53, vcc, s4, v53
	v_addc_co_u32_e32 v54, vcc, v59, v54, vcc
	s_waitcnt vmcnt(0) lgkmcnt(0)
	buffer_store_dword v56, off, s[0:3], 0 offset:204
	buffer_store_dword v55, off, s[0:3], 0 offset:200
	flat_load_dwordx2 v[58:59], v[53:54]
	v_ashrrev_i32_e32 v61, 31, v60
	v_lshlrev_b64 v[55:56], 3, v[60:61]
	s_waitcnt vmcnt(0) lgkmcnt(0)
	buffer_store_dword v59, off, s[0:3], 0 offset:212
	buffer_store_dword v58, off, s[0:3], 0 offset:208
	v_add_co_u32_e32 v55, vcc, s4, v55
	v_addc_co_u32_e32 v56, vcc, v62, v56, vcc
	flat_load_dwordx2 v[61:62], v[55:56]
	v_add_u32_e32 v59, s13, v60
	v_ashrrev_i32_e32 v60, 31, v59
	v_lshlrev_b64 v[57:58], 3, v[59:60]
	s_waitcnt vmcnt(0) lgkmcnt(0)
	buffer_store_dword v62, off, s[0:3], 0 offset:220
	buffer_store_dword v61, off, s[0:3], 0 offset:216
	v_add_co_u32_e32 v57, vcc, s4, v57
	v_addc_co_u32_e32 v58, vcc, v63, v58, vcc
	flat_load_dwordx2 v[61:62], v[57:58]
	v_add_u32_e32 v63, s13, v59
	v_ashrrev_i32_e32 v64, 31, v63
	v_lshlrev_b64 v[59:60], 3, v[63:64]
	s_waitcnt vmcnt(0) lgkmcnt(0)
	buffer_store_dword v62, off, s[0:3], 0 offset:228
	buffer_store_dword v61, off, s[0:3], 0 offset:224
	v_add_co_u32_e32 v59, vcc, s4, v59
	v_addc_co_u32_e32 v60, vcc, v65, v60, vcc
	flat_load_dwordx2 v[64:65], v[59:60]
	v_add_u32_e32 v66, s13, v63
	v_ashrrev_i32_e32 v67, 31, v66
	v_lshlrev_b64 v[61:62], 3, v[66:67]
	s_waitcnt vmcnt(0) lgkmcnt(0)
	buffer_store_dword v65, off, s[0:3], 0 offset:236
	buffer_store_dword v64, off, s[0:3], 0 offset:232
	v_add_co_u32_e32 v61, vcc, s4, v61
	v_addc_co_u32_e32 v62, vcc, v68, v62, vcc
	flat_load_dwordx2 v[67:68], v[61:62]
	v_add_u32_e32 v65, s13, v66
	v_ashrrev_i32_e32 v66, 31, v65
	v_lshlrev_b64 v[63:64], 3, v[65:66]
	s_waitcnt vmcnt(0) lgkmcnt(0)
	buffer_store_dword v68, off, s[0:3], 0 offset:244
	buffer_store_dword v67, off, s[0:3], 0 offset:240
	v_add_co_u32_e32 v63, vcc, s4, v63
	v_addc_co_u32_e32 v64, vcc, v69, v64, vcc
	flat_load_dwordx2 v[67:68], v[63:64]
	v_add_u32_e32 v69, s13, v65
	v_ashrrev_i32_e32 v70, 31, v69
	v_lshlrev_b64 v[65:66], 3, v[69:70]
	s_waitcnt vmcnt(0) lgkmcnt(0)
	buffer_store_dword v68, off, s[0:3], 0 offset:252
	buffer_store_dword v67, off, s[0:3], 0 offset:248
	v_add_co_u32_e32 v65, vcc, s4, v65
	v_addc_co_u32_e32 v66, vcc, v71, v66, vcc
	flat_load_dwordx2 v[70:71], v[65:66]
	v_add_u32_e32 v72, s13, v69
	v_ashrrev_i32_e32 v73, 31, v72
	v_lshlrev_b64 v[67:68], 3, v[72:73]
	s_waitcnt vmcnt(0) lgkmcnt(0)
	buffer_store_dword v71, off, s[0:3], 0 offset:260
	buffer_store_dword v70, off, s[0:3], 0 offset:256
	v_add_co_u32_e32 v67, vcc, s4, v67
	v_addc_co_u32_e32 v68, vcc, v74, v68, vcc
	flat_load_dwordx2 v[73:74], v[67:68]
	v_add_u32_e32 v71, s13, v72
	v_ashrrev_i32_e32 v72, 31, v71
	v_lshlrev_b64 v[69:70], 3, v[71:72]
	s_waitcnt vmcnt(0) lgkmcnt(0)
	buffer_store_dword v74, off, s[0:3], 0 offset:268
	buffer_store_dword v73, off, s[0:3], 0 offset:264
	v_add_co_u32_e32 v69, vcc, s4, v69
	v_addc_co_u32_e32 v70, vcc, v75, v70, vcc
	flat_load_dwordx2 v[73:74], v[69:70]
	v_add_u32_e32 v75, s13, v71
	v_ashrrev_i32_e32 v76, 31, v75
	v_lshlrev_b64 v[71:72], 3, v[75:76]
	s_waitcnt vmcnt(0) lgkmcnt(0)
	buffer_store_dword v74, off, s[0:3], 0 offset:276
	buffer_store_dword v73, off, s[0:3], 0 offset:272
	v_add_co_u32_e32 v71, vcc, s4, v71
	v_addc_co_u32_e32 v72, vcc, v77, v72, vcc
	flat_load_dwordx2 v[76:77], v[71:72]
	v_add_u32_e32 v78, s13, v75
	v_ashrrev_i32_e32 v79, 31, v78
	v_lshlrev_b64 v[73:74], 3, v[78:79]
	s_waitcnt vmcnt(0) lgkmcnt(0)
	buffer_store_dword v77, off, s[0:3], 0 offset:284
	buffer_store_dword v76, off, s[0:3], 0 offset:280
	v_add_co_u32_e32 v73, vcc, s4, v73
	v_addc_co_u32_e32 v74, vcc, v80, v74, vcc
	flat_load_dwordx2 v[79:80], v[73:74]
	v_add_u32_e32 v77, s13, v78
	v_ashrrev_i32_e32 v78, 31, v77
	v_lshlrev_b64 v[75:76], 3, v[77:78]
	s_waitcnt vmcnt(0) lgkmcnt(0)
	buffer_store_dword v80, off, s[0:3], 0 offset:292
	buffer_store_dword v79, off, s[0:3], 0 offset:288
	v_add_co_u32_e32 v75, vcc, s4, v75
	v_addc_co_u32_e32 v76, vcc, v81, v76, vcc
	flat_load_dwordx2 v[79:80], v[75:76]
	v_add_u32_e32 v81, s13, v77
	v_ashrrev_i32_e32 v82, 31, v81
	v_lshlrev_b64 v[77:78], 3, v[81:82]
	s_waitcnt vmcnt(0) lgkmcnt(0)
	buffer_store_dword v80, off, s[0:3], 0 offset:300
	buffer_store_dword v79, off, s[0:3], 0 offset:296
	v_add_co_u32_e32 v77, vcc, s4, v77
	v_addc_co_u32_e32 v78, vcc, v84, v78, vcc
	flat_load_dwordx2 v[84:85], v[77:78]
	v_add_u32_e32 v79, s13, v81
	v_ashrrev_i32_e32 v80, 31, v79
	v_lshlrev_b64 v[79:80], 3, v[79:80]
	v_mov_b32_e32 v82, s5
	v_add_co_u32_e32 v79, vcc, s4, v79
	v_addc_co_u32_e32 v80, vcc, v82, v80, vcc
	s_waitcnt vmcnt(0) lgkmcnt(0)
	buffer_store_dword v85, off, s[0:3], 0 offset:308
	buffer_store_dword v84, off, s[0:3], 0 offset:304
	flat_load_dwordx2 v[84:85], v[79:80]
	v_mov_b32_e32 v81, 0
	v_mov_b32_e32 v82, 0xbff00000
	s_waitcnt vmcnt(0) lgkmcnt(0)
	buffer_store_dword v85, off, s[0:3], 0 offset:316
	buffer_store_dword v84, off, s[0:3], 0 offset:312
	s_cbranch_scc1 .LBB103_3
; %bb.2:
	v_mov_b32_e32 v81, 0
	v_lshl_add_u32 v92, v0, 3, v81
	buffer_load_dword v81, v92, s[0:3], 0 offen
	buffer_load_dword v82, v92, s[0:3], 0 offen offset:4
	s_waitcnt vmcnt(0)
	v_div_scale_f64 v[84:85], s[4:5], v[81:82], v[81:82], 1.0
	v_rcp_f64_e32 v[86:87], v[84:85]
	v_fma_f64 v[88:89], -v[84:85], v[86:87], 1.0
	v_fma_f64 v[86:87], v[86:87], v[88:89], v[86:87]
	v_div_scale_f64 v[88:89], vcc, 1.0, v[81:82], 1.0
	v_fma_f64 v[90:91], -v[84:85], v[86:87], 1.0
	v_fma_f64 v[86:87], v[86:87], v[90:91], v[86:87]
	v_mul_f64 v[90:91], v[88:89], v[86:87]
	v_fma_f64 v[84:85], -v[84:85], v[90:91], v[88:89]
	v_div_fmas_f64 v[84:85], v[84:85], v[86:87], v[90:91]
	v_div_fixup_f64 v[81:82], v[84:85], v[81:82], 1.0
	buffer_store_dword v81, v92, s[0:3], 0 offen
	buffer_store_dword v82, v92, s[0:3], 0 offen offset:4
	v_xor_b32_e32 v82, 0x80000000, v82
.LBB103_3:
	s_cmpk_eq_i32 s8, 0x79
	v_add_u32_e32 v84, 0x140, v83
	v_mov_b32_e32 v85, v83
	s_mov_b64 s[4:5], -1
	ds_write_b64 v83, v[81:82]
	s_cbranch_scc1 .LBB103_387
; %bb.4:
	buffer_load_dword v81, off, s[0:3], 0 offset:304
	buffer_load_dword v82, off, s[0:3], 0 offset:308
	s_movk_i32 s12, 0x48
	s_movk_i32 s13, 0x50
	;; [unrolled: 1-line block ×29, first 2 shown]
	v_cmp_eq_u32_e64 s[4:5], 39, v0
	s_waitcnt vmcnt(0)
	ds_write_b64 v84, v[81:82]
	s_waitcnt lgkmcnt(0)
	; wave barrier
	s_and_saveexec_b64 s[6:7], s[4:5]
	s_cbranch_execz .LBB103_10
; %bb.5:
	s_and_b64 vcc, exec, s[10:11]
	s_cbranch_vccz .LBB103_7
; %bb.6:
	buffer_load_dword v81, v85, s[0:3], 0 offen
	buffer_load_dword v82, v85, s[0:3], 0 offen offset:4
	ds_read_b64 v[86:87], v84
	s_waitcnt vmcnt(0) lgkmcnt(0)
	v_mul_f64 v[81:82], v[81:82], v[86:87]
	s_cbranch_execz .LBB103_8
	s_branch .LBB103_9
.LBB103_7:
                                        ; implicit-def: $vgpr81_vgpr82
.LBB103_8:
	ds_read_b64 v[81:82], v84
.LBB103_9:
	v_mov_b32_e32 v86, 0
	ds_read_b64 v[86:87], v86 offset:304
	s_waitcnt lgkmcnt(0)
	v_mul_f64 v[81:82], v[81:82], v[86:87]
	buffer_store_dword v82, off, s[0:3], 0 offset:308
	buffer_store_dword v81, off, s[0:3], 0 offset:304
.LBB103_10:
	s_or_b64 exec, exec, s[6:7]
	buffer_load_dword v81, off, s[0:3], 0 offset:296
	buffer_load_dword v82, off, s[0:3], 0 offset:300
	s_or_b32 s14, 0, 8
	s_mov_b32 s15, 16
	s_mov_b32 s16, 24
	;; [unrolled: 1-line block ×9, first 2 shown]
	v_cmp_lt_u32_e64 s[8:9], 37, v0
	s_waitcnt vmcnt(0)
	ds_write_b64 v84, v[81:82]
	s_waitcnt lgkmcnt(0)
	; wave barrier
	s_and_saveexec_b64 s[6:7], s[8:9]
	s_cbranch_execz .LBB103_16
; %bb.11:
	s_andn2_b64 vcc, exec, s[10:11]
	s_cbranch_vccnz .LBB103_13
; %bb.12:
	buffer_load_dword v81, v85, s[0:3], 0 offen
	buffer_load_dword v82, v85, s[0:3], 0 offen offset:4
	ds_read_b64 v[86:87], v84
	s_waitcnt vmcnt(0) lgkmcnt(0)
	v_mul_f64 v[81:82], v[81:82], v[86:87]
	s_cbranch_execz .LBB103_14
	s_branch .LBB103_15
.LBB103_13:
                                        ; implicit-def: $vgpr81_vgpr82
.LBB103_14:
	ds_read_b64 v[81:82], v84
.LBB103_15:
	buffer_load_dword v90, off, s[0:3], 0 offset:304
	buffer_load_dword v91, off, s[0:3], 0 offset:308
	v_mov_b32_e32 v86, 0
	ds_read2_b64 v[86:89], v86 offset0:37 offset1:78
	s_waitcnt vmcnt(0) lgkmcnt(0)
	v_fma_f64 v[88:89], v[90:91], v[88:89], v[81:82]
	v_cndmask_b32_e64 v82, v82, v89, s[4:5]
	v_cndmask_b32_e64 v81, v81, v88, s[4:5]
	v_mul_f64 v[81:82], v[81:82], v[86:87]
	buffer_store_dword v82, off, s[0:3], 0 offset:300
	buffer_store_dword v81, off, s[0:3], 0 offset:296
.LBB103_16:
	s_or_b64 exec, exec, s[6:7]
	buffer_load_dword v81, off, s[0:3], 0 offset:288
	buffer_load_dword v82, off, s[0:3], 0 offset:292
	v_cmp_lt_u32_e64 s[6:7], 36, v0
	s_waitcnt vmcnt(0)
	ds_write_b64 v84, v[81:82]
	s_waitcnt lgkmcnt(0)
	; wave barrier
	s_and_saveexec_b64 s[4:5], s[6:7]
	s_cbranch_execz .LBB103_26
; %bb.17:
	s_andn2_b64 vcc, exec, s[10:11]
	s_cbranch_vccnz .LBB103_19
; %bb.18:
	buffer_load_dword v81, v85, s[0:3], 0 offen
	buffer_load_dword v82, v85, s[0:3], 0 offen offset:4
	ds_read_b64 v[86:87], v84
	s_waitcnt vmcnt(0) lgkmcnt(0)
	v_mul_f64 v[81:82], v[81:82], v[86:87]
	s_cbranch_execz .LBB103_20
	s_branch .LBB103_21
.LBB103_19:
                                        ; implicit-def: $vgpr81_vgpr82
.LBB103_20:
	ds_read_b64 v[81:82], v84
.LBB103_21:
	s_and_saveexec_b64 s[12:13], s[8:9]
	s_cbranch_execz .LBB103_25
; %bb.22:
	v_subrev_u32_e32 v86, 37, v0
	s_movk_i32 s52, 0x268
	s_mov_b64 s[8:9], 0
.LBB103_23:                             ; =>This Inner Loop Header: Depth=1
	v_mov_b32_e32 v88, s51
	buffer_load_dword v87, v88, s[0:3], 0 offen
	s_nop 0
	buffer_load_dword v88, v88, s[0:3], 0 offen offset:4
	v_mov_b32_e32 v89, s52
	ds_read_b64 v[89:90], v89
	v_add_u32_e32 v86, -1, v86
	s_add_i32 s52, s52, 8
	s_add_i32 s51, s51, 8
	v_cmp_eq_u32_e32 vcc, 0, v86
	s_or_b64 s[8:9], vcc, s[8:9]
	s_waitcnt vmcnt(0) lgkmcnt(0)
	v_fma_f64 v[81:82], v[87:88], v[89:90], v[81:82]
	s_andn2_b64 exec, exec, s[8:9]
	s_cbranch_execnz .LBB103_23
; %bb.24:
	s_or_b64 exec, exec, s[8:9]
.LBB103_25:
	s_or_b64 exec, exec, s[12:13]
	v_mov_b32_e32 v86, 0
	ds_read_b64 v[86:87], v86 offset:288
	s_waitcnt lgkmcnt(0)
	v_mul_f64 v[81:82], v[81:82], v[86:87]
	buffer_store_dword v82, off, s[0:3], 0 offset:292
	buffer_store_dword v81, off, s[0:3], 0 offset:288
.LBB103_26:
	s_or_b64 exec, exec, s[4:5]
	buffer_load_dword v81, off, s[0:3], 0 offset:280
	buffer_load_dword v82, off, s[0:3], 0 offset:284
	v_cmp_lt_u32_e64 s[4:5], 35, v0
	s_waitcnt vmcnt(0)
	ds_write_b64 v84, v[81:82]
	s_waitcnt lgkmcnt(0)
	; wave barrier
	s_and_saveexec_b64 s[8:9], s[4:5]
	s_cbranch_execz .LBB103_36
; %bb.27:
	s_andn2_b64 vcc, exec, s[10:11]
	s_cbranch_vccnz .LBB103_29
; %bb.28:
	buffer_load_dword v81, v85, s[0:3], 0 offen
	buffer_load_dword v82, v85, s[0:3], 0 offen offset:4
	ds_read_b64 v[86:87], v84
	s_waitcnt vmcnt(0) lgkmcnt(0)
	v_mul_f64 v[81:82], v[81:82], v[86:87]
	s_cbranch_execz .LBB103_30
	s_branch .LBB103_31
.LBB103_29:
                                        ; implicit-def: $vgpr81_vgpr82
.LBB103_30:
	ds_read_b64 v[81:82], v84
.LBB103_31:
	s_and_saveexec_b64 s[12:13], s[6:7]
	s_cbranch_execz .LBB103_35
; %bb.32:
	v_subrev_u32_e32 v86, 36, v0
	s_movk_i32 s51, 0x260
	s_mov_b64 s[6:7], 0
.LBB103_33:                             ; =>This Inner Loop Header: Depth=1
	v_mov_b32_e32 v89, s50
	buffer_load_dword v87, v89, s[0:3], 0 offen
	buffer_load_dword v88, v89, s[0:3], 0 offen offset:4
	v_mov_b32_e32 v89, s51
	ds_read_b64 v[89:90], v89
	v_add_u32_e32 v86, -1, v86
	s_add_i32 s51, s51, 8
	s_add_i32 s50, s50, 8
	v_cmp_eq_u32_e32 vcc, 0, v86
	s_or_b64 s[6:7], vcc, s[6:7]
	s_waitcnt vmcnt(0) lgkmcnt(0)
	v_fma_f64 v[81:82], v[87:88], v[89:90], v[81:82]
	s_andn2_b64 exec, exec, s[6:7]
	s_cbranch_execnz .LBB103_33
; %bb.34:
	s_or_b64 exec, exec, s[6:7]
.LBB103_35:
	s_or_b64 exec, exec, s[12:13]
	v_mov_b32_e32 v86, 0
	ds_read_b64 v[86:87], v86 offset:280
	s_waitcnt lgkmcnt(0)
	v_mul_f64 v[81:82], v[81:82], v[86:87]
	buffer_store_dword v82, off, s[0:3], 0 offset:284
	buffer_store_dword v81, off, s[0:3], 0 offset:280
.LBB103_36:
	s_or_b64 exec, exec, s[8:9]
	buffer_load_dword v81, off, s[0:3], 0 offset:272
	buffer_load_dword v82, off, s[0:3], 0 offset:276
	v_cmp_lt_u32_e64 s[6:7], 34, v0
	s_waitcnt vmcnt(0)
	ds_write_b64 v84, v[81:82]
	s_waitcnt lgkmcnt(0)
	; wave barrier
	s_and_saveexec_b64 s[8:9], s[6:7]
	s_cbranch_execz .LBB103_46
; %bb.37:
	s_andn2_b64 vcc, exec, s[10:11]
	s_cbranch_vccnz .LBB103_39
; %bb.38:
	buffer_load_dword v81, v85, s[0:3], 0 offen
	buffer_load_dword v82, v85, s[0:3], 0 offen offset:4
	ds_read_b64 v[86:87], v84
	s_waitcnt vmcnt(0) lgkmcnt(0)
	v_mul_f64 v[81:82], v[81:82], v[86:87]
	s_cbranch_execz .LBB103_40
	s_branch .LBB103_41
.LBB103_39:
                                        ; implicit-def: $vgpr81_vgpr82
.LBB103_40:
	ds_read_b64 v[81:82], v84
.LBB103_41:
	s_and_saveexec_b64 s[12:13], s[4:5]
	s_cbranch_execz .LBB103_45
; %bb.42:
	v_subrev_u32_e32 v86, 35, v0
	s_movk_i32 s50, 0x258
	s_mov_b64 s[4:5], 0
.LBB103_43:                             ; =>This Inner Loop Header: Depth=1
	v_mov_b32_e32 v89, s49
	buffer_load_dword v87, v89, s[0:3], 0 offen
	buffer_load_dword v88, v89, s[0:3], 0 offen offset:4
	v_mov_b32_e32 v89, s50
	ds_read_b64 v[89:90], v89
	v_add_u32_e32 v86, -1, v86
	s_add_i32 s50, s50, 8
	s_add_i32 s49, s49, 8
	v_cmp_eq_u32_e32 vcc, 0, v86
	s_or_b64 s[4:5], vcc, s[4:5]
	s_waitcnt vmcnt(0) lgkmcnt(0)
	v_fma_f64 v[81:82], v[87:88], v[89:90], v[81:82]
	s_andn2_b64 exec, exec, s[4:5]
	s_cbranch_execnz .LBB103_43
; %bb.44:
	s_or_b64 exec, exec, s[4:5]
.LBB103_45:
	s_or_b64 exec, exec, s[12:13]
	v_mov_b32_e32 v86, 0
	ds_read_b64 v[86:87], v86 offset:272
	s_waitcnt lgkmcnt(0)
	v_mul_f64 v[81:82], v[81:82], v[86:87]
	buffer_store_dword v82, off, s[0:3], 0 offset:276
	buffer_store_dword v81, off, s[0:3], 0 offset:272
.LBB103_46:
	;; [unrolled: 58-line block ×7, first 2 shown]
	s_or_b64 exec, exec, s[8:9]
	buffer_load_dword v81, off, s[0:3], 0 offset:224
	buffer_load_dword v82, off, s[0:3], 0 offset:228
	v_cmp_lt_u32_e64 s[6:7], 28, v0
	s_waitcnt vmcnt(0)
	ds_write_b64 v84, v[81:82]
	s_waitcnt lgkmcnt(0)
	; wave barrier
	s_and_saveexec_b64 s[8:9], s[6:7]
	s_cbranch_execz .LBB103_106
; %bb.97:
	s_andn2_b64 vcc, exec, s[10:11]
	s_cbranch_vccnz .LBB103_99
; %bb.98:
	buffer_load_dword v81, v85, s[0:3], 0 offen
	buffer_load_dword v82, v85, s[0:3], 0 offen offset:4
	ds_read_b64 v[86:87], v84
	s_waitcnt vmcnt(0) lgkmcnt(0)
	v_mul_f64 v[81:82], v[81:82], v[86:87]
	s_cbranch_execz .LBB103_100
	s_branch .LBB103_101
.LBB103_99:
                                        ; implicit-def: $vgpr81_vgpr82
.LBB103_100:
	ds_read_b64 v[81:82], v84
.LBB103_101:
	s_and_saveexec_b64 s[12:13], s[4:5]
	s_cbranch_execz .LBB103_105
; %bb.102:
	v_subrev_u32_e32 v86, 29, v0
	s_movk_i32 s44, 0x228
	s_mov_b64 s[4:5], 0
.LBB103_103:                            ; =>This Inner Loop Header: Depth=1
	v_mov_b32_e32 v89, s43
	buffer_load_dword v87, v89, s[0:3], 0 offen
	buffer_load_dword v88, v89, s[0:3], 0 offen offset:4
	v_mov_b32_e32 v89, s44
	ds_read_b64 v[89:90], v89
	v_add_u32_e32 v86, -1, v86
	s_add_i32 s44, s44, 8
	s_add_i32 s43, s43, 8
	v_cmp_eq_u32_e32 vcc, 0, v86
	s_or_b64 s[4:5], vcc, s[4:5]
	s_waitcnt vmcnt(0) lgkmcnt(0)
	v_fma_f64 v[81:82], v[87:88], v[89:90], v[81:82]
	s_andn2_b64 exec, exec, s[4:5]
	s_cbranch_execnz .LBB103_103
; %bb.104:
	s_or_b64 exec, exec, s[4:5]
.LBB103_105:
	s_or_b64 exec, exec, s[12:13]
	v_mov_b32_e32 v86, 0
	ds_read_b64 v[86:87], v86 offset:224
	s_waitcnt lgkmcnt(0)
	v_mul_f64 v[81:82], v[81:82], v[86:87]
	buffer_store_dword v82, off, s[0:3], 0 offset:228
	buffer_store_dword v81, off, s[0:3], 0 offset:224
.LBB103_106:
	s_or_b64 exec, exec, s[8:9]
	buffer_load_dword v81, off, s[0:3], 0 offset:216
	buffer_load_dword v82, off, s[0:3], 0 offset:220
	v_cmp_lt_u32_e64 s[4:5], 27, v0
	s_waitcnt vmcnt(0)
	ds_write_b64 v84, v[81:82]
	s_waitcnt lgkmcnt(0)
	; wave barrier
	s_and_saveexec_b64 s[8:9], s[4:5]
	s_cbranch_execz .LBB103_116
; %bb.107:
	s_andn2_b64 vcc, exec, s[10:11]
	s_cbranch_vccnz .LBB103_109
; %bb.108:
	buffer_load_dword v81, v85, s[0:3], 0 offen
	buffer_load_dword v82, v85, s[0:3], 0 offen offset:4
	ds_read_b64 v[86:87], v84
	s_waitcnt vmcnt(0) lgkmcnt(0)
	v_mul_f64 v[81:82], v[81:82], v[86:87]
	s_cbranch_execz .LBB103_110
	s_branch .LBB103_111
.LBB103_109:
                                        ; implicit-def: $vgpr81_vgpr82
.LBB103_110:
	ds_read_b64 v[81:82], v84
.LBB103_111:
	s_and_saveexec_b64 s[12:13], s[6:7]
	s_cbranch_execz .LBB103_115
; %bb.112:
	v_subrev_u32_e32 v86, 28, v0
	s_movk_i32 s43, 0x220
	s_mov_b64 s[6:7], 0
.LBB103_113:                            ; =>This Inner Loop Header: Depth=1
	v_mov_b32_e32 v89, s42
	buffer_load_dword v87, v89, s[0:3], 0 offen
	buffer_load_dword v88, v89, s[0:3], 0 offen offset:4
	v_mov_b32_e32 v89, s43
	ds_read_b64 v[89:90], v89
	v_add_u32_e32 v86, -1, v86
	s_add_i32 s43, s43, 8
	s_add_i32 s42, s42, 8
	v_cmp_eq_u32_e32 vcc, 0, v86
	s_or_b64 s[6:7], vcc, s[6:7]
	s_waitcnt vmcnt(0) lgkmcnt(0)
	v_fma_f64 v[81:82], v[87:88], v[89:90], v[81:82]
	s_andn2_b64 exec, exec, s[6:7]
	s_cbranch_execnz .LBB103_113
; %bb.114:
	s_or_b64 exec, exec, s[6:7]
.LBB103_115:
	s_or_b64 exec, exec, s[12:13]
	v_mov_b32_e32 v86, 0
	ds_read_b64 v[86:87], v86 offset:216
	s_waitcnt lgkmcnt(0)
	v_mul_f64 v[81:82], v[81:82], v[86:87]
	buffer_store_dword v82, off, s[0:3], 0 offset:220
	buffer_store_dword v81, off, s[0:3], 0 offset:216
.LBB103_116:
	;; [unrolled: 58-line block ×13, first 2 shown]
	s_or_b64 exec, exec, s[8:9]
	buffer_load_dword v81, off, s[0:3], 0 offset:120
	buffer_load_dword v82, off, s[0:3], 0 offset:124
	v_cmp_lt_u32_e64 s[4:5], 15, v0
	s_waitcnt vmcnt(0)
	ds_write_b64 v84, v[81:82]
	s_waitcnt lgkmcnt(0)
	; wave barrier
	s_and_saveexec_b64 s[8:9], s[4:5]
	s_cbranch_execz .LBB103_236
; %bb.227:
	s_andn2_b64 vcc, exec, s[10:11]
	s_cbranch_vccnz .LBB103_229
; %bb.228:
	buffer_load_dword v81, v85, s[0:3], 0 offen
	buffer_load_dword v82, v85, s[0:3], 0 offen offset:4
	ds_read_b64 v[86:87], v84
	s_waitcnt vmcnt(0) lgkmcnt(0)
	v_mul_f64 v[81:82], v[81:82], v[86:87]
	s_cbranch_execz .LBB103_230
	s_branch .LBB103_231
.LBB103_229:
                                        ; implicit-def: $vgpr81_vgpr82
.LBB103_230:
	ds_read_b64 v[81:82], v84
.LBB103_231:
	s_and_saveexec_b64 s[12:13], s[6:7]
	s_cbranch_execz .LBB103_235
; %bb.232:
	v_add_u32_e32 v86, -16, v0
	s_movk_i32 s30, 0x1c0
	s_mov_b64 s[6:7], 0
.LBB103_233:                            ; =>This Inner Loop Header: Depth=1
	v_mov_b32_e32 v89, s29
	buffer_load_dword v87, v89, s[0:3], 0 offen
	buffer_load_dword v88, v89, s[0:3], 0 offen offset:4
	v_mov_b32_e32 v89, s30
	ds_read_b64 v[89:90], v89
	v_add_u32_e32 v86, -1, v86
	s_add_i32 s30, s30, 8
	s_add_i32 s29, s29, 8
	v_cmp_eq_u32_e32 vcc, 0, v86
	s_or_b64 s[6:7], vcc, s[6:7]
	s_waitcnt vmcnt(0) lgkmcnt(0)
	v_fma_f64 v[81:82], v[87:88], v[89:90], v[81:82]
	s_andn2_b64 exec, exec, s[6:7]
	s_cbranch_execnz .LBB103_233
; %bb.234:
	s_or_b64 exec, exec, s[6:7]
.LBB103_235:
	s_or_b64 exec, exec, s[12:13]
	v_mov_b32_e32 v86, 0
	ds_read_b64 v[86:87], v86 offset:120
	s_waitcnt lgkmcnt(0)
	v_mul_f64 v[81:82], v[81:82], v[86:87]
	buffer_store_dword v82, off, s[0:3], 0 offset:124
	buffer_store_dword v81, off, s[0:3], 0 offset:120
.LBB103_236:
	s_or_b64 exec, exec, s[8:9]
	buffer_load_dword v81, off, s[0:3], 0 offset:112
	buffer_load_dword v82, off, s[0:3], 0 offset:116
	v_cmp_lt_u32_e64 s[6:7], 14, v0
	s_waitcnt vmcnt(0)
	ds_write_b64 v84, v[81:82]
	s_waitcnt lgkmcnt(0)
	; wave barrier
	s_and_saveexec_b64 s[8:9], s[6:7]
	s_cbranch_execz .LBB103_246
; %bb.237:
	s_andn2_b64 vcc, exec, s[10:11]
	s_cbranch_vccnz .LBB103_239
; %bb.238:
	buffer_load_dword v81, v85, s[0:3], 0 offen
	buffer_load_dword v82, v85, s[0:3], 0 offen offset:4
	ds_read_b64 v[86:87], v84
	s_waitcnt vmcnt(0) lgkmcnt(0)
	v_mul_f64 v[81:82], v[81:82], v[86:87]
	s_cbranch_execz .LBB103_240
	s_branch .LBB103_241
.LBB103_239:
                                        ; implicit-def: $vgpr81_vgpr82
.LBB103_240:
	ds_read_b64 v[81:82], v84
.LBB103_241:
	s_and_saveexec_b64 s[12:13], s[4:5]
	s_cbranch_execz .LBB103_245
; %bb.242:
	v_add_u32_e32 v86, -15, v0
	s_movk_i32 s29, 0x1b8
	s_mov_b64 s[4:5], 0
.LBB103_243:                            ; =>This Inner Loop Header: Depth=1
	v_mov_b32_e32 v89, s28
	buffer_load_dword v87, v89, s[0:3], 0 offen
	buffer_load_dword v88, v89, s[0:3], 0 offen offset:4
	v_mov_b32_e32 v89, s29
	ds_read_b64 v[89:90], v89
	v_add_u32_e32 v86, -1, v86
	s_add_i32 s29, s29, 8
	s_add_i32 s28, s28, 8
	v_cmp_eq_u32_e32 vcc, 0, v86
	s_or_b64 s[4:5], vcc, s[4:5]
	s_waitcnt vmcnt(0) lgkmcnt(0)
	v_fma_f64 v[81:82], v[87:88], v[89:90], v[81:82]
	s_andn2_b64 exec, exec, s[4:5]
	s_cbranch_execnz .LBB103_243
; %bb.244:
	s_or_b64 exec, exec, s[4:5]
.LBB103_245:
	s_or_b64 exec, exec, s[12:13]
	v_mov_b32_e32 v86, 0
	ds_read_b64 v[86:87], v86 offset:112
	s_waitcnt lgkmcnt(0)
	v_mul_f64 v[81:82], v[81:82], v[86:87]
	buffer_store_dword v82, off, s[0:3], 0 offset:116
	buffer_store_dword v81, off, s[0:3], 0 offset:112
.LBB103_246:
	;; [unrolled: 58-line block ×15, first 2 shown]
	s_or_b64 exec, exec, s[8:9]
	buffer_load_dword v81, off, s[0:3], 0
	buffer_load_dword v82, off, s[0:3], 0 offset:4
	v_cmp_ne_u32_e32 vcc, 0, v0
	s_waitcnt vmcnt(0)
	ds_write_b64 v84, v[81:82]
	s_waitcnt lgkmcnt(0)
	; wave barrier
	s_and_saveexec_b64 s[6:7], vcc
	s_cbranch_execz .LBB103_386
; %bb.377:
	s_andn2_b64 vcc, exec, s[10:11]
	s_cbranch_vccnz .LBB103_379
; %bb.378:
	buffer_load_dword v81, v85, s[0:3], 0 offen
	buffer_load_dword v82, v85, s[0:3], 0 offen offset:4
	ds_read_b64 v[86:87], v84
	s_waitcnt vmcnt(0) lgkmcnt(0)
	v_mul_f64 v[81:82], v[81:82], v[86:87]
	s_cbranch_execz .LBB103_380
	s_branch .LBB103_381
.LBB103_379:
                                        ; implicit-def: $vgpr81_vgpr82
.LBB103_380:
	ds_read_b64 v[81:82], v84
.LBB103_381:
	s_and_saveexec_b64 s[8:9], s[4:5]
	s_cbranch_execz .LBB103_385
; %bb.382:
	v_add_u32_e32 v86, -1, v0
	s_movk_i32 s12, 0x148
	s_mov_b64 s[4:5], 0
.LBB103_383:                            ; =>This Inner Loop Header: Depth=1
	v_mov_b32_e32 v89, s14
	buffer_load_dword v87, v89, s[0:3], 0 offen
	buffer_load_dword v88, v89, s[0:3], 0 offen offset:4
	v_mov_b32_e32 v89, s12
	ds_read_b64 v[89:90], v89
	v_add_u32_e32 v86, -1, v86
	s_add_i32 s12, s12, 8
	s_add_i32 s14, s14, 8
	v_cmp_eq_u32_e32 vcc, 0, v86
	s_or_b64 s[4:5], vcc, s[4:5]
	s_waitcnt vmcnt(0) lgkmcnt(0)
	v_fma_f64 v[81:82], v[87:88], v[89:90], v[81:82]
	s_andn2_b64 exec, exec, s[4:5]
	s_cbranch_execnz .LBB103_383
; %bb.384:
	s_or_b64 exec, exec, s[4:5]
.LBB103_385:
	s_or_b64 exec, exec, s[8:9]
	v_mov_b32_e32 v86, 0
	ds_read_b64 v[86:87], v86
	s_waitcnt lgkmcnt(0)
	v_mul_f64 v[81:82], v[81:82], v[86:87]
	buffer_store_dword v82, off, s[0:3], 0 offset:4
	buffer_store_dword v81, off, s[0:3], 0
.LBB103_386:
	s_or_b64 exec, exec, s[6:7]
	s_mov_b64 s[4:5], 0
.LBB103_387:
	s_and_b64 vcc, exec, s[4:5]
	s_cbranch_vccz .LBB103_769
; %bb.388:
	buffer_load_dword v81, off, s[0:3], 0 offset:8
	buffer_load_dword v82, off, s[0:3], 0 offset:12
	v_cmp_eq_u32_e64 s[6:7], 0, v0
	s_waitcnt vmcnt(0)
	ds_write_b64 v84, v[81:82]
	s_waitcnt lgkmcnt(0)
	; wave barrier
	s_and_saveexec_b64 s[4:5], s[6:7]
	s_cbranch_execz .LBB103_394
; %bb.389:
	s_and_b64 vcc, exec, s[10:11]
	s_cbranch_vccz .LBB103_391
; %bb.390:
	buffer_load_dword v81, v85, s[0:3], 0 offen
	buffer_load_dword v82, v85, s[0:3], 0 offen offset:4
	ds_read_b64 v[86:87], v84
	s_waitcnt vmcnt(0) lgkmcnt(0)
	v_mul_f64 v[81:82], v[81:82], v[86:87]
	s_cbranch_execz .LBB103_392
	s_branch .LBB103_393
.LBB103_391:
                                        ; implicit-def: $vgpr81_vgpr82
.LBB103_392:
	ds_read_b64 v[81:82], v84
.LBB103_393:
	v_mov_b32_e32 v86, 0
	ds_read_b64 v[86:87], v86 offset:8
	s_waitcnt lgkmcnt(0)
	v_mul_f64 v[81:82], v[81:82], v[86:87]
	buffer_store_dword v82, off, s[0:3], 0 offset:12
	buffer_store_dword v81, off, s[0:3], 0 offset:8
.LBB103_394:
	s_or_b64 exec, exec, s[4:5]
	buffer_load_dword v81, off, s[0:3], 0 offset:16
	buffer_load_dword v82, off, s[0:3], 0 offset:20
	v_cndmask_b32_e64 v86, 0, 1, s[10:11]
	v_cmp_gt_u32_e32 vcc, 2, v0
	v_cmp_ne_u32_e64 s[4:5], 1, v86
	s_waitcnt vmcnt(0)
	ds_write_b64 v84, v[81:82]
	s_waitcnt lgkmcnt(0)
	; wave barrier
	s_and_saveexec_b64 s[8:9], vcc
	s_cbranch_execz .LBB103_400
; %bb.395:
	s_and_b64 vcc, exec, s[4:5]
	s_cbranch_vccnz .LBB103_397
; %bb.396:
	buffer_load_dword v81, v85, s[0:3], 0 offen
	buffer_load_dword v82, v85, s[0:3], 0 offen offset:4
	ds_read_b64 v[86:87], v84
	s_waitcnt vmcnt(0) lgkmcnt(0)
	v_mul_f64 v[81:82], v[81:82], v[86:87]
	s_cbranch_execz .LBB103_398
	s_branch .LBB103_399
.LBB103_397:
                                        ; implicit-def: $vgpr81_vgpr82
.LBB103_398:
	ds_read_b64 v[81:82], v84
.LBB103_399:
	buffer_load_dword v90, off, s[0:3], 0 offset:8
	buffer_load_dword v91, off, s[0:3], 0 offset:12
	v_mov_b32_e32 v86, 0
	ds_read2_b64 v[86:89], v86 offset0:2 offset1:41
	s_waitcnt vmcnt(0) lgkmcnt(0)
	v_fma_f64 v[88:89], v[90:91], v[88:89], v[81:82]
	v_cndmask_b32_e64 v82, v82, v89, s[6:7]
	v_cndmask_b32_e64 v81, v81, v88, s[6:7]
	v_mul_f64 v[81:82], v[81:82], v[86:87]
	buffer_store_dword v82, off, s[0:3], 0 offset:20
	buffer_store_dword v81, off, s[0:3], 0 offset:16
.LBB103_400:
	s_or_b64 exec, exec, s[8:9]
	buffer_load_dword v81, off, s[0:3], 0 offset:24
	buffer_load_dword v82, off, s[0:3], 0 offset:28
	v_cmp_gt_u32_e32 vcc, 3, v0
	s_waitcnt vmcnt(0)
	ds_write_b64 v84, v[81:82]
	s_waitcnt lgkmcnt(0)
	; wave barrier
	s_and_saveexec_b64 s[8:9], vcc
	s_cbranch_execz .LBB103_408
; %bb.401:
	s_and_b64 vcc, exec, s[4:5]
	s_cbranch_vccnz .LBB103_403
; %bb.402:
	buffer_load_dword v81, v85, s[0:3], 0 offen
	buffer_load_dword v82, v85, s[0:3], 0 offen offset:4
	ds_read_b64 v[86:87], v84
	s_waitcnt vmcnt(0) lgkmcnt(0)
	v_mul_f64 v[81:82], v[81:82], v[86:87]
	s_cbranch_execz .LBB103_404
	s_branch .LBB103_405
.LBB103_403:
                                        ; implicit-def: $vgpr81_vgpr82
.LBB103_404:
	ds_read_b64 v[81:82], v84
.LBB103_405:
	v_cmp_ne_u32_e32 vcc, 2, v0
	s_and_saveexec_b64 s[10:11], vcc
	s_cbranch_execz .LBB103_407
; %bb.406:
	buffer_load_dword v86, v85, s[0:3], 0 offen offset:8
	buffer_load_dword v87, v85, s[0:3], 0 offen offset:12
	buffer_load_dword v88, off, s[0:3], 0 offset:16
	buffer_load_dword v89, off, s[0:3], 0 offset:20
	ds_read_b64 v[90:91], v84 offset:8
	v_mov_b32_e32 v92, 0
	ds_read_b64 v[92:93], v92 offset:336
	s_waitcnt vmcnt(2) lgkmcnt(1)
	v_fma_f64 v[81:82], v[86:87], v[90:91], v[81:82]
	s_waitcnt vmcnt(0) lgkmcnt(0)
	v_fma_f64 v[86:87], v[88:89], v[92:93], v[81:82]
	v_cndmask_b32_e64 v82, v82, v87, s[6:7]
	v_cndmask_b32_e64 v81, v81, v86, s[6:7]
.LBB103_407:
	s_or_b64 exec, exec, s[10:11]
	v_mov_b32_e32 v86, 0
	ds_read_b64 v[86:87], v86 offset:24
	s_waitcnt lgkmcnt(0)
	v_mul_f64 v[81:82], v[81:82], v[86:87]
	buffer_store_dword v82, off, s[0:3], 0 offset:28
	buffer_store_dword v81, off, s[0:3], 0 offset:24
.LBB103_408:
	s_or_b64 exec, exec, s[8:9]
	buffer_load_dword v81, off, s[0:3], 0 offset:32
	buffer_load_dword v82, off, s[0:3], 0 offset:36
	v_cmp_gt_u32_e32 vcc, 4, v0
	s_waitcnt vmcnt(0)
	ds_write_b64 v84, v[81:82]
	s_waitcnt lgkmcnt(0)
	; wave barrier
	s_and_saveexec_b64 s[6:7], vcc
	s_cbranch_execz .LBB103_418
; %bb.409:
	s_and_b64 vcc, exec, s[4:5]
	s_cbranch_vccnz .LBB103_411
; %bb.410:
	buffer_load_dword v81, v85, s[0:3], 0 offen
	buffer_load_dword v82, v85, s[0:3], 0 offen offset:4
	ds_read_b64 v[86:87], v84
	s_waitcnt vmcnt(0) lgkmcnt(0)
	v_mul_f64 v[81:82], v[81:82], v[86:87]
	s_cbranch_execz .LBB103_412
	s_branch .LBB103_413
.LBB103_411:
                                        ; implicit-def: $vgpr81_vgpr82
.LBB103_412:
	ds_read_b64 v[81:82], v84
.LBB103_413:
	v_cmp_ne_u32_e32 vcc, 3, v0
	s_and_saveexec_b64 s[8:9], vcc
	s_cbranch_execz .LBB103_417
; %bb.414:
	s_mov_b32 s10, 0
	v_add_u32_e32 v86, 0x148, v83
	v_add3_u32 v87, v83, s10, 8
	s_mov_b64 s[10:11], 0
	v_mov_b32_e32 v88, v0
.LBB103_415:                            ; =>This Inner Loop Header: Depth=1
	buffer_load_dword v89, v87, s[0:3], 0 offen
	buffer_load_dword v90, v87, s[0:3], 0 offen offset:4
	ds_read_b64 v[91:92], v86
	v_add_u32_e32 v88, 1, v88
	v_cmp_lt_u32_e32 vcc, 2, v88
	v_add_u32_e32 v86, 8, v86
	s_or_b64 s[10:11], vcc, s[10:11]
	v_add_u32_e32 v87, 8, v87
	s_waitcnt vmcnt(0) lgkmcnt(0)
	v_fma_f64 v[81:82], v[89:90], v[91:92], v[81:82]
	s_andn2_b64 exec, exec, s[10:11]
	s_cbranch_execnz .LBB103_415
; %bb.416:
	s_or_b64 exec, exec, s[10:11]
.LBB103_417:
	s_or_b64 exec, exec, s[8:9]
	v_mov_b32_e32 v86, 0
	ds_read_b64 v[86:87], v86 offset:32
	s_waitcnt lgkmcnt(0)
	v_mul_f64 v[81:82], v[81:82], v[86:87]
	buffer_store_dword v82, off, s[0:3], 0 offset:36
	buffer_store_dword v81, off, s[0:3], 0 offset:32
.LBB103_418:
	s_or_b64 exec, exec, s[6:7]
	buffer_load_dword v81, off, s[0:3], 0 offset:40
	buffer_load_dword v82, off, s[0:3], 0 offset:44
	v_cmp_gt_u32_e32 vcc, 5, v0
	s_waitcnt vmcnt(0)
	ds_write_b64 v84, v[81:82]
	s_waitcnt lgkmcnt(0)
	; wave barrier
	s_and_saveexec_b64 s[6:7], vcc
	s_cbranch_execz .LBB103_428
; %bb.419:
	s_and_b64 vcc, exec, s[4:5]
	s_cbranch_vccnz .LBB103_421
; %bb.420:
	buffer_load_dword v81, v85, s[0:3], 0 offen
	buffer_load_dword v82, v85, s[0:3], 0 offen offset:4
	ds_read_b64 v[86:87], v84
	s_waitcnt vmcnt(0) lgkmcnt(0)
	v_mul_f64 v[81:82], v[81:82], v[86:87]
	s_cbranch_execz .LBB103_422
	s_branch .LBB103_423
.LBB103_421:
                                        ; implicit-def: $vgpr81_vgpr82
.LBB103_422:
	ds_read_b64 v[81:82], v84
.LBB103_423:
	v_cmp_ne_u32_e32 vcc, 4, v0
	s_and_saveexec_b64 s[8:9], vcc
	s_cbranch_execz .LBB103_427
; %bb.424:
	s_mov_b32 s10, 0
	v_add_u32_e32 v86, 0x148, v83
	v_add3_u32 v87, v83, s10, 8
	s_mov_b64 s[10:11], 0
	v_mov_b32_e32 v88, v0
.LBB103_425:                            ; =>This Inner Loop Header: Depth=1
	buffer_load_dword v89, v87, s[0:3], 0 offen
	buffer_load_dword v90, v87, s[0:3], 0 offen offset:4
	ds_read_b64 v[91:92], v86
	v_add_u32_e32 v88, 1, v88
	v_cmp_lt_u32_e32 vcc, 3, v88
	v_add_u32_e32 v86, 8, v86
	s_or_b64 s[10:11], vcc, s[10:11]
	v_add_u32_e32 v87, 8, v87
	s_waitcnt vmcnt(0) lgkmcnt(0)
	v_fma_f64 v[81:82], v[89:90], v[91:92], v[81:82]
	s_andn2_b64 exec, exec, s[10:11]
	s_cbranch_execnz .LBB103_425
; %bb.426:
	s_or_b64 exec, exec, s[10:11]
.LBB103_427:
	s_or_b64 exec, exec, s[8:9]
	v_mov_b32_e32 v86, 0
	ds_read_b64 v[86:87], v86 offset:40
	s_waitcnt lgkmcnt(0)
	v_mul_f64 v[81:82], v[81:82], v[86:87]
	buffer_store_dword v82, off, s[0:3], 0 offset:44
	buffer_store_dword v81, off, s[0:3], 0 offset:40
.LBB103_428:
	;; [unrolled: 59-line block ×34, first 2 shown]
	s_or_b64 exec, exec, s[6:7]
	buffer_load_dword v81, off, s[0:3], 0 offset:304
	buffer_load_dword v82, off, s[0:3], 0 offset:308
	v_cmp_gt_u32_e64 s[6:7], 38, v0
	s_waitcnt vmcnt(0)
	ds_write_b64 v84, v[81:82]
	s_waitcnt lgkmcnt(0)
	; wave barrier
	s_and_saveexec_b64 s[8:9], s[6:7]
	s_cbranch_execz .LBB103_758
; %bb.749:
	s_and_b64 vcc, exec, s[4:5]
	s_cbranch_vccnz .LBB103_751
; %bb.750:
	buffer_load_dword v81, v85, s[0:3], 0 offen
	buffer_load_dword v82, v85, s[0:3], 0 offen offset:4
	ds_read_b64 v[86:87], v84
	s_waitcnt vmcnt(0) lgkmcnt(0)
	v_mul_f64 v[81:82], v[81:82], v[86:87]
	s_cbranch_execz .LBB103_752
	s_branch .LBB103_753
.LBB103_751:
                                        ; implicit-def: $vgpr81_vgpr82
.LBB103_752:
	ds_read_b64 v[81:82], v84
.LBB103_753:
	v_cmp_ne_u32_e32 vcc, 37, v0
	s_and_saveexec_b64 s[10:11], vcc
	s_cbranch_execz .LBB103_757
; %bb.754:
	s_mov_b32 s12, 0
	v_add_u32_e32 v86, 0x148, v83
	v_add3_u32 v87, v83, s12, 8
	s_mov_b64 s[12:13], 0
	v_mov_b32_e32 v88, v0
.LBB103_755:                            ; =>This Inner Loop Header: Depth=1
	buffer_load_dword v89, v87, s[0:3], 0 offen
	buffer_load_dword v90, v87, s[0:3], 0 offen offset:4
	ds_read_b64 v[91:92], v86
	v_add_u32_e32 v88, 1, v88
	v_cmp_lt_u32_e32 vcc, 36, v88
	v_add_u32_e32 v86, 8, v86
	s_or_b64 s[12:13], vcc, s[12:13]
	v_add_u32_e32 v87, 8, v87
	s_waitcnt vmcnt(0) lgkmcnt(0)
	v_fma_f64 v[81:82], v[89:90], v[91:92], v[81:82]
	s_andn2_b64 exec, exec, s[12:13]
	s_cbranch_execnz .LBB103_755
; %bb.756:
	s_or_b64 exec, exec, s[12:13]
.LBB103_757:
	s_or_b64 exec, exec, s[10:11]
	v_mov_b32_e32 v86, 0
	ds_read_b64 v[86:87], v86 offset:304
	s_waitcnt lgkmcnt(0)
	v_mul_f64 v[81:82], v[81:82], v[86:87]
	buffer_store_dword v82, off, s[0:3], 0 offset:308
	buffer_store_dword v81, off, s[0:3], 0 offset:304
.LBB103_758:
	s_or_b64 exec, exec, s[8:9]
	buffer_load_dword v81, off, s[0:3], 0 offset:312
	buffer_load_dword v82, off, s[0:3], 0 offset:316
	v_cmp_ne_u32_e32 vcc, 39, v0
	s_waitcnt vmcnt(0)
	ds_write_b64 v84, v[81:82]
	s_waitcnt lgkmcnt(0)
	; wave barrier
	s_and_saveexec_b64 s[8:9], vcc
	s_cbranch_execz .LBB103_768
; %bb.759:
	s_and_b64 vcc, exec, s[4:5]
	s_cbranch_vccnz .LBB103_761
; %bb.760:
	buffer_load_dword v81, v85, s[0:3], 0 offen
	buffer_load_dword v82, v85, s[0:3], 0 offen offset:4
	ds_read_b64 v[85:86], v84
	s_waitcnt vmcnt(0) lgkmcnt(0)
	v_mul_f64 v[81:82], v[81:82], v[85:86]
	s_cbranch_execz .LBB103_762
	s_branch .LBB103_763
.LBB103_761:
                                        ; implicit-def: $vgpr81_vgpr82
.LBB103_762:
	ds_read_b64 v[81:82], v84
.LBB103_763:
	s_and_saveexec_b64 s[4:5], s[6:7]
	s_cbranch_execz .LBB103_767
; %bb.764:
	s_mov_b32 s6, 0
	v_add_u32_e32 v84, 0x148, v83
	v_add3_u32 v83, v83, s6, 8
	s_mov_b64 s[6:7], 0
.LBB103_765:                            ; =>This Inner Loop Header: Depth=1
	buffer_load_dword v85, v83, s[0:3], 0 offen
	buffer_load_dword v86, v83, s[0:3], 0 offen offset:4
	ds_read_b64 v[87:88], v84
	v_add_u32_e32 v0, 1, v0
	v_cmp_lt_u32_e32 vcc, 37, v0
	v_add_u32_e32 v84, 8, v84
	s_or_b64 s[6:7], vcc, s[6:7]
	v_add_u32_e32 v83, 8, v83
	s_waitcnt vmcnt(0) lgkmcnt(0)
	v_fma_f64 v[81:82], v[85:86], v[87:88], v[81:82]
	s_andn2_b64 exec, exec, s[6:7]
	s_cbranch_execnz .LBB103_765
; %bb.766:
	s_or_b64 exec, exec, s[6:7]
.LBB103_767:
	s_or_b64 exec, exec, s[4:5]
	v_mov_b32_e32 v0, 0
	ds_read_b64 v[83:84], v0 offset:312
	s_waitcnt lgkmcnt(0)
	v_mul_f64 v[81:82], v[81:82], v[83:84]
	buffer_store_dword v82, off, s[0:3], 0 offset:316
	buffer_store_dword v81, off, s[0:3], 0 offset:312
.LBB103_768:
	s_or_b64 exec, exec, s[8:9]
.LBB103_769:
	buffer_load_dword v81, off, s[0:3], 0
	buffer_load_dword v82, off, s[0:3], 0 offset:4
	s_waitcnt vmcnt(0)
	flat_store_dwordx2 v[1:2], v[81:82]
	buffer_load_dword v0, off, s[0:3], 0 offset:8
	s_nop 0
	buffer_load_dword v1, off, s[0:3], 0 offset:12
	s_waitcnt vmcnt(0)
	flat_store_dwordx2 v[3:4], v[0:1]
	buffer_load_dword v0, off, s[0:3], 0 offset:16
	s_nop 0
	;; [unrolled: 5-line block ×39, first 2 shown]
	buffer_load_dword v1, off, s[0:3], 0 offset:316
	s_waitcnt vmcnt(0)
	flat_store_dwordx2 v[79:80], v[0:1]
.LBB103_770:
	s_endpgm
	.section	.rodata,"a",@progbits
	.p2align	6, 0x0
	.amdhsa_kernel _ZN9rocsolver6v33100L18trti2_kernel_smallILi40EdPKPdEEv13rocblas_fill_17rocblas_diagonal_T1_iil
		.amdhsa_group_segment_fixed_size 640
		.amdhsa_private_segment_fixed_size 336
		.amdhsa_kernarg_size 32
		.amdhsa_user_sgpr_count 6
		.amdhsa_user_sgpr_private_segment_buffer 1
		.amdhsa_user_sgpr_dispatch_ptr 0
		.amdhsa_user_sgpr_queue_ptr 0
		.amdhsa_user_sgpr_kernarg_segment_ptr 1
		.amdhsa_user_sgpr_dispatch_id 0
		.amdhsa_user_sgpr_flat_scratch_init 0
		.amdhsa_user_sgpr_private_segment_size 0
		.amdhsa_uses_dynamic_stack 0
		.amdhsa_system_sgpr_private_segment_wavefront_offset 1
		.amdhsa_system_sgpr_workgroup_id_x 1
		.amdhsa_system_sgpr_workgroup_id_y 0
		.amdhsa_system_sgpr_workgroup_id_z 0
		.amdhsa_system_sgpr_workgroup_info 0
		.amdhsa_system_vgpr_workitem_id 0
		.amdhsa_next_free_vgpr 94
		.amdhsa_next_free_sgpr 53
		.amdhsa_reserve_vcc 1
		.amdhsa_reserve_flat_scratch 0
		.amdhsa_float_round_mode_32 0
		.amdhsa_float_round_mode_16_64 0
		.amdhsa_float_denorm_mode_32 3
		.amdhsa_float_denorm_mode_16_64 3
		.amdhsa_dx10_clamp 1
		.amdhsa_ieee_mode 1
		.amdhsa_fp16_overflow 0
		.amdhsa_exception_fp_ieee_invalid_op 0
		.amdhsa_exception_fp_denorm_src 0
		.amdhsa_exception_fp_ieee_div_zero 0
		.amdhsa_exception_fp_ieee_overflow 0
		.amdhsa_exception_fp_ieee_underflow 0
		.amdhsa_exception_fp_ieee_inexact 0
		.amdhsa_exception_int_div_zero 0
	.end_amdhsa_kernel
	.section	.text._ZN9rocsolver6v33100L18trti2_kernel_smallILi40EdPKPdEEv13rocblas_fill_17rocblas_diagonal_T1_iil,"axG",@progbits,_ZN9rocsolver6v33100L18trti2_kernel_smallILi40EdPKPdEEv13rocblas_fill_17rocblas_diagonal_T1_iil,comdat
.Lfunc_end103:
	.size	_ZN9rocsolver6v33100L18trti2_kernel_smallILi40EdPKPdEEv13rocblas_fill_17rocblas_diagonal_T1_iil, .Lfunc_end103-_ZN9rocsolver6v33100L18trti2_kernel_smallILi40EdPKPdEEv13rocblas_fill_17rocblas_diagonal_T1_iil
                                        ; -- End function
	.set _ZN9rocsolver6v33100L18trti2_kernel_smallILi40EdPKPdEEv13rocblas_fill_17rocblas_diagonal_T1_iil.num_vgpr, 94
	.set _ZN9rocsolver6v33100L18trti2_kernel_smallILi40EdPKPdEEv13rocblas_fill_17rocblas_diagonal_T1_iil.num_agpr, 0
	.set _ZN9rocsolver6v33100L18trti2_kernel_smallILi40EdPKPdEEv13rocblas_fill_17rocblas_diagonal_T1_iil.numbered_sgpr, 53
	.set _ZN9rocsolver6v33100L18trti2_kernel_smallILi40EdPKPdEEv13rocblas_fill_17rocblas_diagonal_T1_iil.num_named_barrier, 0
	.set _ZN9rocsolver6v33100L18trti2_kernel_smallILi40EdPKPdEEv13rocblas_fill_17rocblas_diagonal_T1_iil.private_seg_size, 336
	.set _ZN9rocsolver6v33100L18trti2_kernel_smallILi40EdPKPdEEv13rocblas_fill_17rocblas_diagonal_T1_iil.uses_vcc, 1
	.set _ZN9rocsolver6v33100L18trti2_kernel_smallILi40EdPKPdEEv13rocblas_fill_17rocblas_diagonal_T1_iil.uses_flat_scratch, 0
	.set _ZN9rocsolver6v33100L18trti2_kernel_smallILi40EdPKPdEEv13rocblas_fill_17rocblas_diagonal_T1_iil.has_dyn_sized_stack, 0
	.set _ZN9rocsolver6v33100L18trti2_kernel_smallILi40EdPKPdEEv13rocblas_fill_17rocblas_diagonal_T1_iil.has_recursion, 0
	.set _ZN9rocsolver6v33100L18trti2_kernel_smallILi40EdPKPdEEv13rocblas_fill_17rocblas_diagonal_T1_iil.has_indirect_call, 0
	.section	.AMDGPU.csdata,"",@progbits
; Kernel info:
; codeLenInByte = 23600
; TotalNumSgprs: 57
; NumVgprs: 94
; ScratchSize: 336
; MemoryBound: 0
; FloatMode: 240
; IeeeMode: 1
; LDSByteSize: 640 bytes/workgroup (compile time only)
; SGPRBlocks: 7
; VGPRBlocks: 23
; NumSGPRsForWavesPerEU: 57
; NumVGPRsForWavesPerEU: 94
; Occupancy: 2
; WaveLimiterHint : 1
; COMPUTE_PGM_RSRC2:SCRATCH_EN: 1
; COMPUTE_PGM_RSRC2:USER_SGPR: 6
; COMPUTE_PGM_RSRC2:TRAP_HANDLER: 0
; COMPUTE_PGM_RSRC2:TGID_X_EN: 1
; COMPUTE_PGM_RSRC2:TGID_Y_EN: 0
; COMPUTE_PGM_RSRC2:TGID_Z_EN: 0
; COMPUTE_PGM_RSRC2:TIDIG_COMP_CNT: 0
	.section	.text._ZN9rocsolver6v33100L18trti2_kernel_smallILi41EdPKPdEEv13rocblas_fill_17rocblas_diagonal_T1_iil,"axG",@progbits,_ZN9rocsolver6v33100L18trti2_kernel_smallILi41EdPKPdEEv13rocblas_fill_17rocblas_diagonal_T1_iil,comdat
	.globl	_ZN9rocsolver6v33100L18trti2_kernel_smallILi41EdPKPdEEv13rocblas_fill_17rocblas_diagonal_T1_iil ; -- Begin function _ZN9rocsolver6v33100L18trti2_kernel_smallILi41EdPKPdEEv13rocblas_fill_17rocblas_diagonal_T1_iil
	.p2align	8
	.type	_ZN9rocsolver6v33100L18trti2_kernel_smallILi41EdPKPdEEv13rocblas_fill_17rocblas_diagonal_T1_iil,@function
_ZN9rocsolver6v33100L18trti2_kernel_smallILi41EdPKPdEEv13rocblas_fill_17rocblas_diagonal_T1_iil: ; @_ZN9rocsolver6v33100L18trti2_kernel_smallILi41EdPKPdEEv13rocblas_fill_17rocblas_diagonal_T1_iil
; %bb.0:
	s_add_u32 s0, s0, s7
	s_addc_u32 s1, s1, 0
	v_cmp_gt_u32_e32 vcc, 41, v0
	s_and_saveexec_b64 s[8:9], vcc
	s_cbranch_execz .LBB104_790
; %bb.1:
	s_load_dwordx2 s[12:13], s[4:5], 0x10
	s_load_dwordx4 s[8:11], s[4:5], 0x0
	s_ashr_i32 s7, s6, 31
	s_lshl_b64 s[6:7], s[6:7], 3
	v_lshlrev_b32_e32 v85, 3, v0
	s_waitcnt lgkmcnt(0)
	s_ashr_i32 s5, s12, 31
	s_add_u32 s6, s10, s6
	s_addc_u32 s7, s11, s7
	s_load_dwordx2 s[6:7], s[6:7], 0x0
	s_mov_b32 s4, s12
	s_lshl_b64 s[4:5], s[4:5], 3
	s_waitcnt lgkmcnt(0)
	s_add_u32 s4, s6, s4
	s_addc_u32 s5, s7, s5
	v_mov_b32_e32 v2, s5
	v_add_co_u32_e32 v1, vcc, s4, v85
	v_addc_co_u32_e32 v2, vcc, 0, v2, vcc
	flat_load_dwordx2 v[5:6], v[1:2]
	s_mov_b32 s6, s13
	s_ashr_i32 s7, s13, 31
	s_lshl_b64 s[6:7], s[6:7], 3
	v_mov_b32_e32 v4, s7
	v_add_co_u32_e32 v3, vcc, s6, v1
	v_addc_co_u32_e32 v4, vcc, v2, v4, vcc
	s_add_i32 s6, s13, s13
	v_add_u32_e32 v9, s6, v0
	v_ashrrev_i32_e32 v10, 31, v9
	v_mov_b32_e32 v11, s5
	v_add_u32_e32 v12, s13, v9
	v_ashrrev_i32_e32 v13, 31, v12
	v_mov_b32_e32 v14, s5
	v_mov_b32_e32 v15, s5
	;; [unrolled: 1-line block ×37, first 2 shown]
	s_cmpk_lg_i32 s9, 0x84
	s_cselect_b64 s[10:11], -1, 0
	s_cmpk_eq_i32 s9, 0x84
	s_waitcnt vmcnt(0) lgkmcnt(0)
	buffer_store_dword v6, off, s[0:3], 0 offset:4
	buffer_store_dword v5, off, s[0:3], 0
	flat_load_dwordx2 v[7:8], v[3:4]
	v_lshlrev_b64 v[5:6], 3, v[9:10]
	s_waitcnt vmcnt(0) lgkmcnt(0)
	buffer_store_dword v8, off, s[0:3], 0 offset:12
	buffer_store_dword v7, off, s[0:3], 0 offset:8
	v_add_co_u32_e32 v5, vcc, s4, v5
	v_addc_co_u32_e32 v6, vcc, v11, v6, vcc
	flat_load_dwordx2 v[10:11], v[5:6]
	v_lshlrev_b64 v[7:8], 3, v[12:13]
	s_waitcnt vmcnt(0) lgkmcnt(0)
	buffer_store_dword v11, off, s[0:3], 0 offset:20
	buffer_store_dword v10, off, s[0:3], 0 offset:16
	v_add_co_u32_e32 v7, vcc, s4, v7
	v_addc_co_u32_e32 v8, vcc, v14, v8, vcc
	flat_load_dwordx2 v[13:14], v[7:8]
	v_add_u32_e32 v11, s13, v12
	v_ashrrev_i32_e32 v12, 31, v11
	v_lshlrev_b64 v[9:10], 3, v[11:12]
	s_waitcnt vmcnt(0) lgkmcnt(0)
	buffer_store_dword v14, off, s[0:3], 0 offset:28
	buffer_store_dword v13, off, s[0:3], 0 offset:24
	v_add_co_u32_e32 v9, vcc, s4, v9
	v_addc_co_u32_e32 v10, vcc, v15, v10, vcc
	flat_load_dwordx2 v[13:14], v[9:10]
	v_add_u32_e32 v15, s13, v11
	v_ashrrev_i32_e32 v16, 31, v15
	v_lshlrev_b64 v[11:12], 3, v[15:16]
	v_add_u32_e32 v18, s13, v15
	v_add_co_u32_e32 v11, vcc, s4, v11
	v_addc_co_u32_e32 v12, vcc, v17, v12, vcc
	v_ashrrev_i32_e32 v19, 31, v18
	s_waitcnt vmcnt(0) lgkmcnt(0)
	buffer_store_dword v14, off, s[0:3], 0 offset:36
	buffer_store_dword v13, off, s[0:3], 0 offset:32
	flat_load_dwordx2 v[16:17], v[11:12]
	v_lshlrev_b64 v[13:14], 3, v[18:19]
	s_waitcnt vmcnt(0) lgkmcnt(0)
	buffer_store_dword v17, off, s[0:3], 0 offset:44
	buffer_store_dword v16, off, s[0:3], 0 offset:40
	v_add_co_u32_e32 v13, vcc, s4, v13
	v_addc_co_u32_e32 v14, vcc, v20, v14, vcc
	flat_load_dwordx2 v[19:20], v[13:14]
	v_add_u32_e32 v17, s13, v18
	v_ashrrev_i32_e32 v18, 31, v17
	v_lshlrev_b64 v[15:16], 3, v[17:18]
	s_waitcnt vmcnt(0) lgkmcnt(0)
	buffer_store_dword v20, off, s[0:3], 0 offset:52
	buffer_store_dword v19, off, s[0:3], 0 offset:48
	v_add_co_u32_e32 v15, vcc, s4, v15
	v_addc_co_u32_e32 v16, vcc, v21, v16, vcc
	flat_load_dwordx2 v[19:20], v[15:16]
	v_add_u32_e32 v21, s13, v17
	v_ashrrev_i32_e32 v22, 31, v21
	v_lshlrev_b64 v[17:18], 3, v[21:22]
	v_add_u32_e32 v24, s13, v21
	v_add_co_u32_e32 v17, vcc, s4, v17
	v_addc_co_u32_e32 v18, vcc, v23, v18, vcc
	v_ashrrev_i32_e32 v25, 31, v24
	s_waitcnt vmcnt(0) lgkmcnt(0)
	buffer_store_dword v20, off, s[0:3], 0 offset:60
	buffer_store_dword v19, off, s[0:3], 0 offset:56
	;; [unrolled: 27-line block ×7, first 2 shown]
	flat_load_dwordx2 v[52:53], v[47:48]
	v_lshlrev_b64 v[49:50], 3, v[54:55]
	s_waitcnt vmcnt(0) lgkmcnt(0)
	buffer_store_dword v53, off, s[0:3], 0 offset:188
	buffer_store_dword v52, off, s[0:3], 0 offset:184
	v_add_co_u32_e32 v49, vcc, s4, v49
	v_addc_co_u32_e32 v50, vcc, v56, v50, vcc
	flat_load_dwordx2 v[55:56], v[49:50]
	v_add_u32_e32 v53, s13, v54
	v_ashrrev_i32_e32 v54, 31, v53
	v_lshlrev_b64 v[51:52], 3, v[53:54]
	s_waitcnt vmcnt(0) lgkmcnt(0)
	buffer_store_dword v56, off, s[0:3], 0 offset:196
	buffer_store_dword v55, off, s[0:3], 0 offset:192
	v_add_co_u32_e32 v51, vcc, s4, v51
	v_addc_co_u32_e32 v52, vcc, v57, v52, vcc
	flat_load_dwordx2 v[55:56], v[51:52]
	v_add_u32_e32 v57, s13, v53
	v_ashrrev_i32_e32 v58, 31, v57
	v_lshlrev_b64 v[53:54], 3, v[57:58]
	v_add_u32_e32 v60, s13, v57
	v_add_co_u32_e32 v53, vcc, s4, v53
	v_addc_co_u32_e32 v54, vcc, v59, v54, vcc
	s_waitcnt vmcnt(0) lgkmcnt(0)
	buffer_store_dword v56, off, s[0:3], 0 offset:204
	buffer_store_dword v55, off, s[0:3], 0 offset:200
	flat_load_dwordx2 v[58:59], v[53:54]
	v_ashrrev_i32_e32 v61, 31, v60
	v_lshlrev_b64 v[55:56], 3, v[60:61]
	s_waitcnt vmcnt(0) lgkmcnt(0)
	buffer_store_dword v59, off, s[0:3], 0 offset:212
	buffer_store_dword v58, off, s[0:3], 0 offset:208
	v_add_co_u32_e32 v55, vcc, s4, v55
	v_addc_co_u32_e32 v56, vcc, v62, v56, vcc
	flat_load_dwordx2 v[61:62], v[55:56]
	v_add_u32_e32 v59, s13, v60
	v_ashrrev_i32_e32 v60, 31, v59
	v_lshlrev_b64 v[57:58], 3, v[59:60]
	s_waitcnt vmcnt(0) lgkmcnt(0)
	buffer_store_dword v62, off, s[0:3], 0 offset:220
	buffer_store_dword v61, off, s[0:3], 0 offset:216
	v_add_co_u32_e32 v57, vcc, s4, v57
	v_addc_co_u32_e32 v58, vcc, v63, v58, vcc
	flat_load_dwordx2 v[61:62], v[57:58]
	v_add_u32_e32 v63, s13, v59
	;; [unrolled: 9-line block ×13, first 2 shown]
	v_ashrrev_i32_e32 v82, 31, v81
	v_lshlrev_b64 v[81:82], 3, v[81:82]
	v_mov_b32_e32 v87, s5
	v_add_co_u32_e32 v81, vcc, s4, v81
	v_addc_co_u32_e32 v82, vcc, v87, v82, vcc
	s_waitcnt vmcnt(0) lgkmcnt(0)
	buffer_store_dword v84, off, s[0:3], 0 offset:316
	buffer_store_dword v83, off, s[0:3], 0 offset:312
	flat_load_dwordx2 v[86:87], v[81:82]
	v_mov_b32_e32 v83, 0
	v_mov_b32_e32 v84, 0xbff00000
	s_waitcnt vmcnt(0) lgkmcnt(0)
	buffer_store_dword v87, off, s[0:3], 0 offset:324
	buffer_store_dword v86, off, s[0:3], 0 offset:320
	s_cbranch_scc1 .LBB104_3
; %bb.2:
	v_mov_b32_e32 v83, 0
	v_lshl_add_u32 v94, v0, 3, v83
	buffer_load_dword v83, v94, s[0:3], 0 offen
	buffer_load_dword v84, v94, s[0:3], 0 offen offset:4
	s_waitcnt vmcnt(0)
	v_div_scale_f64 v[86:87], s[4:5], v[83:84], v[83:84], 1.0
	v_rcp_f64_e32 v[88:89], v[86:87]
	v_fma_f64 v[90:91], -v[86:87], v[88:89], 1.0
	v_fma_f64 v[88:89], v[88:89], v[90:91], v[88:89]
	v_div_scale_f64 v[90:91], vcc, 1.0, v[83:84], 1.0
	v_fma_f64 v[92:93], -v[86:87], v[88:89], 1.0
	v_fma_f64 v[88:89], v[88:89], v[92:93], v[88:89]
	v_mul_f64 v[92:93], v[90:91], v[88:89]
	v_fma_f64 v[86:87], -v[86:87], v[92:93], v[90:91]
	v_div_fmas_f64 v[86:87], v[86:87], v[88:89], v[92:93]
	v_div_fixup_f64 v[83:84], v[86:87], v[83:84], 1.0
	buffer_store_dword v83, v94, s[0:3], 0 offen
	buffer_store_dword v84, v94, s[0:3], 0 offen offset:4
	v_xor_b32_e32 v84, 0x80000000, v84
.LBB104_3:
	s_cmpk_eq_i32 s8, 0x79
	v_add_u32_e32 v86, 0x150, v85
	v_mov_b32_e32 v87, v85
	s_mov_b64 s[4:5], -1
	ds_write_b64 v85, v[83:84]
	s_cbranch_scc1 .LBB104_397
; %bb.4:
	buffer_load_dword v83, off, s[0:3], 0 offset:312
	buffer_load_dword v84, off, s[0:3], 0 offset:316
	s_movk_i32 s12, 0x48
	s_movk_i32 s13, 0x50
	;; [unrolled: 1-line block ×30, first 2 shown]
	v_cmp_eq_u32_e64 s[4:5], 40, v0
	s_waitcnt vmcnt(0)
	ds_write_b64 v86, v[83:84]
	s_waitcnt lgkmcnt(0)
	; wave barrier
	s_and_saveexec_b64 s[6:7], s[4:5]
	s_cbranch_execz .LBB104_10
; %bb.5:
	s_and_b64 vcc, exec, s[10:11]
	s_cbranch_vccz .LBB104_7
; %bb.6:
	buffer_load_dword v83, v87, s[0:3], 0 offen
	buffer_load_dword v84, v87, s[0:3], 0 offen offset:4
	ds_read_b64 v[88:89], v86
	s_waitcnt vmcnt(0) lgkmcnt(0)
	v_mul_f64 v[83:84], v[83:84], v[88:89]
	s_cbranch_execz .LBB104_8
	s_branch .LBB104_9
.LBB104_7:
                                        ; implicit-def: $vgpr83_vgpr84
.LBB104_8:
	ds_read_b64 v[83:84], v86
.LBB104_9:
	v_mov_b32_e32 v88, 0
	ds_read_b64 v[88:89], v88 offset:312
	s_waitcnt lgkmcnt(0)
	v_mul_f64 v[83:84], v[83:84], v[88:89]
	buffer_store_dword v84, off, s[0:3], 0 offset:316
	buffer_store_dword v83, off, s[0:3], 0 offset:312
.LBB104_10:
	s_or_b64 exec, exec, s[6:7]
	buffer_load_dword v83, off, s[0:3], 0 offset:304
	buffer_load_dword v84, off, s[0:3], 0 offset:308
	s_or_b32 s14, 0, 8
	s_mov_b32 s15, 16
	s_mov_b32 s16, 24
	;; [unrolled: 1-line block ×9, first 2 shown]
	v_cmp_lt_u32_e64 s[6:7], 38, v0
	s_waitcnt vmcnt(0)
	ds_write_b64 v86, v[83:84]
	s_waitcnt lgkmcnt(0)
	; wave barrier
	s_and_saveexec_b64 s[8:9], s[6:7]
	s_cbranch_execz .LBB104_16
; %bb.11:
	s_andn2_b64 vcc, exec, s[10:11]
	s_cbranch_vccnz .LBB104_13
; %bb.12:
	buffer_load_dword v83, v87, s[0:3], 0 offen
	buffer_load_dword v84, v87, s[0:3], 0 offen offset:4
	ds_read_b64 v[88:89], v86
	s_waitcnt vmcnt(0) lgkmcnt(0)
	v_mul_f64 v[83:84], v[83:84], v[88:89]
	s_cbranch_execz .LBB104_14
	s_branch .LBB104_15
.LBB104_13:
                                        ; implicit-def: $vgpr83_vgpr84
.LBB104_14:
	ds_read_b64 v[83:84], v86
.LBB104_15:
	buffer_load_dword v92, off, s[0:3], 0 offset:312
	buffer_load_dword v93, off, s[0:3], 0 offset:316
	v_mov_b32_e32 v88, 0
	ds_read2_b64 v[88:91], v88 offset0:38 offset1:81
	s_waitcnt vmcnt(0) lgkmcnt(0)
	v_fma_f64 v[90:91], v[92:93], v[90:91], v[83:84]
	v_cndmask_b32_e64 v84, v84, v91, s[4:5]
	v_cndmask_b32_e64 v83, v83, v90, s[4:5]
	v_mul_f64 v[83:84], v[83:84], v[88:89]
	buffer_store_dword v84, off, s[0:3], 0 offset:308
	buffer_store_dword v83, off, s[0:3], 0 offset:304
.LBB104_16:
	s_or_b64 exec, exec, s[8:9]
	buffer_load_dword v83, off, s[0:3], 0 offset:296
	buffer_load_dword v84, off, s[0:3], 0 offset:300
	v_cmp_lt_u32_e64 s[4:5], 37, v0
	s_waitcnt vmcnt(0)
	ds_write_b64 v86, v[83:84]
	s_waitcnt lgkmcnt(0)
	; wave barrier
	s_and_saveexec_b64 s[8:9], s[4:5]
	s_cbranch_execz .LBB104_26
; %bb.17:
	s_andn2_b64 vcc, exec, s[10:11]
	s_cbranch_vccnz .LBB104_19
; %bb.18:
	buffer_load_dword v83, v87, s[0:3], 0 offen
	buffer_load_dword v84, v87, s[0:3], 0 offen offset:4
	ds_read_b64 v[88:89], v86
	s_waitcnt vmcnt(0) lgkmcnt(0)
	v_mul_f64 v[83:84], v[83:84], v[88:89]
	s_cbranch_execz .LBB104_20
	s_branch .LBB104_21
.LBB104_19:
                                        ; implicit-def: $vgpr83_vgpr84
.LBB104_20:
	ds_read_b64 v[83:84], v86
.LBB104_21:
	s_and_saveexec_b64 s[12:13], s[6:7]
	s_cbranch_execz .LBB104_25
; %bb.22:
	v_subrev_u32_e32 v88, 38, v0
	s_movk_i32 s53, 0x280
	s_mov_b64 s[6:7], 0
.LBB104_23:                             ; =>This Inner Loop Header: Depth=1
	v_mov_b32_e32 v90, s52
	buffer_load_dword v89, v90, s[0:3], 0 offen
	s_nop 0
	buffer_load_dword v90, v90, s[0:3], 0 offen offset:4
	v_mov_b32_e32 v91, s53
	ds_read_b64 v[91:92], v91
	v_add_u32_e32 v88, -1, v88
	s_add_i32 s53, s53, 8
	s_add_i32 s52, s52, 8
	v_cmp_eq_u32_e32 vcc, 0, v88
	s_or_b64 s[6:7], vcc, s[6:7]
	s_waitcnt vmcnt(0) lgkmcnt(0)
	v_fma_f64 v[83:84], v[89:90], v[91:92], v[83:84]
	s_andn2_b64 exec, exec, s[6:7]
	s_cbranch_execnz .LBB104_23
; %bb.24:
	s_or_b64 exec, exec, s[6:7]
.LBB104_25:
	s_or_b64 exec, exec, s[12:13]
	v_mov_b32_e32 v88, 0
	ds_read_b64 v[88:89], v88 offset:296
	s_waitcnt lgkmcnt(0)
	v_mul_f64 v[83:84], v[83:84], v[88:89]
	buffer_store_dword v84, off, s[0:3], 0 offset:300
	buffer_store_dword v83, off, s[0:3], 0 offset:296
.LBB104_26:
	s_or_b64 exec, exec, s[8:9]
	buffer_load_dword v83, off, s[0:3], 0 offset:288
	buffer_load_dword v84, off, s[0:3], 0 offset:292
	v_cmp_lt_u32_e64 s[6:7], 36, v0
	s_waitcnt vmcnt(0)
	ds_write_b64 v86, v[83:84]
	s_waitcnt lgkmcnt(0)
	; wave barrier
	s_and_saveexec_b64 s[8:9], s[6:7]
	s_cbranch_execz .LBB104_36
; %bb.27:
	s_andn2_b64 vcc, exec, s[10:11]
	s_cbranch_vccnz .LBB104_29
; %bb.28:
	buffer_load_dword v83, v87, s[0:3], 0 offen
	buffer_load_dword v84, v87, s[0:3], 0 offen offset:4
	ds_read_b64 v[88:89], v86
	s_waitcnt vmcnt(0) lgkmcnt(0)
	v_mul_f64 v[83:84], v[83:84], v[88:89]
	s_cbranch_execz .LBB104_30
	s_branch .LBB104_31
.LBB104_29:
                                        ; implicit-def: $vgpr83_vgpr84
.LBB104_30:
	ds_read_b64 v[83:84], v86
.LBB104_31:
	s_and_saveexec_b64 s[12:13], s[4:5]
	s_cbranch_execz .LBB104_35
; %bb.32:
	v_subrev_u32_e32 v88, 37, v0
	s_movk_i32 s52, 0x278
	s_mov_b64 s[4:5], 0
.LBB104_33:                             ; =>This Inner Loop Header: Depth=1
	v_mov_b32_e32 v90, s51
	buffer_load_dword v89, v90, s[0:3], 0 offen
	s_nop 0
	buffer_load_dword v90, v90, s[0:3], 0 offen offset:4
	v_mov_b32_e32 v91, s52
	ds_read_b64 v[91:92], v91
	v_add_u32_e32 v88, -1, v88
	s_add_i32 s52, s52, 8
	s_add_i32 s51, s51, 8
	v_cmp_eq_u32_e32 vcc, 0, v88
	s_or_b64 s[4:5], vcc, s[4:5]
	s_waitcnt vmcnt(0) lgkmcnt(0)
	v_fma_f64 v[83:84], v[89:90], v[91:92], v[83:84]
	s_andn2_b64 exec, exec, s[4:5]
	s_cbranch_execnz .LBB104_33
; %bb.34:
	s_or_b64 exec, exec, s[4:5]
.LBB104_35:
	s_or_b64 exec, exec, s[12:13]
	v_mov_b32_e32 v88, 0
	ds_read_b64 v[88:89], v88 offset:288
	s_waitcnt lgkmcnt(0)
	v_mul_f64 v[83:84], v[83:84], v[88:89]
	buffer_store_dword v84, off, s[0:3], 0 offset:292
	buffer_store_dword v83, off, s[0:3], 0 offset:288
.LBB104_36:
	s_or_b64 exec, exec, s[8:9]
	buffer_load_dword v83, off, s[0:3], 0 offset:280
	buffer_load_dword v84, off, s[0:3], 0 offset:284
	v_cmp_lt_u32_e64 s[4:5], 35, v0
	s_waitcnt vmcnt(0)
	ds_write_b64 v86, v[83:84]
	s_waitcnt lgkmcnt(0)
	; wave barrier
	s_and_saveexec_b64 s[8:9], s[4:5]
	s_cbranch_execz .LBB104_46
; %bb.37:
	s_andn2_b64 vcc, exec, s[10:11]
	s_cbranch_vccnz .LBB104_39
; %bb.38:
	buffer_load_dword v83, v87, s[0:3], 0 offen
	buffer_load_dword v84, v87, s[0:3], 0 offen offset:4
	ds_read_b64 v[88:89], v86
	s_waitcnt vmcnt(0) lgkmcnt(0)
	v_mul_f64 v[83:84], v[83:84], v[88:89]
	s_cbranch_execz .LBB104_40
	s_branch .LBB104_41
.LBB104_39:
                                        ; implicit-def: $vgpr83_vgpr84
.LBB104_40:
	ds_read_b64 v[83:84], v86
.LBB104_41:
	s_and_saveexec_b64 s[12:13], s[6:7]
	s_cbranch_execz .LBB104_45
; %bb.42:
	v_subrev_u32_e32 v88, 36, v0
	s_movk_i32 s51, 0x270
	s_mov_b64 s[6:7], 0
.LBB104_43:                             ; =>This Inner Loop Header: Depth=1
	v_mov_b32_e32 v91, s50
	buffer_load_dword v89, v91, s[0:3], 0 offen
	buffer_load_dword v90, v91, s[0:3], 0 offen offset:4
	v_mov_b32_e32 v91, s51
	ds_read_b64 v[91:92], v91
	v_add_u32_e32 v88, -1, v88
	s_add_i32 s51, s51, 8
	s_add_i32 s50, s50, 8
	v_cmp_eq_u32_e32 vcc, 0, v88
	s_or_b64 s[6:7], vcc, s[6:7]
	s_waitcnt vmcnt(0) lgkmcnt(0)
	v_fma_f64 v[83:84], v[89:90], v[91:92], v[83:84]
	s_andn2_b64 exec, exec, s[6:7]
	s_cbranch_execnz .LBB104_43
; %bb.44:
	s_or_b64 exec, exec, s[6:7]
.LBB104_45:
	s_or_b64 exec, exec, s[12:13]
	v_mov_b32_e32 v88, 0
	ds_read_b64 v[88:89], v88 offset:280
	s_waitcnt lgkmcnt(0)
	v_mul_f64 v[83:84], v[83:84], v[88:89]
	buffer_store_dword v84, off, s[0:3], 0 offset:284
	buffer_store_dword v83, off, s[0:3], 0 offset:280
.LBB104_46:
	s_or_b64 exec, exec, s[8:9]
	buffer_load_dword v83, off, s[0:3], 0 offset:272
	buffer_load_dword v84, off, s[0:3], 0 offset:276
	v_cmp_lt_u32_e64 s[6:7], 34, v0
	s_waitcnt vmcnt(0)
	ds_write_b64 v86, v[83:84]
	s_waitcnt lgkmcnt(0)
	; wave barrier
	s_and_saveexec_b64 s[8:9], s[6:7]
	s_cbranch_execz .LBB104_56
; %bb.47:
	s_andn2_b64 vcc, exec, s[10:11]
	s_cbranch_vccnz .LBB104_49
; %bb.48:
	buffer_load_dword v83, v87, s[0:3], 0 offen
	buffer_load_dword v84, v87, s[0:3], 0 offen offset:4
	ds_read_b64 v[88:89], v86
	s_waitcnt vmcnt(0) lgkmcnt(0)
	v_mul_f64 v[83:84], v[83:84], v[88:89]
	s_cbranch_execz .LBB104_50
	s_branch .LBB104_51
.LBB104_49:
                                        ; implicit-def: $vgpr83_vgpr84
.LBB104_50:
	ds_read_b64 v[83:84], v86
.LBB104_51:
	s_and_saveexec_b64 s[12:13], s[4:5]
	s_cbranch_execz .LBB104_55
; %bb.52:
	v_subrev_u32_e32 v88, 35, v0
	s_movk_i32 s50, 0x268
	s_mov_b64 s[4:5], 0
.LBB104_53:                             ; =>This Inner Loop Header: Depth=1
	v_mov_b32_e32 v91, s49
	buffer_load_dword v89, v91, s[0:3], 0 offen
	buffer_load_dword v90, v91, s[0:3], 0 offen offset:4
	v_mov_b32_e32 v91, s50
	ds_read_b64 v[91:92], v91
	v_add_u32_e32 v88, -1, v88
	s_add_i32 s50, s50, 8
	s_add_i32 s49, s49, 8
	v_cmp_eq_u32_e32 vcc, 0, v88
	s_or_b64 s[4:5], vcc, s[4:5]
	s_waitcnt vmcnt(0) lgkmcnt(0)
	v_fma_f64 v[83:84], v[89:90], v[91:92], v[83:84]
	s_andn2_b64 exec, exec, s[4:5]
	s_cbranch_execnz .LBB104_53
; %bb.54:
	s_or_b64 exec, exec, s[4:5]
.LBB104_55:
	s_or_b64 exec, exec, s[12:13]
	v_mov_b32_e32 v88, 0
	ds_read_b64 v[88:89], v88 offset:272
	s_waitcnt lgkmcnt(0)
	v_mul_f64 v[83:84], v[83:84], v[88:89]
	buffer_store_dword v84, off, s[0:3], 0 offset:276
	buffer_store_dword v83, off, s[0:3], 0 offset:272
.LBB104_56:
	;; [unrolled: 58-line block ×6, first 2 shown]
	s_or_b64 exec, exec, s[8:9]
	buffer_load_dword v83, off, s[0:3], 0 offset:232
	buffer_load_dword v84, off, s[0:3], 0 offset:236
	v_cmp_lt_u32_e64 s[4:5], 29, v0
	s_waitcnt vmcnt(0)
	ds_write_b64 v86, v[83:84]
	s_waitcnt lgkmcnt(0)
	; wave barrier
	s_and_saveexec_b64 s[8:9], s[4:5]
	s_cbranch_execz .LBB104_106
; %bb.97:
	s_andn2_b64 vcc, exec, s[10:11]
	s_cbranch_vccnz .LBB104_99
; %bb.98:
	buffer_load_dword v83, v87, s[0:3], 0 offen
	buffer_load_dword v84, v87, s[0:3], 0 offen offset:4
	ds_read_b64 v[88:89], v86
	s_waitcnt vmcnt(0) lgkmcnt(0)
	v_mul_f64 v[83:84], v[83:84], v[88:89]
	s_cbranch_execz .LBB104_100
	s_branch .LBB104_101
.LBB104_99:
                                        ; implicit-def: $vgpr83_vgpr84
.LBB104_100:
	ds_read_b64 v[83:84], v86
.LBB104_101:
	s_and_saveexec_b64 s[12:13], s[6:7]
	s_cbranch_execz .LBB104_105
; %bb.102:
	v_subrev_u32_e32 v88, 30, v0
	s_movk_i32 s45, 0x240
	s_mov_b64 s[6:7], 0
.LBB104_103:                            ; =>This Inner Loop Header: Depth=1
	v_mov_b32_e32 v91, s44
	buffer_load_dword v89, v91, s[0:3], 0 offen
	buffer_load_dword v90, v91, s[0:3], 0 offen offset:4
	v_mov_b32_e32 v91, s45
	ds_read_b64 v[91:92], v91
	v_add_u32_e32 v88, -1, v88
	s_add_i32 s45, s45, 8
	s_add_i32 s44, s44, 8
	v_cmp_eq_u32_e32 vcc, 0, v88
	s_or_b64 s[6:7], vcc, s[6:7]
	s_waitcnt vmcnt(0) lgkmcnt(0)
	v_fma_f64 v[83:84], v[89:90], v[91:92], v[83:84]
	s_andn2_b64 exec, exec, s[6:7]
	s_cbranch_execnz .LBB104_103
; %bb.104:
	s_or_b64 exec, exec, s[6:7]
.LBB104_105:
	s_or_b64 exec, exec, s[12:13]
	v_mov_b32_e32 v88, 0
	ds_read_b64 v[88:89], v88 offset:232
	s_waitcnt lgkmcnt(0)
	v_mul_f64 v[83:84], v[83:84], v[88:89]
	buffer_store_dword v84, off, s[0:3], 0 offset:236
	buffer_store_dword v83, off, s[0:3], 0 offset:232
.LBB104_106:
	s_or_b64 exec, exec, s[8:9]
	buffer_load_dword v83, off, s[0:3], 0 offset:224
	buffer_load_dword v84, off, s[0:3], 0 offset:228
	v_cmp_lt_u32_e64 s[6:7], 28, v0
	s_waitcnt vmcnt(0)
	ds_write_b64 v86, v[83:84]
	s_waitcnt lgkmcnt(0)
	; wave barrier
	s_and_saveexec_b64 s[8:9], s[6:7]
	s_cbranch_execz .LBB104_116
; %bb.107:
	s_andn2_b64 vcc, exec, s[10:11]
	s_cbranch_vccnz .LBB104_109
; %bb.108:
	buffer_load_dword v83, v87, s[0:3], 0 offen
	buffer_load_dword v84, v87, s[0:3], 0 offen offset:4
	ds_read_b64 v[88:89], v86
	s_waitcnt vmcnt(0) lgkmcnt(0)
	v_mul_f64 v[83:84], v[83:84], v[88:89]
	s_cbranch_execz .LBB104_110
	s_branch .LBB104_111
.LBB104_109:
                                        ; implicit-def: $vgpr83_vgpr84
.LBB104_110:
	ds_read_b64 v[83:84], v86
.LBB104_111:
	s_and_saveexec_b64 s[12:13], s[4:5]
	s_cbranch_execz .LBB104_115
; %bb.112:
	v_subrev_u32_e32 v88, 29, v0
	s_movk_i32 s44, 0x238
	s_mov_b64 s[4:5], 0
.LBB104_113:                            ; =>This Inner Loop Header: Depth=1
	v_mov_b32_e32 v91, s43
	buffer_load_dword v89, v91, s[0:3], 0 offen
	buffer_load_dword v90, v91, s[0:3], 0 offen offset:4
	v_mov_b32_e32 v91, s44
	ds_read_b64 v[91:92], v91
	v_add_u32_e32 v88, -1, v88
	s_add_i32 s44, s44, 8
	s_add_i32 s43, s43, 8
	v_cmp_eq_u32_e32 vcc, 0, v88
	s_or_b64 s[4:5], vcc, s[4:5]
	s_waitcnt vmcnt(0) lgkmcnt(0)
	v_fma_f64 v[83:84], v[89:90], v[91:92], v[83:84]
	s_andn2_b64 exec, exec, s[4:5]
	s_cbranch_execnz .LBB104_113
; %bb.114:
	s_or_b64 exec, exec, s[4:5]
.LBB104_115:
	s_or_b64 exec, exec, s[12:13]
	v_mov_b32_e32 v88, 0
	ds_read_b64 v[88:89], v88 offset:224
	s_waitcnt lgkmcnt(0)
	v_mul_f64 v[83:84], v[83:84], v[88:89]
	buffer_store_dword v84, off, s[0:3], 0 offset:228
	buffer_store_dword v83, off, s[0:3], 0 offset:224
.LBB104_116:
	;; [unrolled: 58-line block ×14, first 2 shown]
	s_or_b64 exec, exec, s[8:9]
	buffer_load_dword v83, off, s[0:3], 0 offset:120
	buffer_load_dword v84, off, s[0:3], 0 offset:124
	v_cmp_lt_u32_e64 s[4:5], 15, v0
	s_waitcnt vmcnt(0)
	ds_write_b64 v86, v[83:84]
	s_waitcnt lgkmcnt(0)
	; wave barrier
	s_and_saveexec_b64 s[8:9], s[4:5]
	s_cbranch_execz .LBB104_246
; %bb.237:
	s_andn2_b64 vcc, exec, s[10:11]
	s_cbranch_vccnz .LBB104_239
; %bb.238:
	buffer_load_dword v83, v87, s[0:3], 0 offen
	buffer_load_dword v84, v87, s[0:3], 0 offen offset:4
	ds_read_b64 v[88:89], v86
	s_waitcnt vmcnt(0) lgkmcnt(0)
	v_mul_f64 v[83:84], v[83:84], v[88:89]
	s_cbranch_execz .LBB104_240
	s_branch .LBB104_241
.LBB104_239:
                                        ; implicit-def: $vgpr83_vgpr84
.LBB104_240:
	ds_read_b64 v[83:84], v86
.LBB104_241:
	s_and_saveexec_b64 s[12:13], s[6:7]
	s_cbranch_execz .LBB104_245
; %bb.242:
	v_add_u32_e32 v88, -16, v0
	s_movk_i32 s30, 0x1d0
	s_mov_b64 s[6:7], 0
.LBB104_243:                            ; =>This Inner Loop Header: Depth=1
	v_mov_b32_e32 v91, s29
	buffer_load_dword v89, v91, s[0:3], 0 offen
	buffer_load_dword v90, v91, s[0:3], 0 offen offset:4
	v_mov_b32_e32 v91, s30
	ds_read_b64 v[91:92], v91
	v_add_u32_e32 v88, -1, v88
	s_add_i32 s30, s30, 8
	s_add_i32 s29, s29, 8
	v_cmp_eq_u32_e32 vcc, 0, v88
	s_or_b64 s[6:7], vcc, s[6:7]
	s_waitcnt vmcnt(0) lgkmcnt(0)
	v_fma_f64 v[83:84], v[89:90], v[91:92], v[83:84]
	s_andn2_b64 exec, exec, s[6:7]
	s_cbranch_execnz .LBB104_243
; %bb.244:
	s_or_b64 exec, exec, s[6:7]
.LBB104_245:
	s_or_b64 exec, exec, s[12:13]
	v_mov_b32_e32 v88, 0
	ds_read_b64 v[88:89], v88 offset:120
	s_waitcnt lgkmcnt(0)
	v_mul_f64 v[83:84], v[83:84], v[88:89]
	buffer_store_dword v84, off, s[0:3], 0 offset:124
	buffer_store_dword v83, off, s[0:3], 0 offset:120
.LBB104_246:
	s_or_b64 exec, exec, s[8:9]
	buffer_load_dword v83, off, s[0:3], 0 offset:112
	buffer_load_dword v84, off, s[0:3], 0 offset:116
	v_cmp_lt_u32_e64 s[6:7], 14, v0
	s_waitcnt vmcnt(0)
	ds_write_b64 v86, v[83:84]
	s_waitcnt lgkmcnt(0)
	; wave barrier
	s_and_saveexec_b64 s[8:9], s[6:7]
	s_cbranch_execz .LBB104_256
; %bb.247:
	s_andn2_b64 vcc, exec, s[10:11]
	s_cbranch_vccnz .LBB104_249
; %bb.248:
	buffer_load_dword v83, v87, s[0:3], 0 offen
	buffer_load_dword v84, v87, s[0:3], 0 offen offset:4
	ds_read_b64 v[88:89], v86
	s_waitcnt vmcnt(0) lgkmcnt(0)
	v_mul_f64 v[83:84], v[83:84], v[88:89]
	s_cbranch_execz .LBB104_250
	s_branch .LBB104_251
.LBB104_249:
                                        ; implicit-def: $vgpr83_vgpr84
.LBB104_250:
	ds_read_b64 v[83:84], v86
.LBB104_251:
	s_and_saveexec_b64 s[12:13], s[4:5]
	s_cbranch_execz .LBB104_255
; %bb.252:
	v_add_u32_e32 v88, -15, v0
	s_movk_i32 s29, 0x1c8
	s_mov_b64 s[4:5], 0
.LBB104_253:                            ; =>This Inner Loop Header: Depth=1
	v_mov_b32_e32 v91, s28
	buffer_load_dword v89, v91, s[0:3], 0 offen
	buffer_load_dword v90, v91, s[0:3], 0 offen offset:4
	v_mov_b32_e32 v91, s29
	ds_read_b64 v[91:92], v91
	v_add_u32_e32 v88, -1, v88
	s_add_i32 s29, s29, 8
	s_add_i32 s28, s28, 8
	v_cmp_eq_u32_e32 vcc, 0, v88
	s_or_b64 s[4:5], vcc, s[4:5]
	s_waitcnt vmcnt(0) lgkmcnt(0)
	v_fma_f64 v[83:84], v[89:90], v[91:92], v[83:84]
	s_andn2_b64 exec, exec, s[4:5]
	s_cbranch_execnz .LBB104_253
; %bb.254:
	s_or_b64 exec, exec, s[4:5]
.LBB104_255:
	s_or_b64 exec, exec, s[12:13]
	v_mov_b32_e32 v88, 0
	ds_read_b64 v[88:89], v88 offset:112
	s_waitcnt lgkmcnt(0)
	v_mul_f64 v[83:84], v[83:84], v[88:89]
	buffer_store_dword v84, off, s[0:3], 0 offset:116
	buffer_store_dword v83, off, s[0:3], 0 offset:112
.LBB104_256:
	;; [unrolled: 58-line block ×15, first 2 shown]
	s_or_b64 exec, exec, s[8:9]
	buffer_load_dword v83, off, s[0:3], 0
	buffer_load_dword v84, off, s[0:3], 0 offset:4
	v_cmp_ne_u32_e32 vcc, 0, v0
	s_waitcnt vmcnt(0)
	ds_write_b64 v86, v[83:84]
	s_waitcnt lgkmcnt(0)
	; wave barrier
	s_and_saveexec_b64 s[6:7], vcc
	s_cbranch_execz .LBB104_396
; %bb.387:
	s_andn2_b64 vcc, exec, s[10:11]
	s_cbranch_vccnz .LBB104_389
; %bb.388:
	buffer_load_dword v83, v87, s[0:3], 0 offen
	buffer_load_dword v84, v87, s[0:3], 0 offen offset:4
	ds_read_b64 v[88:89], v86
	s_waitcnt vmcnt(0) lgkmcnt(0)
	v_mul_f64 v[83:84], v[83:84], v[88:89]
	s_cbranch_execz .LBB104_390
	s_branch .LBB104_391
.LBB104_389:
                                        ; implicit-def: $vgpr83_vgpr84
.LBB104_390:
	ds_read_b64 v[83:84], v86
.LBB104_391:
	s_and_saveexec_b64 s[8:9], s[4:5]
	s_cbranch_execz .LBB104_395
; %bb.392:
	v_add_u32_e32 v88, -1, v0
	s_movk_i32 s12, 0x158
	s_mov_b64 s[4:5], 0
.LBB104_393:                            ; =>This Inner Loop Header: Depth=1
	v_mov_b32_e32 v91, s14
	buffer_load_dword v89, v91, s[0:3], 0 offen
	buffer_load_dword v90, v91, s[0:3], 0 offen offset:4
	v_mov_b32_e32 v91, s12
	ds_read_b64 v[91:92], v91
	v_add_u32_e32 v88, -1, v88
	s_add_i32 s12, s12, 8
	s_add_i32 s14, s14, 8
	v_cmp_eq_u32_e32 vcc, 0, v88
	s_or_b64 s[4:5], vcc, s[4:5]
	s_waitcnt vmcnt(0) lgkmcnt(0)
	v_fma_f64 v[83:84], v[89:90], v[91:92], v[83:84]
	s_andn2_b64 exec, exec, s[4:5]
	s_cbranch_execnz .LBB104_393
; %bb.394:
	s_or_b64 exec, exec, s[4:5]
.LBB104_395:
	s_or_b64 exec, exec, s[8:9]
	v_mov_b32_e32 v88, 0
	ds_read_b64 v[88:89], v88
	s_waitcnt lgkmcnt(0)
	v_mul_f64 v[83:84], v[83:84], v[88:89]
	buffer_store_dword v84, off, s[0:3], 0 offset:4
	buffer_store_dword v83, off, s[0:3], 0
.LBB104_396:
	s_or_b64 exec, exec, s[6:7]
	s_mov_b64 s[4:5], 0
.LBB104_397:
	s_and_b64 vcc, exec, s[4:5]
	s_cbranch_vccz .LBB104_789
; %bb.398:
	buffer_load_dword v83, off, s[0:3], 0 offset:8
	buffer_load_dword v84, off, s[0:3], 0 offset:12
	v_cmp_eq_u32_e64 s[6:7], 0, v0
	s_waitcnt vmcnt(0)
	ds_write_b64 v86, v[83:84]
	s_waitcnt lgkmcnt(0)
	; wave barrier
	s_and_saveexec_b64 s[4:5], s[6:7]
	s_cbranch_execz .LBB104_404
; %bb.399:
	s_and_b64 vcc, exec, s[10:11]
	s_cbranch_vccz .LBB104_401
; %bb.400:
	buffer_load_dword v83, v87, s[0:3], 0 offen
	buffer_load_dword v84, v87, s[0:3], 0 offen offset:4
	ds_read_b64 v[88:89], v86
	s_waitcnt vmcnt(0) lgkmcnt(0)
	v_mul_f64 v[83:84], v[83:84], v[88:89]
	s_cbranch_execz .LBB104_402
	s_branch .LBB104_403
.LBB104_401:
                                        ; implicit-def: $vgpr83_vgpr84
.LBB104_402:
	ds_read_b64 v[83:84], v86
.LBB104_403:
	v_mov_b32_e32 v88, 0
	ds_read_b64 v[88:89], v88 offset:8
	s_waitcnt lgkmcnt(0)
	v_mul_f64 v[83:84], v[83:84], v[88:89]
	buffer_store_dword v84, off, s[0:3], 0 offset:12
	buffer_store_dword v83, off, s[0:3], 0 offset:8
.LBB104_404:
	s_or_b64 exec, exec, s[4:5]
	buffer_load_dword v83, off, s[0:3], 0 offset:16
	buffer_load_dword v84, off, s[0:3], 0 offset:20
	v_cndmask_b32_e64 v88, 0, 1, s[10:11]
	v_cmp_gt_u32_e32 vcc, 2, v0
	v_cmp_ne_u32_e64 s[4:5], 1, v88
	s_waitcnt vmcnt(0)
	ds_write_b64 v86, v[83:84]
	s_waitcnt lgkmcnt(0)
	; wave barrier
	s_and_saveexec_b64 s[8:9], vcc
	s_cbranch_execz .LBB104_410
; %bb.405:
	s_and_b64 vcc, exec, s[4:5]
	s_cbranch_vccnz .LBB104_407
; %bb.406:
	buffer_load_dword v83, v87, s[0:3], 0 offen
	buffer_load_dword v84, v87, s[0:3], 0 offen offset:4
	ds_read_b64 v[88:89], v86
	s_waitcnt vmcnt(0) lgkmcnt(0)
	v_mul_f64 v[83:84], v[83:84], v[88:89]
	s_cbranch_execz .LBB104_408
	s_branch .LBB104_409
.LBB104_407:
                                        ; implicit-def: $vgpr83_vgpr84
.LBB104_408:
	ds_read_b64 v[83:84], v86
.LBB104_409:
	buffer_load_dword v92, off, s[0:3], 0 offset:8
	buffer_load_dword v93, off, s[0:3], 0 offset:12
	v_mov_b32_e32 v88, 0
	ds_read2_b64 v[88:91], v88 offset0:2 offset1:43
	s_waitcnt vmcnt(0) lgkmcnt(0)
	v_fma_f64 v[90:91], v[92:93], v[90:91], v[83:84]
	v_cndmask_b32_e64 v84, v84, v91, s[6:7]
	v_cndmask_b32_e64 v83, v83, v90, s[6:7]
	v_mul_f64 v[83:84], v[83:84], v[88:89]
	buffer_store_dword v84, off, s[0:3], 0 offset:20
	buffer_store_dword v83, off, s[0:3], 0 offset:16
.LBB104_410:
	s_or_b64 exec, exec, s[8:9]
	buffer_load_dword v83, off, s[0:3], 0 offset:24
	buffer_load_dword v84, off, s[0:3], 0 offset:28
	v_cmp_gt_u32_e32 vcc, 3, v0
	s_waitcnt vmcnt(0)
	ds_write_b64 v86, v[83:84]
	s_waitcnt lgkmcnt(0)
	; wave barrier
	s_and_saveexec_b64 s[8:9], vcc
	s_cbranch_execz .LBB104_418
; %bb.411:
	s_and_b64 vcc, exec, s[4:5]
	s_cbranch_vccnz .LBB104_413
; %bb.412:
	buffer_load_dword v83, v87, s[0:3], 0 offen
	buffer_load_dword v84, v87, s[0:3], 0 offen offset:4
	ds_read_b64 v[88:89], v86
	s_waitcnt vmcnt(0) lgkmcnt(0)
	v_mul_f64 v[83:84], v[83:84], v[88:89]
	s_cbranch_execz .LBB104_414
	s_branch .LBB104_415
.LBB104_413:
                                        ; implicit-def: $vgpr83_vgpr84
.LBB104_414:
	ds_read_b64 v[83:84], v86
.LBB104_415:
	v_cmp_ne_u32_e32 vcc, 2, v0
	s_and_saveexec_b64 s[10:11], vcc
	s_cbranch_execz .LBB104_417
; %bb.416:
	buffer_load_dword v88, v87, s[0:3], 0 offen offset:8
	buffer_load_dword v89, v87, s[0:3], 0 offen offset:12
	buffer_load_dword v90, off, s[0:3], 0 offset:16
	buffer_load_dword v91, off, s[0:3], 0 offset:20
	ds_read_b64 v[92:93], v86 offset:8
	v_mov_b32_e32 v94, 0
	ds_read_b64 v[94:95], v94 offset:352
	s_waitcnt vmcnt(2) lgkmcnt(1)
	v_fma_f64 v[83:84], v[88:89], v[92:93], v[83:84]
	s_waitcnt vmcnt(0) lgkmcnt(0)
	v_fma_f64 v[88:89], v[90:91], v[94:95], v[83:84]
	v_cndmask_b32_e64 v84, v84, v89, s[6:7]
	v_cndmask_b32_e64 v83, v83, v88, s[6:7]
.LBB104_417:
	s_or_b64 exec, exec, s[10:11]
	v_mov_b32_e32 v88, 0
	ds_read_b64 v[88:89], v88 offset:24
	s_waitcnt lgkmcnt(0)
	v_mul_f64 v[83:84], v[83:84], v[88:89]
	buffer_store_dword v84, off, s[0:3], 0 offset:28
	buffer_store_dword v83, off, s[0:3], 0 offset:24
.LBB104_418:
	s_or_b64 exec, exec, s[8:9]
	buffer_load_dword v83, off, s[0:3], 0 offset:32
	buffer_load_dword v84, off, s[0:3], 0 offset:36
	v_cmp_gt_u32_e32 vcc, 4, v0
	s_waitcnt vmcnt(0)
	ds_write_b64 v86, v[83:84]
	s_waitcnt lgkmcnt(0)
	; wave barrier
	s_and_saveexec_b64 s[6:7], vcc
	s_cbranch_execz .LBB104_428
; %bb.419:
	s_and_b64 vcc, exec, s[4:5]
	s_cbranch_vccnz .LBB104_421
; %bb.420:
	buffer_load_dword v83, v87, s[0:3], 0 offen
	buffer_load_dword v84, v87, s[0:3], 0 offen offset:4
	ds_read_b64 v[88:89], v86
	s_waitcnt vmcnt(0) lgkmcnt(0)
	v_mul_f64 v[83:84], v[83:84], v[88:89]
	s_cbranch_execz .LBB104_422
	s_branch .LBB104_423
.LBB104_421:
                                        ; implicit-def: $vgpr83_vgpr84
.LBB104_422:
	ds_read_b64 v[83:84], v86
.LBB104_423:
	v_cmp_ne_u32_e32 vcc, 3, v0
	s_and_saveexec_b64 s[8:9], vcc
	s_cbranch_execz .LBB104_427
; %bb.424:
	s_mov_b32 s10, 0
	v_add_u32_e32 v88, 0x158, v85
	v_add3_u32 v89, v85, s10, 8
	s_mov_b64 s[10:11], 0
	v_mov_b32_e32 v90, v0
.LBB104_425:                            ; =>This Inner Loop Header: Depth=1
	buffer_load_dword v91, v89, s[0:3], 0 offen
	buffer_load_dword v92, v89, s[0:3], 0 offen offset:4
	ds_read_b64 v[93:94], v88
	v_add_u32_e32 v90, 1, v90
	v_cmp_lt_u32_e32 vcc, 2, v90
	v_add_u32_e32 v88, 8, v88
	s_or_b64 s[10:11], vcc, s[10:11]
	v_add_u32_e32 v89, 8, v89
	s_waitcnt vmcnt(0) lgkmcnt(0)
	v_fma_f64 v[83:84], v[91:92], v[93:94], v[83:84]
	s_andn2_b64 exec, exec, s[10:11]
	s_cbranch_execnz .LBB104_425
; %bb.426:
	s_or_b64 exec, exec, s[10:11]
.LBB104_427:
	s_or_b64 exec, exec, s[8:9]
	v_mov_b32_e32 v88, 0
	ds_read_b64 v[88:89], v88 offset:32
	s_waitcnt lgkmcnt(0)
	v_mul_f64 v[83:84], v[83:84], v[88:89]
	buffer_store_dword v84, off, s[0:3], 0 offset:36
	buffer_store_dword v83, off, s[0:3], 0 offset:32
.LBB104_428:
	s_or_b64 exec, exec, s[6:7]
	buffer_load_dword v83, off, s[0:3], 0 offset:40
	buffer_load_dword v84, off, s[0:3], 0 offset:44
	v_cmp_gt_u32_e32 vcc, 5, v0
	s_waitcnt vmcnt(0)
	ds_write_b64 v86, v[83:84]
	s_waitcnt lgkmcnt(0)
	; wave barrier
	s_and_saveexec_b64 s[6:7], vcc
	s_cbranch_execz .LBB104_438
; %bb.429:
	s_and_b64 vcc, exec, s[4:5]
	s_cbranch_vccnz .LBB104_431
; %bb.430:
	buffer_load_dword v83, v87, s[0:3], 0 offen
	buffer_load_dword v84, v87, s[0:3], 0 offen offset:4
	ds_read_b64 v[88:89], v86
	s_waitcnt vmcnt(0) lgkmcnt(0)
	v_mul_f64 v[83:84], v[83:84], v[88:89]
	s_cbranch_execz .LBB104_432
	s_branch .LBB104_433
.LBB104_431:
                                        ; implicit-def: $vgpr83_vgpr84
.LBB104_432:
	ds_read_b64 v[83:84], v86
.LBB104_433:
	v_cmp_ne_u32_e32 vcc, 4, v0
	s_and_saveexec_b64 s[8:9], vcc
	s_cbranch_execz .LBB104_437
; %bb.434:
	s_mov_b32 s10, 0
	v_add_u32_e32 v88, 0x158, v85
	v_add3_u32 v89, v85, s10, 8
	s_mov_b64 s[10:11], 0
	v_mov_b32_e32 v90, v0
.LBB104_435:                            ; =>This Inner Loop Header: Depth=1
	buffer_load_dword v91, v89, s[0:3], 0 offen
	buffer_load_dword v92, v89, s[0:3], 0 offen offset:4
	ds_read_b64 v[93:94], v88
	v_add_u32_e32 v90, 1, v90
	v_cmp_lt_u32_e32 vcc, 3, v90
	v_add_u32_e32 v88, 8, v88
	s_or_b64 s[10:11], vcc, s[10:11]
	v_add_u32_e32 v89, 8, v89
	s_waitcnt vmcnt(0) lgkmcnt(0)
	v_fma_f64 v[83:84], v[91:92], v[93:94], v[83:84]
	s_andn2_b64 exec, exec, s[10:11]
	s_cbranch_execnz .LBB104_435
; %bb.436:
	s_or_b64 exec, exec, s[10:11]
.LBB104_437:
	s_or_b64 exec, exec, s[8:9]
	v_mov_b32_e32 v88, 0
	ds_read_b64 v[88:89], v88 offset:40
	s_waitcnt lgkmcnt(0)
	v_mul_f64 v[83:84], v[83:84], v[88:89]
	buffer_store_dword v84, off, s[0:3], 0 offset:44
	buffer_store_dword v83, off, s[0:3], 0 offset:40
.LBB104_438:
	;; [unrolled: 59-line block ×35, first 2 shown]
	s_or_b64 exec, exec, s[6:7]
	buffer_load_dword v83, off, s[0:3], 0 offset:312
	buffer_load_dword v84, off, s[0:3], 0 offset:316
	v_cmp_gt_u32_e64 s[6:7], 39, v0
	s_waitcnt vmcnt(0)
	ds_write_b64 v86, v[83:84]
	s_waitcnt lgkmcnt(0)
	; wave barrier
	s_and_saveexec_b64 s[8:9], s[6:7]
	s_cbranch_execz .LBB104_778
; %bb.769:
	s_and_b64 vcc, exec, s[4:5]
	s_cbranch_vccnz .LBB104_771
; %bb.770:
	buffer_load_dword v83, v87, s[0:3], 0 offen
	buffer_load_dword v84, v87, s[0:3], 0 offen offset:4
	ds_read_b64 v[88:89], v86
	s_waitcnt vmcnt(0) lgkmcnt(0)
	v_mul_f64 v[83:84], v[83:84], v[88:89]
	s_cbranch_execz .LBB104_772
	s_branch .LBB104_773
.LBB104_771:
                                        ; implicit-def: $vgpr83_vgpr84
.LBB104_772:
	ds_read_b64 v[83:84], v86
.LBB104_773:
	v_cmp_ne_u32_e32 vcc, 38, v0
	s_and_saveexec_b64 s[10:11], vcc
	s_cbranch_execz .LBB104_777
; %bb.774:
	s_mov_b32 s12, 0
	v_add_u32_e32 v88, 0x158, v85
	v_add3_u32 v89, v85, s12, 8
	s_mov_b64 s[12:13], 0
	v_mov_b32_e32 v90, v0
.LBB104_775:                            ; =>This Inner Loop Header: Depth=1
	buffer_load_dword v91, v89, s[0:3], 0 offen
	buffer_load_dword v92, v89, s[0:3], 0 offen offset:4
	ds_read_b64 v[93:94], v88
	v_add_u32_e32 v90, 1, v90
	v_cmp_lt_u32_e32 vcc, 37, v90
	v_add_u32_e32 v88, 8, v88
	s_or_b64 s[12:13], vcc, s[12:13]
	v_add_u32_e32 v89, 8, v89
	s_waitcnt vmcnt(0) lgkmcnt(0)
	v_fma_f64 v[83:84], v[91:92], v[93:94], v[83:84]
	s_andn2_b64 exec, exec, s[12:13]
	s_cbranch_execnz .LBB104_775
; %bb.776:
	s_or_b64 exec, exec, s[12:13]
.LBB104_777:
	s_or_b64 exec, exec, s[10:11]
	v_mov_b32_e32 v88, 0
	ds_read_b64 v[88:89], v88 offset:312
	s_waitcnt lgkmcnt(0)
	v_mul_f64 v[83:84], v[83:84], v[88:89]
	buffer_store_dword v84, off, s[0:3], 0 offset:316
	buffer_store_dword v83, off, s[0:3], 0 offset:312
.LBB104_778:
	s_or_b64 exec, exec, s[8:9]
	buffer_load_dword v83, off, s[0:3], 0 offset:320
	buffer_load_dword v84, off, s[0:3], 0 offset:324
	v_cmp_ne_u32_e32 vcc, 40, v0
	s_waitcnt vmcnt(0)
	ds_write_b64 v86, v[83:84]
	s_waitcnt lgkmcnt(0)
	; wave barrier
	s_and_saveexec_b64 s[8:9], vcc
	s_cbranch_execz .LBB104_788
; %bb.779:
	s_and_b64 vcc, exec, s[4:5]
	s_cbranch_vccnz .LBB104_781
; %bb.780:
	buffer_load_dword v83, v87, s[0:3], 0 offen
	buffer_load_dword v84, v87, s[0:3], 0 offen offset:4
	ds_read_b64 v[87:88], v86
	s_waitcnt vmcnt(0) lgkmcnt(0)
	v_mul_f64 v[83:84], v[83:84], v[87:88]
	s_cbranch_execz .LBB104_782
	s_branch .LBB104_783
.LBB104_781:
                                        ; implicit-def: $vgpr83_vgpr84
.LBB104_782:
	ds_read_b64 v[83:84], v86
.LBB104_783:
	s_and_saveexec_b64 s[4:5], s[6:7]
	s_cbranch_execz .LBB104_787
; %bb.784:
	s_mov_b32 s6, 0
	v_add_u32_e32 v86, 0x158, v85
	v_add3_u32 v85, v85, s6, 8
	s_mov_b64 s[6:7], 0
.LBB104_785:                            ; =>This Inner Loop Header: Depth=1
	buffer_load_dword v87, v85, s[0:3], 0 offen
	buffer_load_dword v88, v85, s[0:3], 0 offen offset:4
	ds_read_b64 v[89:90], v86
	v_add_u32_e32 v0, 1, v0
	v_cmp_lt_u32_e32 vcc, 38, v0
	v_add_u32_e32 v86, 8, v86
	s_or_b64 s[6:7], vcc, s[6:7]
	v_add_u32_e32 v85, 8, v85
	s_waitcnt vmcnt(0) lgkmcnt(0)
	v_fma_f64 v[83:84], v[87:88], v[89:90], v[83:84]
	s_andn2_b64 exec, exec, s[6:7]
	s_cbranch_execnz .LBB104_785
; %bb.786:
	s_or_b64 exec, exec, s[6:7]
.LBB104_787:
	s_or_b64 exec, exec, s[4:5]
	v_mov_b32_e32 v0, 0
	ds_read_b64 v[85:86], v0 offset:320
	s_waitcnt lgkmcnt(0)
	v_mul_f64 v[83:84], v[83:84], v[85:86]
	buffer_store_dword v84, off, s[0:3], 0 offset:324
	buffer_store_dword v83, off, s[0:3], 0 offset:320
.LBB104_788:
	s_or_b64 exec, exec, s[8:9]
.LBB104_789:
	buffer_load_dword v83, off, s[0:3], 0
	buffer_load_dword v84, off, s[0:3], 0 offset:4
	s_waitcnt vmcnt(0)
	flat_store_dwordx2 v[1:2], v[83:84]
	buffer_load_dword v0, off, s[0:3], 0 offset:8
	s_nop 0
	buffer_load_dword v1, off, s[0:3], 0 offset:12
	s_waitcnt vmcnt(0)
	flat_store_dwordx2 v[3:4], v[0:1]
	buffer_load_dword v0, off, s[0:3], 0 offset:16
	s_nop 0
	;; [unrolled: 5-line block ×40, first 2 shown]
	buffer_load_dword v1, off, s[0:3], 0 offset:324
	s_waitcnt vmcnt(0)
	flat_store_dwordx2 v[81:82], v[0:1]
.LBB104_790:
	s_endpgm
	.section	.rodata,"a",@progbits
	.p2align	6, 0x0
	.amdhsa_kernel _ZN9rocsolver6v33100L18trti2_kernel_smallILi41EdPKPdEEv13rocblas_fill_17rocblas_diagonal_T1_iil
		.amdhsa_group_segment_fixed_size 664
		.amdhsa_private_segment_fixed_size 336
		.amdhsa_kernarg_size 32
		.amdhsa_user_sgpr_count 6
		.amdhsa_user_sgpr_private_segment_buffer 1
		.amdhsa_user_sgpr_dispatch_ptr 0
		.amdhsa_user_sgpr_queue_ptr 0
		.amdhsa_user_sgpr_kernarg_segment_ptr 1
		.amdhsa_user_sgpr_dispatch_id 0
		.amdhsa_user_sgpr_flat_scratch_init 0
		.amdhsa_user_sgpr_private_segment_size 0
		.amdhsa_uses_dynamic_stack 0
		.amdhsa_system_sgpr_private_segment_wavefront_offset 1
		.amdhsa_system_sgpr_workgroup_id_x 1
		.amdhsa_system_sgpr_workgroup_id_y 0
		.amdhsa_system_sgpr_workgroup_id_z 0
		.amdhsa_system_sgpr_workgroup_info 0
		.amdhsa_system_vgpr_workitem_id 0
		.amdhsa_next_free_vgpr 96
		.amdhsa_next_free_sgpr 54
		.amdhsa_reserve_vcc 1
		.amdhsa_reserve_flat_scratch 0
		.amdhsa_float_round_mode_32 0
		.amdhsa_float_round_mode_16_64 0
		.amdhsa_float_denorm_mode_32 3
		.amdhsa_float_denorm_mode_16_64 3
		.amdhsa_dx10_clamp 1
		.amdhsa_ieee_mode 1
		.amdhsa_fp16_overflow 0
		.amdhsa_exception_fp_ieee_invalid_op 0
		.amdhsa_exception_fp_denorm_src 0
		.amdhsa_exception_fp_ieee_div_zero 0
		.amdhsa_exception_fp_ieee_overflow 0
		.amdhsa_exception_fp_ieee_underflow 0
		.amdhsa_exception_fp_ieee_inexact 0
		.amdhsa_exception_int_div_zero 0
	.end_amdhsa_kernel
	.section	.text._ZN9rocsolver6v33100L18trti2_kernel_smallILi41EdPKPdEEv13rocblas_fill_17rocblas_diagonal_T1_iil,"axG",@progbits,_ZN9rocsolver6v33100L18trti2_kernel_smallILi41EdPKPdEEv13rocblas_fill_17rocblas_diagonal_T1_iil,comdat
.Lfunc_end104:
	.size	_ZN9rocsolver6v33100L18trti2_kernel_smallILi41EdPKPdEEv13rocblas_fill_17rocblas_diagonal_T1_iil, .Lfunc_end104-_ZN9rocsolver6v33100L18trti2_kernel_smallILi41EdPKPdEEv13rocblas_fill_17rocblas_diagonal_T1_iil
                                        ; -- End function
	.set _ZN9rocsolver6v33100L18trti2_kernel_smallILi41EdPKPdEEv13rocblas_fill_17rocblas_diagonal_T1_iil.num_vgpr, 96
	.set _ZN9rocsolver6v33100L18trti2_kernel_smallILi41EdPKPdEEv13rocblas_fill_17rocblas_diagonal_T1_iil.num_agpr, 0
	.set _ZN9rocsolver6v33100L18trti2_kernel_smallILi41EdPKPdEEv13rocblas_fill_17rocblas_diagonal_T1_iil.numbered_sgpr, 54
	.set _ZN9rocsolver6v33100L18trti2_kernel_smallILi41EdPKPdEEv13rocblas_fill_17rocblas_diagonal_T1_iil.num_named_barrier, 0
	.set _ZN9rocsolver6v33100L18trti2_kernel_smallILi41EdPKPdEEv13rocblas_fill_17rocblas_diagonal_T1_iil.private_seg_size, 336
	.set _ZN9rocsolver6v33100L18trti2_kernel_smallILi41EdPKPdEEv13rocblas_fill_17rocblas_diagonal_T1_iil.uses_vcc, 1
	.set _ZN9rocsolver6v33100L18trti2_kernel_smallILi41EdPKPdEEv13rocblas_fill_17rocblas_diagonal_T1_iil.uses_flat_scratch, 0
	.set _ZN9rocsolver6v33100L18trti2_kernel_smallILi41EdPKPdEEv13rocblas_fill_17rocblas_diagonal_T1_iil.has_dyn_sized_stack, 0
	.set _ZN9rocsolver6v33100L18trti2_kernel_smallILi41EdPKPdEEv13rocblas_fill_17rocblas_diagonal_T1_iil.has_recursion, 0
	.set _ZN9rocsolver6v33100L18trti2_kernel_smallILi41EdPKPdEEv13rocblas_fill_17rocblas_diagonal_T1_iil.has_indirect_call, 0
	.section	.AMDGPU.csdata,"",@progbits
; Kernel info:
; codeLenInByte = 24208
; TotalNumSgprs: 58
; NumVgprs: 96
; ScratchSize: 336
; MemoryBound: 0
; FloatMode: 240
; IeeeMode: 1
; LDSByteSize: 664 bytes/workgroup (compile time only)
; SGPRBlocks: 7
; VGPRBlocks: 23
; NumSGPRsForWavesPerEU: 58
; NumVGPRsForWavesPerEU: 96
; Occupancy: 2
; WaveLimiterHint : 1
; COMPUTE_PGM_RSRC2:SCRATCH_EN: 1
; COMPUTE_PGM_RSRC2:USER_SGPR: 6
; COMPUTE_PGM_RSRC2:TRAP_HANDLER: 0
; COMPUTE_PGM_RSRC2:TGID_X_EN: 1
; COMPUTE_PGM_RSRC2:TGID_Y_EN: 0
; COMPUTE_PGM_RSRC2:TGID_Z_EN: 0
; COMPUTE_PGM_RSRC2:TIDIG_COMP_CNT: 0
	.section	.text._ZN9rocsolver6v33100L18trti2_kernel_smallILi42EdPKPdEEv13rocblas_fill_17rocblas_diagonal_T1_iil,"axG",@progbits,_ZN9rocsolver6v33100L18trti2_kernel_smallILi42EdPKPdEEv13rocblas_fill_17rocblas_diagonal_T1_iil,comdat
	.globl	_ZN9rocsolver6v33100L18trti2_kernel_smallILi42EdPKPdEEv13rocblas_fill_17rocblas_diagonal_T1_iil ; -- Begin function _ZN9rocsolver6v33100L18trti2_kernel_smallILi42EdPKPdEEv13rocblas_fill_17rocblas_diagonal_T1_iil
	.p2align	8
	.type	_ZN9rocsolver6v33100L18trti2_kernel_smallILi42EdPKPdEEv13rocblas_fill_17rocblas_diagonal_T1_iil,@function
_ZN9rocsolver6v33100L18trti2_kernel_smallILi42EdPKPdEEv13rocblas_fill_17rocblas_diagonal_T1_iil: ; @_ZN9rocsolver6v33100L18trti2_kernel_smallILi42EdPKPdEEv13rocblas_fill_17rocblas_diagonal_T1_iil
; %bb.0:
	s_add_u32 s0, s0, s7
	s_addc_u32 s1, s1, 0
	v_cmp_gt_u32_e32 vcc, 42, v0
	s_and_saveexec_b64 s[8:9], vcc
	s_cbranch_execz .LBB105_810
; %bb.1:
	s_load_dwordx2 s[12:13], s[4:5], 0x10
	s_load_dwordx4 s[8:11], s[4:5], 0x0
	s_ashr_i32 s7, s6, 31
	s_lshl_b64 s[6:7], s[6:7], 3
	v_lshlrev_b32_e32 v87, 3, v0
	s_waitcnt lgkmcnt(0)
	s_ashr_i32 s5, s12, 31
	s_add_u32 s6, s10, s6
	s_addc_u32 s7, s11, s7
	s_load_dwordx2 s[6:7], s[6:7], 0x0
	s_mov_b32 s4, s12
	s_lshl_b64 s[4:5], s[4:5], 3
	s_waitcnt lgkmcnt(0)
	s_add_u32 s4, s6, s4
	s_addc_u32 s5, s7, s5
	v_mov_b32_e32 v2, s5
	v_add_co_u32_e32 v1, vcc, s4, v87
	v_addc_co_u32_e32 v2, vcc, 0, v2, vcc
	flat_load_dwordx2 v[5:6], v[1:2]
	s_mov_b32 s6, s13
	s_ashr_i32 s7, s13, 31
	s_lshl_b64 s[6:7], s[6:7], 3
	v_mov_b32_e32 v4, s7
	v_add_co_u32_e32 v3, vcc, s6, v1
	v_addc_co_u32_e32 v4, vcc, v2, v4, vcc
	s_add_i32 s6, s13, s13
	v_add_u32_e32 v9, s6, v0
	v_ashrrev_i32_e32 v10, 31, v9
	v_mov_b32_e32 v11, s5
	v_add_u32_e32 v12, s13, v9
	v_ashrrev_i32_e32 v13, 31, v12
	v_mov_b32_e32 v14, s5
	v_mov_b32_e32 v15, s5
	;; [unrolled: 1-line block ×38, first 2 shown]
	s_cmpk_lg_i32 s9, 0x84
	s_cselect_b64 s[10:11], -1, 0
	s_cmpk_eq_i32 s9, 0x84
	s_waitcnt vmcnt(0) lgkmcnt(0)
	buffer_store_dword v6, off, s[0:3], 0 offset:4
	buffer_store_dword v5, off, s[0:3], 0
	flat_load_dwordx2 v[7:8], v[3:4]
	v_lshlrev_b64 v[5:6], 3, v[9:10]
	s_waitcnt vmcnt(0) lgkmcnt(0)
	buffer_store_dword v8, off, s[0:3], 0 offset:12
	buffer_store_dword v7, off, s[0:3], 0 offset:8
	v_add_co_u32_e32 v5, vcc, s4, v5
	v_addc_co_u32_e32 v6, vcc, v11, v6, vcc
	flat_load_dwordx2 v[10:11], v[5:6]
	v_lshlrev_b64 v[7:8], 3, v[12:13]
	s_waitcnt vmcnt(0) lgkmcnt(0)
	buffer_store_dword v11, off, s[0:3], 0 offset:20
	buffer_store_dword v10, off, s[0:3], 0 offset:16
	v_add_co_u32_e32 v7, vcc, s4, v7
	v_addc_co_u32_e32 v8, vcc, v14, v8, vcc
	flat_load_dwordx2 v[13:14], v[7:8]
	v_add_u32_e32 v11, s13, v12
	v_ashrrev_i32_e32 v12, 31, v11
	v_lshlrev_b64 v[9:10], 3, v[11:12]
	s_waitcnt vmcnt(0) lgkmcnt(0)
	buffer_store_dword v14, off, s[0:3], 0 offset:28
	buffer_store_dword v13, off, s[0:3], 0 offset:24
	v_add_co_u32_e32 v9, vcc, s4, v9
	v_addc_co_u32_e32 v10, vcc, v15, v10, vcc
	flat_load_dwordx2 v[13:14], v[9:10]
	v_add_u32_e32 v15, s13, v11
	v_ashrrev_i32_e32 v16, 31, v15
	v_lshlrev_b64 v[11:12], 3, v[15:16]
	v_add_u32_e32 v18, s13, v15
	v_add_co_u32_e32 v11, vcc, s4, v11
	v_addc_co_u32_e32 v12, vcc, v17, v12, vcc
	v_ashrrev_i32_e32 v19, 31, v18
	s_waitcnt vmcnt(0) lgkmcnt(0)
	buffer_store_dword v14, off, s[0:3], 0 offset:36
	buffer_store_dword v13, off, s[0:3], 0 offset:32
	flat_load_dwordx2 v[16:17], v[11:12]
	v_lshlrev_b64 v[13:14], 3, v[18:19]
	s_waitcnt vmcnt(0) lgkmcnt(0)
	buffer_store_dword v17, off, s[0:3], 0 offset:44
	buffer_store_dword v16, off, s[0:3], 0 offset:40
	v_add_co_u32_e32 v13, vcc, s4, v13
	v_addc_co_u32_e32 v14, vcc, v20, v14, vcc
	flat_load_dwordx2 v[19:20], v[13:14]
	v_add_u32_e32 v17, s13, v18
	v_ashrrev_i32_e32 v18, 31, v17
	v_lshlrev_b64 v[15:16], 3, v[17:18]
	s_waitcnt vmcnt(0) lgkmcnt(0)
	buffer_store_dword v20, off, s[0:3], 0 offset:52
	buffer_store_dword v19, off, s[0:3], 0 offset:48
	v_add_co_u32_e32 v15, vcc, s4, v15
	v_addc_co_u32_e32 v16, vcc, v21, v16, vcc
	flat_load_dwordx2 v[19:20], v[15:16]
	v_add_u32_e32 v21, s13, v17
	v_ashrrev_i32_e32 v22, 31, v21
	v_lshlrev_b64 v[17:18], 3, v[21:22]
	v_add_u32_e32 v24, s13, v21
	v_add_co_u32_e32 v17, vcc, s4, v17
	v_addc_co_u32_e32 v18, vcc, v23, v18, vcc
	v_ashrrev_i32_e32 v25, 31, v24
	s_waitcnt vmcnt(0) lgkmcnt(0)
	buffer_store_dword v20, off, s[0:3], 0 offset:60
	buffer_store_dword v19, off, s[0:3], 0 offset:56
	flat_load_dwordx2 v[22:23], v[17:18]
	v_lshlrev_b64 v[19:20], 3, v[24:25]
	s_waitcnt vmcnt(0) lgkmcnt(0)
	buffer_store_dword v23, off, s[0:3], 0 offset:68
	buffer_store_dword v22, off, s[0:3], 0 offset:64
	v_add_co_u32_e32 v19, vcc, s4, v19
	v_addc_co_u32_e32 v20, vcc, v26, v20, vcc
	flat_load_dwordx2 v[25:26], v[19:20]
	v_add_u32_e32 v23, s13, v24
	v_ashrrev_i32_e32 v24, 31, v23
	v_lshlrev_b64 v[21:22], 3, v[23:24]
	s_waitcnt vmcnt(0) lgkmcnt(0)
	buffer_store_dword v26, off, s[0:3], 0 offset:76
	buffer_store_dword v25, off, s[0:3], 0 offset:72
	v_add_co_u32_e32 v21, vcc, s4, v21
	v_addc_co_u32_e32 v22, vcc, v27, v22, vcc
	flat_load_dwordx2 v[25:26], v[21:22]
	v_add_u32_e32 v27, s13, v23
	v_ashrrev_i32_e32 v28, 31, v27
	v_lshlrev_b64 v[23:24], 3, v[27:28]
	v_add_u32_e32 v30, s13, v27
	v_add_co_u32_e32 v23, vcc, s4, v23
	v_addc_co_u32_e32 v24, vcc, v29, v24, vcc
	v_ashrrev_i32_e32 v31, 31, v30
	s_waitcnt vmcnt(0) lgkmcnt(0)
	buffer_store_dword v26, off, s[0:3], 0 offset:84
	buffer_store_dword v25, off, s[0:3], 0 offset:80
	flat_load_dwordx2 v[28:29], v[23:24]
	v_lshlrev_b64 v[25:26], 3, v[30:31]
	s_waitcnt vmcnt(0) lgkmcnt(0)
	buffer_store_dword v29, off, s[0:3], 0 offset:92
	buffer_store_dword v28, off, s[0:3], 0 offset:88
	v_add_co_u32_e32 v25, vcc, s4, v25
	v_addc_co_u32_e32 v26, vcc, v32, v26, vcc
	flat_load_dwordx2 v[31:32], v[25:26]
	v_add_u32_e32 v29, s13, v30
	v_ashrrev_i32_e32 v30, 31, v29
	v_lshlrev_b64 v[27:28], 3, v[29:30]
	s_waitcnt vmcnt(0) lgkmcnt(0)
	buffer_store_dword v32, off, s[0:3], 0 offset:100
	buffer_store_dword v31, off, s[0:3], 0 offset:96
	v_add_co_u32_e32 v27, vcc, s4, v27
	v_addc_co_u32_e32 v28, vcc, v33, v28, vcc
	flat_load_dwordx2 v[31:32], v[27:28]
	v_add_u32_e32 v33, s13, v29
	v_ashrrev_i32_e32 v34, 31, v33
	v_lshlrev_b64 v[29:30], 3, v[33:34]
	v_add_u32_e32 v36, s13, v33
	v_add_co_u32_e32 v29, vcc, s4, v29
	v_addc_co_u32_e32 v30, vcc, v35, v30, vcc
	v_ashrrev_i32_e32 v37, 31, v36
	s_waitcnt vmcnt(0) lgkmcnt(0)
	buffer_store_dword v32, off, s[0:3], 0 offset:108
	buffer_store_dword v31, off, s[0:3], 0 offset:104
	flat_load_dwordx2 v[34:35], v[29:30]
	v_lshlrev_b64 v[31:32], 3, v[36:37]
	s_waitcnt vmcnt(0) lgkmcnt(0)
	buffer_store_dword v35, off, s[0:3], 0 offset:116
	buffer_store_dword v34, off, s[0:3], 0 offset:112
	v_add_co_u32_e32 v31, vcc, s4, v31
	v_addc_co_u32_e32 v32, vcc, v38, v32, vcc
	flat_load_dwordx2 v[37:38], v[31:32]
	v_add_u32_e32 v35, s13, v36
	v_ashrrev_i32_e32 v36, 31, v35
	v_lshlrev_b64 v[33:34], 3, v[35:36]
	s_waitcnt vmcnt(0) lgkmcnt(0)
	buffer_store_dword v38, off, s[0:3], 0 offset:124
	buffer_store_dword v37, off, s[0:3], 0 offset:120
	v_add_co_u32_e32 v33, vcc, s4, v33
	v_addc_co_u32_e32 v34, vcc, v39, v34, vcc
	flat_load_dwordx2 v[37:38], v[33:34]
	v_add_u32_e32 v39, s13, v35
	v_ashrrev_i32_e32 v40, 31, v39
	v_lshlrev_b64 v[35:36], 3, v[39:40]
	v_add_u32_e32 v42, s13, v39
	v_add_co_u32_e32 v35, vcc, s4, v35
	v_addc_co_u32_e32 v36, vcc, v41, v36, vcc
	v_ashrrev_i32_e32 v43, 31, v42
	s_waitcnt vmcnt(0) lgkmcnt(0)
	buffer_store_dword v38, off, s[0:3], 0 offset:132
	buffer_store_dword v37, off, s[0:3], 0 offset:128
	flat_load_dwordx2 v[40:41], v[35:36]
	v_lshlrev_b64 v[37:38], 3, v[42:43]
	s_waitcnt vmcnt(0) lgkmcnt(0)
	buffer_store_dword v41, off, s[0:3], 0 offset:140
	buffer_store_dword v40, off, s[0:3], 0 offset:136
	v_add_co_u32_e32 v37, vcc, s4, v37
	v_addc_co_u32_e32 v38, vcc, v44, v38, vcc
	flat_load_dwordx2 v[43:44], v[37:38]
	v_add_u32_e32 v41, s13, v42
	v_ashrrev_i32_e32 v42, 31, v41
	v_lshlrev_b64 v[39:40], 3, v[41:42]
	s_waitcnt vmcnt(0) lgkmcnt(0)
	buffer_store_dword v44, off, s[0:3], 0 offset:148
	buffer_store_dword v43, off, s[0:3], 0 offset:144
	v_add_co_u32_e32 v39, vcc, s4, v39
	v_addc_co_u32_e32 v40, vcc, v45, v40, vcc
	flat_load_dwordx2 v[43:44], v[39:40]
	v_add_u32_e32 v45, s13, v41
	v_ashrrev_i32_e32 v46, 31, v45
	v_lshlrev_b64 v[41:42], 3, v[45:46]
	v_add_u32_e32 v48, s13, v45
	v_add_co_u32_e32 v41, vcc, s4, v41
	v_addc_co_u32_e32 v42, vcc, v47, v42, vcc
	v_ashrrev_i32_e32 v49, 31, v48
	s_waitcnt vmcnt(0) lgkmcnt(0)
	buffer_store_dword v44, off, s[0:3], 0 offset:156
	buffer_store_dword v43, off, s[0:3], 0 offset:152
	flat_load_dwordx2 v[46:47], v[41:42]
	v_lshlrev_b64 v[43:44], 3, v[48:49]
	s_waitcnt vmcnt(0) lgkmcnt(0)
	buffer_store_dword v47, off, s[0:3], 0 offset:164
	buffer_store_dword v46, off, s[0:3], 0 offset:160
	v_add_co_u32_e32 v43, vcc, s4, v43
	v_addc_co_u32_e32 v44, vcc, v50, v44, vcc
	flat_load_dwordx2 v[49:50], v[43:44]
	v_add_u32_e32 v47, s13, v48
	v_ashrrev_i32_e32 v48, 31, v47
	v_lshlrev_b64 v[45:46], 3, v[47:48]
	s_waitcnt vmcnt(0) lgkmcnt(0)
	buffer_store_dword v50, off, s[0:3], 0 offset:172
	buffer_store_dword v49, off, s[0:3], 0 offset:168
	v_add_co_u32_e32 v45, vcc, s4, v45
	v_addc_co_u32_e32 v46, vcc, v51, v46, vcc
	flat_load_dwordx2 v[49:50], v[45:46]
	v_add_u32_e32 v51, s13, v47
	v_ashrrev_i32_e32 v52, 31, v51
	v_lshlrev_b64 v[47:48], 3, v[51:52]
	v_add_u32_e32 v54, s13, v51
	v_add_co_u32_e32 v47, vcc, s4, v47
	v_addc_co_u32_e32 v48, vcc, v53, v48, vcc
	v_ashrrev_i32_e32 v55, 31, v54
	s_waitcnt vmcnt(0) lgkmcnt(0)
	buffer_store_dword v50, off, s[0:3], 0 offset:180
	buffer_store_dword v49, off, s[0:3], 0 offset:176
	flat_load_dwordx2 v[52:53], v[47:48]
	v_lshlrev_b64 v[49:50], 3, v[54:55]
	s_waitcnt vmcnt(0) lgkmcnt(0)
	buffer_store_dword v53, off, s[0:3], 0 offset:188
	buffer_store_dword v52, off, s[0:3], 0 offset:184
	v_add_co_u32_e32 v49, vcc, s4, v49
	v_addc_co_u32_e32 v50, vcc, v56, v50, vcc
	flat_load_dwordx2 v[55:56], v[49:50]
	v_add_u32_e32 v53, s13, v54
	v_ashrrev_i32_e32 v54, 31, v53
	v_lshlrev_b64 v[51:52], 3, v[53:54]
	s_waitcnt vmcnt(0) lgkmcnt(0)
	buffer_store_dword v56, off, s[0:3], 0 offset:196
	buffer_store_dword v55, off, s[0:3], 0 offset:192
	v_add_co_u32_e32 v51, vcc, s4, v51
	v_addc_co_u32_e32 v52, vcc, v57, v52, vcc
	flat_load_dwordx2 v[55:56], v[51:52]
	v_add_u32_e32 v57, s13, v53
	v_ashrrev_i32_e32 v58, 31, v57
	v_lshlrev_b64 v[53:54], 3, v[57:58]
	v_add_u32_e32 v60, s13, v57
	v_add_co_u32_e32 v53, vcc, s4, v53
	v_addc_co_u32_e32 v54, vcc, v59, v54, vcc
	s_waitcnt vmcnt(0) lgkmcnt(0)
	buffer_store_dword v56, off, s[0:3], 0 offset:204
	buffer_store_dword v55, off, s[0:3], 0 offset:200
	flat_load_dwordx2 v[58:59], v[53:54]
	v_ashrrev_i32_e32 v61, 31, v60
	v_lshlrev_b64 v[55:56], 3, v[60:61]
	s_waitcnt vmcnt(0) lgkmcnt(0)
	buffer_store_dword v59, off, s[0:3], 0 offset:212
	buffer_store_dword v58, off, s[0:3], 0 offset:208
	v_add_co_u32_e32 v55, vcc, s4, v55
	v_addc_co_u32_e32 v56, vcc, v62, v56, vcc
	flat_load_dwordx2 v[61:62], v[55:56]
	v_add_u32_e32 v59, s13, v60
	v_ashrrev_i32_e32 v60, 31, v59
	v_lshlrev_b64 v[57:58], 3, v[59:60]
	s_waitcnt vmcnt(0) lgkmcnt(0)
	buffer_store_dword v62, off, s[0:3], 0 offset:220
	buffer_store_dword v61, off, s[0:3], 0 offset:216
	v_add_co_u32_e32 v57, vcc, s4, v57
	v_addc_co_u32_e32 v58, vcc, v63, v58, vcc
	flat_load_dwordx2 v[61:62], v[57:58]
	v_add_u32_e32 v63, s13, v59
	;; [unrolled: 9-line block ×14, first 2 shown]
	v_ashrrev_i32_e32 v84, 31, v83
	v_lshlrev_b64 v[83:84], 3, v[83:84]
	s_waitcnt vmcnt(0) lgkmcnt(0)
	buffer_store_dword v86, off, s[0:3], 0 offset:324
	buffer_store_dword v85, off, s[0:3], 0 offset:320
	v_add_co_u32_e32 v83, vcc, s4, v83
	v_addc_co_u32_e32 v84, vcc, v88, v84, vcc
	flat_load_dwordx2 v[88:89], v[83:84]
	v_mov_b32_e32 v85, 0
	v_mov_b32_e32 v86, 0xbff00000
	s_waitcnt vmcnt(0) lgkmcnt(0)
	buffer_store_dword v89, off, s[0:3], 0 offset:332
	buffer_store_dword v88, off, s[0:3], 0 offset:328
	s_cbranch_scc1 .LBB105_3
; %bb.2:
	v_mov_b32_e32 v85, 0
	v_lshl_add_u32 v96, v0, 3, v85
	buffer_load_dword v85, v96, s[0:3], 0 offen
	buffer_load_dword v86, v96, s[0:3], 0 offen offset:4
	s_waitcnt vmcnt(0)
	v_div_scale_f64 v[88:89], s[4:5], v[85:86], v[85:86], 1.0
	v_rcp_f64_e32 v[90:91], v[88:89]
	v_fma_f64 v[92:93], -v[88:89], v[90:91], 1.0
	v_fma_f64 v[90:91], v[90:91], v[92:93], v[90:91]
	v_div_scale_f64 v[92:93], vcc, 1.0, v[85:86], 1.0
	v_fma_f64 v[94:95], -v[88:89], v[90:91], 1.0
	v_fma_f64 v[90:91], v[90:91], v[94:95], v[90:91]
	v_mul_f64 v[94:95], v[92:93], v[90:91]
	v_fma_f64 v[88:89], -v[88:89], v[94:95], v[92:93]
	v_div_fmas_f64 v[88:89], v[88:89], v[90:91], v[94:95]
	v_div_fixup_f64 v[85:86], v[88:89], v[85:86], 1.0
	buffer_store_dword v85, v96, s[0:3], 0 offen
	buffer_store_dword v86, v96, s[0:3], 0 offen offset:4
	v_xor_b32_e32 v86, 0x80000000, v86
.LBB105_3:
	s_cmpk_eq_i32 s8, 0x79
	v_add_u32_e32 v88, 0x150, v87
	v_mov_b32_e32 v89, v87
	s_mov_b64 s[4:5], -1
	ds_write_b64 v87, v[85:86]
	s_cbranch_scc1 .LBB105_407
; %bb.4:
	buffer_load_dword v85, off, s[0:3], 0 offset:320
	buffer_load_dword v86, off, s[0:3], 0 offset:324
	s_movk_i32 s12, 0x48
	s_movk_i32 s13, 0x50
	;; [unrolled: 1-line block ×31, first 2 shown]
	v_cmp_eq_u32_e64 s[4:5], 41, v0
	s_waitcnt vmcnt(0)
	ds_write_b64 v88, v[85:86]
	s_waitcnt lgkmcnt(0)
	; wave barrier
	s_and_saveexec_b64 s[6:7], s[4:5]
	s_cbranch_execz .LBB105_10
; %bb.5:
	s_and_b64 vcc, exec, s[10:11]
	s_cbranch_vccz .LBB105_7
; %bb.6:
	buffer_load_dword v85, v89, s[0:3], 0 offen
	buffer_load_dword v86, v89, s[0:3], 0 offen offset:4
	ds_read_b64 v[90:91], v88
	s_waitcnt vmcnt(0) lgkmcnt(0)
	v_mul_f64 v[85:86], v[85:86], v[90:91]
	s_cbranch_execz .LBB105_8
	s_branch .LBB105_9
.LBB105_7:
                                        ; implicit-def: $vgpr85_vgpr86
.LBB105_8:
	ds_read_b64 v[85:86], v88
.LBB105_9:
	v_mov_b32_e32 v90, 0
	ds_read_b64 v[90:91], v90 offset:320
	s_waitcnt lgkmcnt(0)
	v_mul_f64 v[85:86], v[85:86], v[90:91]
	buffer_store_dword v86, off, s[0:3], 0 offset:324
	buffer_store_dword v85, off, s[0:3], 0 offset:320
.LBB105_10:
	s_or_b64 exec, exec, s[6:7]
	buffer_load_dword v85, off, s[0:3], 0 offset:312
	buffer_load_dword v86, off, s[0:3], 0 offset:316
	s_or_b32 s14, 0, 8
	s_mov_b32 s15, 16
	s_mov_b32 s16, 24
	;; [unrolled: 1-line block ×9, first 2 shown]
	v_cmp_lt_u32_e64 s[6:7], 39, v0
	s_waitcnt vmcnt(0)
	ds_write_b64 v88, v[85:86]
	s_waitcnt lgkmcnt(0)
	; wave barrier
	s_and_saveexec_b64 s[8:9], s[6:7]
	s_cbranch_execz .LBB105_16
; %bb.11:
	s_andn2_b64 vcc, exec, s[10:11]
	s_cbranch_vccnz .LBB105_13
; %bb.12:
	buffer_load_dword v85, v89, s[0:3], 0 offen
	buffer_load_dword v86, v89, s[0:3], 0 offen offset:4
	ds_read_b64 v[90:91], v88
	s_waitcnt vmcnt(0) lgkmcnt(0)
	v_mul_f64 v[85:86], v[85:86], v[90:91]
	s_cbranch_execz .LBB105_14
	s_branch .LBB105_15
.LBB105_13:
                                        ; implicit-def: $vgpr85_vgpr86
.LBB105_14:
	ds_read_b64 v[85:86], v88
.LBB105_15:
	buffer_load_dword v94, off, s[0:3], 0 offset:320
	buffer_load_dword v95, off, s[0:3], 0 offset:324
	v_mov_b32_e32 v90, 0
	ds_read2_b64 v[90:93], v90 offset0:39 offset1:82
	s_waitcnt vmcnt(0) lgkmcnt(0)
	v_fma_f64 v[92:93], v[94:95], v[92:93], v[85:86]
	v_cndmask_b32_e64 v86, v86, v93, s[4:5]
	v_cndmask_b32_e64 v85, v85, v92, s[4:5]
	v_mul_f64 v[85:86], v[85:86], v[90:91]
	buffer_store_dword v86, off, s[0:3], 0 offset:316
	buffer_store_dword v85, off, s[0:3], 0 offset:312
.LBB105_16:
	s_or_b64 exec, exec, s[8:9]
	buffer_load_dword v85, off, s[0:3], 0 offset:304
	buffer_load_dword v86, off, s[0:3], 0 offset:308
	v_cmp_lt_u32_e64 s[4:5], 38, v0
	s_waitcnt vmcnt(0)
	ds_write_b64 v88, v[85:86]
	s_waitcnt lgkmcnt(0)
	; wave barrier
	s_and_saveexec_b64 s[8:9], s[4:5]
	s_cbranch_execz .LBB105_26
; %bb.17:
	s_andn2_b64 vcc, exec, s[10:11]
	s_cbranch_vccnz .LBB105_19
; %bb.18:
	buffer_load_dword v85, v89, s[0:3], 0 offen
	buffer_load_dword v86, v89, s[0:3], 0 offen offset:4
	ds_read_b64 v[90:91], v88
	s_waitcnt vmcnt(0) lgkmcnt(0)
	v_mul_f64 v[85:86], v[85:86], v[90:91]
	s_cbranch_execz .LBB105_20
	s_branch .LBB105_21
.LBB105_19:
                                        ; implicit-def: $vgpr85_vgpr86
.LBB105_20:
	ds_read_b64 v[85:86], v88
.LBB105_21:
	s_and_saveexec_b64 s[12:13], s[6:7]
	s_cbranch_execz .LBB105_25
; %bb.22:
	v_subrev_u32_e32 v90, 39, v0
	s_movk_i32 s54, 0x288
	s_mov_b64 s[6:7], 0
.LBB105_23:                             ; =>This Inner Loop Header: Depth=1
	v_mov_b32_e32 v92, s53
	buffer_load_dword v91, v92, s[0:3], 0 offen
	s_nop 0
	buffer_load_dword v92, v92, s[0:3], 0 offen offset:4
	v_mov_b32_e32 v93, s54
	ds_read_b64 v[93:94], v93
	v_add_u32_e32 v90, -1, v90
	s_add_i32 s54, s54, 8
	s_add_i32 s53, s53, 8
	v_cmp_eq_u32_e32 vcc, 0, v90
	s_or_b64 s[6:7], vcc, s[6:7]
	s_waitcnt vmcnt(0) lgkmcnt(0)
	v_fma_f64 v[85:86], v[91:92], v[93:94], v[85:86]
	s_andn2_b64 exec, exec, s[6:7]
	s_cbranch_execnz .LBB105_23
; %bb.24:
	s_or_b64 exec, exec, s[6:7]
.LBB105_25:
	s_or_b64 exec, exec, s[12:13]
	v_mov_b32_e32 v90, 0
	ds_read_b64 v[90:91], v90 offset:304
	s_waitcnt lgkmcnt(0)
	v_mul_f64 v[85:86], v[85:86], v[90:91]
	buffer_store_dword v86, off, s[0:3], 0 offset:308
	buffer_store_dword v85, off, s[0:3], 0 offset:304
.LBB105_26:
	s_or_b64 exec, exec, s[8:9]
	buffer_load_dword v85, off, s[0:3], 0 offset:296
	buffer_load_dword v86, off, s[0:3], 0 offset:300
	v_cmp_lt_u32_e64 s[6:7], 37, v0
	s_waitcnt vmcnt(0)
	ds_write_b64 v88, v[85:86]
	s_waitcnt lgkmcnt(0)
	; wave barrier
	s_and_saveexec_b64 s[8:9], s[6:7]
	s_cbranch_execz .LBB105_36
; %bb.27:
	s_andn2_b64 vcc, exec, s[10:11]
	s_cbranch_vccnz .LBB105_29
; %bb.28:
	buffer_load_dword v85, v89, s[0:3], 0 offen
	buffer_load_dword v86, v89, s[0:3], 0 offen offset:4
	ds_read_b64 v[90:91], v88
	s_waitcnt vmcnt(0) lgkmcnt(0)
	v_mul_f64 v[85:86], v[85:86], v[90:91]
	s_cbranch_execz .LBB105_30
	s_branch .LBB105_31
.LBB105_29:
                                        ; implicit-def: $vgpr85_vgpr86
.LBB105_30:
	ds_read_b64 v[85:86], v88
.LBB105_31:
	s_and_saveexec_b64 s[12:13], s[4:5]
	s_cbranch_execz .LBB105_35
; %bb.32:
	v_subrev_u32_e32 v90, 38, v0
	s_movk_i32 s53, 0x280
	s_mov_b64 s[4:5], 0
.LBB105_33:                             ; =>This Inner Loop Header: Depth=1
	v_mov_b32_e32 v92, s52
	buffer_load_dword v91, v92, s[0:3], 0 offen
	s_nop 0
	buffer_load_dword v92, v92, s[0:3], 0 offen offset:4
	v_mov_b32_e32 v93, s53
	ds_read_b64 v[93:94], v93
	v_add_u32_e32 v90, -1, v90
	s_add_i32 s53, s53, 8
	s_add_i32 s52, s52, 8
	v_cmp_eq_u32_e32 vcc, 0, v90
	s_or_b64 s[4:5], vcc, s[4:5]
	s_waitcnt vmcnt(0) lgkmcnt(0)
	v_fma_f64 v[85:86], v[91:92], v[93:94], v[85:86]
	s_andn2_b64 exec, exec, s[4:5]
	s_cbranch_execnz .LBB105_33
; %bb.34:
	s_or_b64 exec, exec, s[4:5]
.LBB105_35:
	s_or_b64 exec, exec, s[12:13]
	v_mov_b32_e32 v90, 0
	ds_read_b64 v[90:91], v90 offset:296
	s_waitcnt lgkmcnt(0)
	v_mul_f64 v[85:86], v[85:86], v[90:91]
	buffer_store_dword v86, off, s[0:3], 0 offset:300
	buffer_store_dword v85, off, s[0:3], 0 offset:296
.LBB105_36:
	;; [unrolled: 59-line block ×3, first 2 shown]
	s_or_b64 exec, exec, s[4:5]
	buffer_load_dword v85, off, s[0:3], 0 offset:280
	buffer_load_dword v86, off, s[0:3], 0 offset:284
	v_cmp_lt_u32_e64 s[4:5], 35, v0
	s_waitcnt vmcnt(0)
	ds_write_b64 v88, v[85:86]
	s_waitcnt lgkmcnt(0)
	; wave barrier
	s_and_saveexec_b64 s[6:7], s[4:5]
	s_cbranch_execz .LBB105_56
; %bb.47:
	s_andn2_b64 vcc, exec, s[10:11]
	s_cbranch_vccnz .LBB105_49
; %bb.48:
	buffer_load_dword v85, v89, s[0:3], 0 offen
	buffer_load_dword v86, v89, s[0:3], 0 offen offset:4
	ds_read_b64 v[90:91], v88
	s_waitcnt vmcnt(0) lgkmcnt(0)
	v_mul_f64 v[85:86], v[85:86], v[90:91]
	s_cbranch_execz .LBB105_50
	s_branch .LBB105_51
.LBB105_49:
                                        ; implicit-def: $vgpr85_vgpr86
.LBB105_50:
	ds_read_b64 v[85:86], v88
.LBB105_51:
	s_and_saveexec_b64 s[12:13], s[8:9]
	s_cbranch_execz .LBB105_55
; %bb.52:
	v_subrev_u32_e32 v90, 36, v0
	s_movk_i32 s51, 0x270
	s_mov_b64 s[8:9], 0
.LBB105_53:                             ; =>This Inner Loop Header: Depth=1
	v_mov_b32_e32 v93, s50
	buffer_load_dword v91, v93, s[0:3], 0 offen
	buffer_load_dword v92, v93, s[0:3], 0 offen offset:4
	v_mov_b32_e32 v93, s51
	ds_read_b64 v[93:94], v93
	v_add_u32_e32 v90, -1, v90
	s_add_i32 s51, s51, 8
	s_add_i32 s50, s50, 8
	v_cmp_eq_u32_e32 vcc, 0, v90
	s_or_b64 s[8:9], vcc, s[8:9]
	s_waitcnt vmcnt(0) lgkmcnt(0)
	v_fma_f64 v[85:86], v[91:92], v[93:94], v[85:86]
	s_andn2_b64 exec, exec, s[8:9]
	s_cbranch_execnz .LBB105_53
; %bb.54:
	s_or_b64 exec, exec, s[8:9]
.LBB105_55:
	s_or_b64 exec, exec, s[12:13]
	v_mov_b32_e32 v90, 0
	ds_read_b64 v[90:91], v90 offset:280
	s_waitcnt lgkmcnt(0)
	v_mul_f64 v[85:86], v[85:86], v[90:91]
	buffer_store_dword v86, off, s[0:3], 0 offset:284
	buffer_store_dword v85, off, s[0:3], 0 offset:280
.LBB105_56:
	s_or_b64 exec, exec, s[6:7]
	buffer_load_dword v85, off, s[0:3], 0 offset:272
	buffer_load_dword v86, off, s[0:3], 0 offset:276
	v_cmp_lt_u32_e64 s[6:7], 34, v0
	s_waitcnt vmcnt(0)
	ds_write_b64 v88, v[85:86]
	s_waitcnt lgkmcnt(0)
	; wave barrier
	s_and_saveexec_b64 s[8:9], s[6:7]
	s_cbranch_execz .LBB105_66
; %bb.57:
	s_andn2_b64 vcc, exec, s[10:11]
	s_cbranch_vccnz .LBB105_59
; %bb.58:
	buffer_load_dword v85, v89, s[0:3], 0 offen
	buffer_load_dword v86, v89, s[0:3], 0 offen offset:4
	ds_read_b64 v[90:91], v88
	s_waitcnt vmcnt(0) lgkmcnt(0)
	v_mul_f64 v[85:86], v[85:86], v[90:91]
	s_cbranch_execz .LBB105_60
	s_branch .LBB105_61
.LBB105_59:
                                        ; implicit-def: $vgpr85_vgpr86
.LBB105_60:
	ds_read_b64 v[85:86], v88
.LBB105_61:
	s_and_saveexec_b64 s[12:13], s[4:5]
	s_cbranch_execz .LBB105_65
; %bb.62:
	v_subrev_u32_e32 v90, 35, v0
	s_movk_i32 s50, 0x268
	s_mov_b64 s[4:5], 0
.LBB105_63:                             ; =>This Inner Loop Header: Depth=1
	v_mov_b32_e32 v93, s49
	buffer_load_dword v91, v93, s[0:3], 0 offen
	buffer_load_dword v92, v93, s[0:3], 0 offen offset:4
	v_mov_b32_e32 v93, s50
	ds_read_b64 v[93:94], v93
	v_add_u32_e32 v90, -1, v90
	s_add_i32 s50, s50, 8
	s_add_i32 s49, s49, 8
	v_cmp_eq_u32_e32 vcc, 0, v90
	s_or_b64 s[4:5], vcc, s[4:5]
	s_waitcnt vmcnt(0) lgkmcnt(0)
	v_fma_f64 v[85:86], v[91:92], v[93:94], v[85:86]
	s_andn2_b64 exec, exec, s[4:5]
	s_cbranch_execnz .LBB105_63
; %bb.64:
	s_or_b64 exec, exec, s[4:5]
.LBB105_65:
	s_or_b64 exec, exec, s[12:13]
	v_mov_b32_e32 v90, 0
	ds_read_b64 v[90:91], v90 offset:272
	s_waitcnt lgkmcnt(0)
	v_mul_f64 v[85:86], v[85:86], v[90:91]
	buffer_store_dword v86, off, s[0:3], 0 offset:276
	buffer_store_dword v85, off, s[0:3], 0 offset:272
.LBB105_66:
	;; [unrolled: 58-line block ×5, first 2 shown]
	s_or_b64 exec, exec, s[8:9]
	buffer_load_dword v85, off, s[0:3], 0 offset:240
	buffer_load_dword v86, off, s[0:3], 0 offset:244
	v_cmp_lt_u32_e64 s[6:7], 30, v0
	s_waitcnt vmcnt(0)
	ds_write_b64 v88, v[85:86]
	s_waitcnt lgkmcnt(0)
	; wave barrier
	s_and_saveexec_b64 s[8:9], s[6:7]
	s_cbranch_execz .LBB105_106
; %bb.97:
	s_andn2_b64 vcc, exec, s[10:11]
	s_cbranch_vccnz .LBB105_99
; %bb.98:
	buffer_load_dword v85, v89, s[0:3], 0 offen
	buffer_load_dword v86, v89, s[0:3], 0 offen offset:4
	ds_read_b64 v[90:91], v88
	s_waitcnt vmcnt(0) lgkmcnt(0)
	v_mul_f64 v[85:86], v[85:86], v[90:91]
	s_cbranch_execz .LBB105_100
	s_branch .LBB105_101
.LBB105_99:
                                        ; implicit-def: $vgpr85_vgpr86
.LBB105_100:
	ds_read_b64 v[85:86], v88
.LBB105_101:
	s_and_saveexec_b64 s[12:13], s[4:5]
	s_cbranch_execz .LBB105_105
; %bb.102:
	v_subrev_u32_e32 v90, 31, v0
	s_movk_i32 s46, 0x248
	s_mov_b64 s[4:5], 0
.LBB105_103:                            ; =>This Inner Loop Header: Depth=1
	v_mov_b32_e32 v93, s45
	buffer_load_dword v91, v93, s[0:3], 0 offen
	buffer_load_dword v92, v93, s[0:3], 0 offen offset:4
	v_mov_b32_e32 v93, s46
	ds_read_b64 v[93:94], v93
	v_add_u32_e32 v90, -1, v90
	s_add_i32 s46, s46, 8
	s_add_i32 s45, s45, 8
	v_cmp_eq_u32_e32 vcc, 0, v90
	s_or_b64 s[4:5], vcc, s[4:5]
	s_waitcnt vmcnt(0) lgkmcnt(0)
	v_fma_f64 v[85:86], v[91:92], v[93:94], v[85:86]
	s_andn2_b64 exec, exec, s[4:5]
	s_cbranch_execnz .LBB105_103
; %bb.104:
	s_or_b64 exec, exec, s[4:5]
.LBB105_105:
	s_or_b64 exec, exec, s[12:13]
	v_mov_b32_e32 v90, 0
	ds_read_b64 v[90:91], v90 offset:240
	s_waitcnt lgkmcnt(0)
	v_mul_f64 v[85:86], v[85:86], v[90:91]
	buffer_store_dword v86, off, s[0:3], 0 offset:244
	buffer_store_dword v85, off, s[0:3], 0 offset:240
.LBB105_106:
	s_or_b64 exec, exec, s[8:9]
	buffer_load_dword v85, off, s[0:3], 0 offset:232
	buffer_load_dword v86, off, s[0:3], 0 offset:236
	v_cmp_lt_u32_e64 s[4:5], 29, v0
	s_waitcnt vmcnt(0)
	ds_write_b64 v88, v[85:86]
	s_waitcnt lgkmcnt(0)
	; wave barrier
	s_and_saveexec_b64 s[8:9], s[4:5]
	s_cbranch_execz .LBB105_116
; %bb.107:
	s_andn2_b64 vcc, exec, s[10:11]
	s_cbranch_vccnz .LBB105_109
; %bb.108:
	buffer_load_dword v85, v89, s[0:3], 0 offen
	buffer_load_dword v86, v89, s[0:3], 0 offen offset:4
	ds_read_b64 v[90:91], v88
	s_waitcnt vmcnt(0) lgkmcnt(0)
	v_mul_f64 v[85:86], v[85:86], v[90:91]
	s_cbranch_execz .LBB105_110
	s_branch .LBB105_111
.LBB105_109:
                                        ; implicit-def: $vgpr85_vgpr86
.LBB105_110:
	ds_read_b64 v[85:86], v88
.LBB105_111:
	s_and_saveexec_b64 s[12:13], s[6:7]
	s_cbranch_execz .LBB105_115
; %bb.112:
	v_subrev_u32_e32 v90, 30, v0
	s_movk_i32 s45, 0x240
	s_mov_b64 s[6:7], 0
.LBB105_113:                            ; =>This Inner Loop Header: Depth=1
	v_mov_b32_e32 v93, s44
	buffer_load_dword v91, v93, s[0:3], 0 offen
	buffer_load_dword v92, v93, s[0:3], 0 offen offset:4
	v_mov_b32_e32 v93, s45
	ds_read_b64 v[93:94], v93
	v_add_u32_e32 v90, -1, v90
	s_add_i32 s45, s45, 8
	s_add_i32 s44, s44, 8
	v_cmp_eq_u32_e32 vcc, 0, v90
	s_or_b64 s[6:7], vcc, s[6:7]
	s_waitcnt vmcnt(0) lgkmcnt(0)
	v_fma_f64 v[85:86], v[91:92], v[93:94], v[85:86]
	s_andn2_b64 exec, exec, s[6:7]
	s_cbranch_execnz .LBB105_113
; %bb.114:
	s_or_b64 exec, exec, s[6:7]
.LBB105_115:
	s_or_b64 exec, exec, s[12:13]
	v_mov_b32_e32 v90, 0
	ds_read_b64 v[90:91], v90 offset:232
	s_waitcnt lgkmcnt(0)
	v_mul_f64 v[85:86], v[85:86], v[90:91]
	buffer_store_dword v86, off, s[0:3], 0 offset:236
	buffer_store_dword v85, off, s[0:3], 0 offset:232
.LBB105_116:
	;; [unrolled: 58-line block ×15, first 2 shown]
	s_or_b64 exec, exec, s[8:9]
	buffer_load_dword v85, off, s[0:3], 0 offset:120
	buffer_load_dword v86, off, s[0:3], 0 offset:124
	v_cmp_lt_u32_e64 s[4:5], 15, v0
	s_waitcnt vmcnt(0)
	ds_write_b64 v88, v[85:86]
	s_waitcnt lgkmcnt(0)
	; wave barrier
	s_and_saveexec_b64 s[8:9], s[4:5]
	s_cbranch_execz .LBB105_256
; %bb.247:
	s_andn2_b64 vcc, exec, s[10:11]
	s_cbranch_vccnz .LBB105_249
; %bb.248:
	buffer_load_dword v85, v89, s[0:3], 0 offen
	buffer_load_dword v86, v89, s[0:3], 0 offen offset:4
	ds_read_b64 v[90:91], v88
	s_waitcnt vmcnt(0) lgkmcnt(0)
	v_mul_f64 v[85:86], v[85:86], v[90:91]
	s_cbranch_execz .LBB105_250
	s_branch .LBB105_251
.LBB105_249:
                                        ; implicit-def: $vgpr85_vgpr86
.LBB105_250:
	ds_read_b64 v[85:86], v88
.LBB105_251:
	s_and_saveexec_b64 s[12:13], s[6:7]
	s_cbranch_execz .LBB105_255
; %bb.252:
	v_add_u32_e32 v90, -16, v0
	s_movk_i32 s30, 0x1d0
	s_mov_b64 s[6:7], 0
.LBB105_253:                            ; =>This Inner Loop Header: Depth=1
	v_mov_b32_e32 v93, s29
	buffer_load_dword v91, v93, s[0:3], 0 offen
	buffer_load_dword v92, v93, s[0:3], 0 offen offset:4
	v_mov_b32_e32 v93, s30
	ds_read_b64 v[93:94], v93
	v_add_u32_e32 v90, -1, v90
	s_add_i32 s30, s30, 8
	s_add_i32 s29, s29, 8
	v_cmp_eq_u32_e32 vcc, 0, v90
	s_or_b64 s[6:7], vcc, s[6:7]
	s_waitcnt vmcnt(0) lgkmcnt(0)
	v_fma_f64 v[85:86], v[91:92], v[93:94], v[85:86]
	s_andn2_b64 exec, exec, s[6:7]
	s_cbranch_execnz .LBB105_253
; %bb.254:
	s_or_b64 exec, exec, s[6:7]
.LBB105_255:
	s_or_b64 exec, exec, s[12:13]
	v_mov_b32_e32 v90, 0
	ds_read_b64 v[90:91], v90 offset:120
	s_waitcnt lgkmcnt(0)
	v_mul_f64 v[85:86], v[85:86], v[90:91]
	buffer_store_dword v86, off, s[0:3], 0 offset:124
	buffer_store_dword v85, off, s[0:3], 0 offset:120
.LBB105_256:
	s_or_b64 exec, exec, s[8:9]
	buffer_load_dword v85, off, s[0:3], 0 offset:112
	buffer_load_dword v86, off, s[0:3], 0 offset:116
	v_cmp_lt_u32_e64 s[6:7], 14, v0
	s_waitcnt vmcnt(0)
	ds_write_b64 v88, v[85:86]
	s_waitcnt lgkmcnt(0)
	; wave barrier
	s_and_saveexec_b64 s[8:9], s[6:7]
	s_cbranch_execz .LBB105_266
; %bb.257:
	s_andn2_b64 vcc, exec, s[10:11]
	s_cbranch_vccnz .LBB105_259
; %bb.258:
	buffer_load_dword v85, v89, s[0:3], 0 offen
	buffer_load_dword v86, v89, s[0:3], 0 offen offset:4
	ds_read_b64 v[90:91], v88
	s_waitcnt vmcnt(0) lgkmcnt(0)
	v_mul_f64 v[85:86], v[85:86], v[90:91]
	s_cbranch_execz .LBB105_260
	s_branch .LBB105_261
.LBB105_259:
                                        ; implicit-def: $vgpr85_vgpr86
.LBB105_260:
	ds_read_b64 v[85:86], v88
.LBB105_261:
	s_and_saveexec_b64 s[12:13], s[4:5]
	s_cbranch_execz .LBB105_265
; %bb.262:
	v_add_u32_e32 v90, -15, v0
	s_movk_i32 s29, 0x1c8
	s_mov_b64 s[4:5], 0
.LBB105_263:                            ; =>This Inner Loop Header: Depth=1
	v_mov_b32_e32 v93, s28
	buffer_load_dword v91, v93, s[0:3], 0 offen
	buffer_load_dword v92, v93, s[0:3], 0 offen offset:4
	v_mov_b32_e32 v93, s29
	ds_read_b64 v[93:94], v93
	v_add_u32_e32 v90, -1, v90
	s_add_i32 s29, s29, 8
	s_add_i32 s28, s28, 8
	v_cmp_eq_u32_e32 vcc, 0, v90
	s_or_b64 s[4:5], vcc, s[4:5]
	s_waitcnt vmcnt(0) lgkmcnt(0)
	v_fma_f64 v[85:86], v[91:92], v[93:94], v[85:86]
	s_andn2_b64 exec, exec, s[4:5]
	s_cbranch_execnz .LBB105_263
; %bb.264:
	s_or_b64 exec, exec, s[4:5]
.LBB105_265:
	s_or_b64 exec, exec, s[12:13]
	v_mov_b32_e32 v90, 0
	ds_read_b64 v[90:91], v90 offset:112
	s_waitcnt lgkmcnt(0)
	v_mul_f64 v[85:86], v[85:86], v[90:91]
	buffer_store_dword v86, off, s[0:3], 0 offset:116
	buffer_store_dword v85, off, s[0:3], 0 offset:112
.LBB105_266:
	s_or_b64 exec, exec, s[8:9]
	buffer_load_dword v85, off, s[0:3], 0 offset:104
	buffer_load_dword v86, off, s[0:3], 0 offset:108
	v_cmp_lt_u32_e64 s[4:5], 13, v0
	s_waitcnt vmcnt(0)
	ds_write_b64 v88, v[85:86]
	s_waitcnt lgkmcnt(0)
	; wave barrier
	s_and_saveexec_b64 s[8:9], s[4:5]
	s_cbranch_execz .LBB105_276
; %bb.267:
	s_andn2_b64 vcc, exec, s[10:11]
	s_cbranch_vccnz .LBB105_269
; %bb.268:
	buffer_load_dword v85, v89, s[0:3], 0 offen
	buffer_load_dword v86, v89, s[0:3], 0 offen offset:4
	ds_read_b64 v[90:91], v88
	s_waitcnt vmcnt(0) lgkmcnt(0)
	v_mul_f64 v[85:86], v[85:86], v[90:91]
	s_cbranch_execz .LBB105_270
	s_branch .LBB105_271
.LBB105_269:
                                        ; implicit-def: $vgpr85_vgpr86
.LBB105_270:
	ds_read_b64 v[85:86], v88
.LBB105_271:
	s_and_saveexec_b64 s[12:13], s[6:7]
	s_cbranch_execz .LBB105_275
; %bb.272:
	v_add_u32_e32 v90, -14, v0
	s_movk_i32 s28, 0x1c0
	s_mov_b64 s[6:7], 0
.LBB105_273:                            ; =>This Inner Loop Header: Depth=1
	v_mov_b32_e32 v93, s27
	buffer_load_dword v91, v93, s[0:3], 0 offen
	buffer_load_dword v92, v93, s[0:3], 0 offen offset:4
	v_mov_b32_e32 v93, s28
	ds_read_b64 v[93:94], v93
	v_add_u32_e32 v90, -1, v90
	s_add_i32 s28, s28, 8
	s_add_i32 s27, s27, 8
	v_cmp_eq_u32_e32 vcc, 0, v90
	s_or_b64 s[6:7], vcc, s[6:7]
	s_waitcnt vmcnt(0) lgkmcnt(0)
	v_fma_f64 v[85:86], v[91:92], v[93:94], v[85:86]
	s_andn2_b64 exec, exec, s[6:7]
	s_cbranch_execnz .LBB105_273
; %bb.274:
	s_or_b64 exec, exec, s[6:7]
.LBB105_275:
	s_or_b64 exec, exec, s[12:13]
	v_mov_b32_e32 v90, 0
	ds_read_b64 v[90:91], v90 offset:104
	s_waitcnt lgkmcnt(0)
	v_mul_f64 v[85:86], v[85:86], v[90:91]
	buffer_store_dword v86, off, s[0:3], 0 offset:108
	buffer_store_dword v85, off, s[0:3], 0 offset:104
.LBB105_276:
	s_or_b64 exec, exec, s[8:9]
	buffer_load_dword v85, off, s[0:3], 0 offset:96
	buffer_load_dword v86, off, s[0:3], 0 offset:100
	v_cmp_lt_u32_e64 s[6:7], 12, v0
	s_waitcnt vmcnt(0)
	ds_write_b64 v88, v[85:86]
	s_waitcnt lgkmcnt(0)
	; wave barrier
	s_and_saveexec_b64 s[8:9], s[6:7]
	s_cbranch_execz .LBB105_286
; %bb.277:
	s_andn2_b64 vcc, exec, s[10:11]
	s_cbranch_vccnz .LBB105_279
; %bb.278:
	buffer_load_dword v85, v89, s[0:3], 0 offen
	buffer_load_dword v86, v89, s[0:3], 0 offen offset:4
	ds_read_b64 v[90:91], v88
	s_waitcnt vmcnt(0) lgkmcnt(0)
	v_mul_f64 v[85:86], v[85:86], v[90:91]
	s_cbranch_execz .LBB105_280
	s_branch .LBB105_281
.LBB105_279:
                                        ; implicit-def: $vgpr85_vgpr86
.LBB105_280:
	ds_read_b64 v[85:86], v88
.LBB105_281:
	s_and_saveexec_b64 s[12:13], s[4:5]
	s_cbranch_execz .LBB105_285
; %bb.282:
	v_add_u32_e32 v90, -13, v0
	s_movk_i32 s27, 0x1b8
	s_mov_b64 s[4:5], 0
.LBB105_283:                            ; =>This Inner Loop Header: Depth=1
	v_mov_b32_e32 v93, s26
	buffer_load_dword v91, v93, s[0:3], 0 offen
	buffer_load_dword v92, v93, s[0:3], 0 offen offset:4
	v_mov_b32_e32 v93, s27
	ds_read_b64 v[93:94], v93
	v_add_u32_e32 v90, -1, v90
	s_add_i32 s27, s27, 8
	s_add_i32 s26, s26, 8
	v_cmp_eq_u32_e32 vcc, 0, v90
	s_or_b64 s[4:5], vcc, s[4:5]
	s_waitcnt vmcnt(0) lgkmcnt(0)
	v_fma_f64 v[85:86], v[91:92], v[93:94], v[85:86]
	s_andn2_b64 exec, exec, s[4:5]
	s_cbranch_execnz .LBB105_283
; %bb.284:
	s_or_b64 exec, exec, s[4:5]
.LBB105_285:
	s_or_b64 exec, exec, s[12:13]
	v_mov_b32_e32 v90, 0
	ds_read_b64 v[90:91], v90 offset:96
	s_waitcnt lgkmcnt(0)
	v_mul_f64 v[85:86], v[85:86], v[90:91]
	buffer_store_dword v86, off, s[0:3], 0 offset:100
	buffer_store_dword v85, off, s[0:3], 0 offset:96
.LBB105_286:
	s_or_b64 exec, exec, s[8:9]
	buffer_load_dword v85, off, s[0:3], 0 offset:88
	buffer_load_dword v86, off, s[0:3], 0 offset:92
	v_cmp_lt_u32_e64 s[4:5], 11, v0
	s_waitcnt vmcnt(0)
	ds_write_b64 v88, v[85:86]
	s_waitcnt lgkmcnt(0)
	; wave barrier
	s_and_saveexec_b64 s[8:9], s[4:5]
	s_cbranch_execz .LBB105_296
; %bb.287:
	s_andn2_b64 vcc, exec, s[10:11]
	s_cbranch_vccnz .LBB105_289
; %bb.288:
	buffer_load_dword v85, v89, s[0:3], 0 offen
	buffer_load_dword v86, v89, s[0:3], 0 offen offset:4
	ds_read_b64 v[90:91], v88
	s_waitcnt vmcnt(0) lgkmcnt(0)
	v_mul_f64 v[85:86], v[85:86], v[90:91]
	s_cbranch_execz .LBB105_290
	s_branch .LBB105_291
.LBB105_289:
                                        ; implicit-def: $vgpr85_vgpr86
.LBB105_290:
	ds_read_b64 v[85:86], v88
.LBB105_291:
	s_and_saveexec_b64 s[12:13], s[6:7]
	s_cbranch_execz .LBB105_295
; %bb.292:
	v_add_u32_e32 v90, -12, v0
	s_movk_i32 s26, 0x1b0
	s_mov_b64 s[6:7], 0
.LBB105_293:                            ; =>This Inner Loop Header: Depth=1
	v_mov_b32_e32 v93, s25
	buffer_load_dword v91, v93, s[0:3], 0 offen
	buffer_load_dword v92, v93, s[0:3], 0 offen offset:4
	v_mov_b32_e32 v93, s26
	ds_read_b64 v[93:94], v93
	v_add_u32_e32 v90, -1, v90
	s_add_i32 s26, s26, 8
	s_add_i32 s25, s25, 8
	v_cmp_eq_u32_e32 vcc, 0, v90
	s_or_b64 s[6:7], vcc, s[6:7]
	s_waitcnt vmcnt(0) lgkmcnt(0)
	v_fma_f64 v[85:86], v[91:92], v[93:94], v[85:86]
	s_andn2_b64 exec, exec, s[6:7]
	s_cbranch_execnz .LBB105_293
; %bb.294:
	s_or_b64 exec, exec, s[6:7]
.LBB105_295:
	s_or_b64 exec, exec, s[12:13]
	v_mov_b32_e32 v90, 0
	ds_read_b64 v[90:91], v90 offset:88
	s_waitcnt lgkmcnt(0)
	v_mul_f64 v[85:86], v[85:86], v[90:91]
	buffer_store_dword v86, off, s[0:3], 0 offset:92
	buffer_store_dword v85, off, s[0:3], 0 offset:88
.LBB105_296:
	s_or_b64 exec, exec, s[8:9]
	buffer_load_dword v85, off, s[0:3], 0 offset:80
	buffer_load_dword v86, off, s[0:3], 0 offset:84
	v_cmp_lt_u32_e64 s[6:7], 10, v0
	s_waitcnt vmcnt(0)
	ds_write_b64 v88, v[85:86]
	s_waitcnt lgkmcnt(0)
	; wave barrier
	s_and_saveexec_b64 s[8:9], s[6:7]
	s_cbranch_execz .LBB105_306
; %bb.297:
	s_andn2_b64 vcc, exec, s[10:11]
	s_cbranch_vccnz .LBB105_299
; %bb.298:
	buffer_load_dword v85, v89, s[0:3], 0 offen
	buffer_load_dword v86, v89, s[0:3], 0 offen offset:4
	ds_read_b64 v[90:91], v88
	s_waitcnt vmcnt(0) lgkmcnt(0)
	v_mul_f64 v[85:86], v[85:86], v[90:91]
	s_cbranch_execz .LBB105_300
	s_branch .LBB105_301
.LBB105_299:
                                        ; implicit-def: $vgpr85_vgpr86
.LBB105_300:
	ds_read_b64 v[85:86], v88
.LBB105_301:
	s_and_saveexec_b64 s[12:13], s[4:5]
	s_cbranch_execz .LBB105_305
; %bb.302:
	v_add_u32_e32 v90, -11, v0
	s_movk_i32 s25, 0x1a8
	s_mov_b64 s[4:5], 0
.LBB105_303:                            ; =>This Inner Loop Header: Depth=1
	v_mov_b32_e32 v93, s24
	buffer_load_dword v91, v93, s[0:3], 0 offen
	buffer_load_dword v92, v93, s[0:3], 0 offen offset:4
	v_mov_b32_e32 v93, s25
	ds_read_b64 v[93:94], v93
	v_add_u32_e32 v90, -1, v90
	s_add_i32 s25, s25, 8
	s_add_i32 s24, s24, 8
	v_cmp_eq_u32_e32 vcc, 0, v90
	s_or_b64 s[4:5], vcc, s[4:5]
	s_waitcnt vmcnt(0) lgkmcnt(0)
	v_fma_f64 v[85:86], v[91:92], v[93:94], v[85:86]
	s_andn2_b64 exec, exec, s[4:5]
	s_cbranch_execnz .LBB105_303
; %bb.304:
	s_or_b64 exec, exec, s[4:5]
.LBB105_305:
	s_or_b64 exec, exec, s[12:13]
	v_mov_b32_e32 v90, 0
	ds_read_b64 v[90:91], v90 offset:80
	s_waitcnt lgkmcnt(0)
	v_mul_f64 v[85:86], v[85:86], v[90:91]
	buffer_store_dword v86, off, s[0:3], 0 offset:84
	buffer_store_dword v85, off, s[0:3], 0 offset:80
.LBB105_306:
	s_or_b64 exec, exec, s[8:9]
	buffer_load_dword v85, off, s[0:3], 0 offset:72
	buffer_load_dword v86, off, s[0:3], 0 offset:76
	v_cmp_lt_u32_e64 s[4:5], 9, v0
	s_waitcnt vmcnt(0)
	ds_write_b64 v88, v[85:86]
	s_waitcnt lgkmcnt(0)
	; wave barrier
	s_and_saveexec_b64 s[8:9], s[4:5]
	s_cbranch_execz .LBB105_316
; %bb.307:
	s_andn2_b64 vcc, exec, s[10:11]
	s_cbranch_vccnz .LBB105_309
; %bb.308:
	buffer_load_dword v85, v89, s[0:3], 0 offen
	buffer_load_dword v86, v89, s[0:3], 0 offen offset:4
	ds_read_b64 v[90:91], v88
	s_waitcnt vmcnt(0) lgkmcnt(0)
	v_mul_f64 v[85:86], v[85:86], v[90:91]
	s_cbranch_execz .LBB105_310
	s_branch .LBB105_311
.LBB105_309:
                                        ; implicit-def: $vgpr85_vgpr86
.LBB105_310:
	ds_read_b64 v[85:86], v88
.LBB105_311:
	s_and_saveexec_b64 s[12:13], s[6:7]
	s_cbranch_execz .LBB105_315
; %bb.312:
	v_add_u32_e32 v90, -10, v0
	s_movk_i32 s24, 0x1a0
	s_mov_b64 s[6:7], 0
.LBB105_313:                            ; =>This Inner Loop Header: Depth=1
	v_mov_b32_e32 v93, s23
	buffer_load_dword v91, v93, s[0:3], 0 offen
	buffer_load_dword v92, v93, s[0:3], 0 offen offset:4
	v_mov_b32_e32 v93, s24
	ds_read_b64 v[93:94], v93
	v_add_u32_e32 v90, -1, v90
	s_add_i32 s24, s24, 8
	s_add_i32 s23, s23, 8
	v_cmp_eq_u32_e32 vcc, 0, v90
	s_or_b64 s[6:7], vcc, s[6:7]
	s_waitcnt vmcnt(0) lgkmcnt(0)
	v_fma_f64 v[85:86], v[91:92], v[93:94], v[85:86]
	s_andn2_b64 exec, exec, s[6:7]
	s_cbranch_execnz .LBB105_313
; %bb.314:
	s_or_b64 exec, exec, s[6:7]
.LBB105_315:
	s_or_b64 exec, exec, s[12:13]
	v_mov_b32_e32 v90, 0
	ds_read_b64 v[90:91], v90 offset:72
	s_waitcnt lgkmcnt(0)
	v_mul_f64 v[85:86], v[85:86], v[90:91]
	buffer_store_dword v86, off, s[0:3], 0 offset:76
	buffer_store_dword v85, off, s[0:3], 0 offset:72
.LBB105_316:
	s_or_b64 exec, exec, s[8:9]
	buffer_load_dword v85, off, s[0:3], 0 offset:64
	buffer_load_dword v86, off, s[0:3], 0 offset:68
	v_cmp_lt_u32_e64 s[6:7], 8, v0
	s_waitcnt vmcnt(0)
	ds_write_b64 v88, v[85:86]
	s_waitcnt lgkmcnt(0)
	; wave barrier
	s_and_saveexec_b64 s[8:9], s[6:7]
	s_cbranch_execz .LBB105_326
; %bb.317:
	s_andn2_b64 vcc, exec, s[10:11]
	s_cbranch_vccnz .LBB105_319
; %bb.318:
	buffer_load_dword v85, v89, s[0:3], 0 offen
	buffer_load_dword v86, v89, s[0:3], 0 offen offset:4
	ds_read_b64 v[90:91], v88
	s_waitcnt vmcnt(0) lgkmcnt(0)
	v_mul_f64 v[85:86], v[85:86], v[90:91]
	s_cbranch_execz .LBB105_320
	s_branch .LBB105_321
.LBB105_319:
                                        ; implicit-def: $vgpr85_vgpr86
.LBB105_320:
	ds_read_b64 v[85:86], v88
.LBB105_321:
	s_and_saveexec_b64 s[12:13], s[4:5]
	s_cbranch_execz .LBB105_325
; %bb.322:
	v_add_u32_e32 v90, -9, v0
	s_movk_i32 s23, 0x198
	s_mov_b64 s[4:5], 0
.LBB105_323:                            ; =>This Inner Loop Header: Depth=1
	v_mov_b32_e32 v93, s22
	buffer_load_dword v91, v93, s[0:3], 0 offen
	buffer_load_dword v92, v93, s[0:3], 0 offen offset:4
	v_mov_b32_e32 v93, s23
	ds_read_b64 v[93:94], v93
	v_add_u32_e32 v90, -1, v90
	s_add_i32 s23, s23, 8
	s_add_i32 s22, s22, 8
	v_cmp_eq_u32_e32 vcc, 0, v90
	s_or_b64 s[4:5], vcc, s[4:5]
	s_waitcnt vmcnt(0) lgkmcnt(0)
	v_fma_f64 v[85:86], v[91:92], v[93:94], v[85:86]
	s_andn2_b64 exec, exec, s[4:5]
	s_cbranch_execnz .LBB105_323
; %bb.324:
	s_or_b64 exec, exec, s[4:5]
.LBB105_325:
	s_or_b64 exec, exec, s[12:13]
	v_mov_b32_e32 v90, 0
	ds_read_b64 v[90:91], v90 offset:64
	s_waitcnt lgkmcnt(0)
	v_mul_f64 v[85:86], v[85:86], v[90:91]
	buffer_store_dword v86, off, s[0:3], 0 offset:68
	buffer_store_dword v85, off, s[0:3], 0 offset:64
.LBB105_326:
	s_or_b64 exec, exec, s[8:9]
	buffer_load_dword v85, off, s[0:3], 0 offset:56
	buffer_load_dword v86, off, s[0:3], 0 offset:60
	v_cmp_lt_u32_e64 s[4:5], 7, v0
	s_waitcnt vmcnt(0)
	ds_write_b64 v88, v[85:86]
	s_waitcnt lgkmcnt(0)
	; wave barrier
	s_and_saveexec_b64 s[8:9], s[4:5]
	s_cbranch_execz .LBB105_336
; %bb.327:
	s_andn2_b64 vcc, exec, s[10:11]
	s_cbranch_vccnz .LBB105_329
; %bb.328:
	buffer_load_dword v85, v89, s[0:3], 0 offen
	buffer_load_dword v86, v89, s[0:3], 0 offen offset:4
	ds_read_b64 v[90:91], v88
	s_waitcnt vmcnt(0) lgkmcnt(0)
	v_mul_f64 v[85:86], v[85:86], v[90:91]
	s_cbranch_execz .LBB105_330
	s_branch .LBB105_331
.LBB105_329:
                                        ; implicit-def: $vgpr85_vgpr86
.LBB105_330:
	ds_read_b64 v[85:86], v88
.LBB105_331:
	s_and_saveexec_b64 s[12:13], s[6:7]
	s_cbranch_execz .LBB105_335
; %bb.332:
	v_add_u32_e32 v90, -8, v0
	s_movk_i32 s22, 0x190
	s_mov_b64 s[6:7], 0
.LBB105_333:                            ; =>This Inner Loop Header: Depth=1
	v_mov_b32_e32 v93, s21
	buffer_load_dword v91, v93, s[0:3], 0 offen
	buffer_load_dword v92, v93, s[0:3], 0 offen offset:4
	v_mov_b32_e32 v93, s22
	ds_read_b64 v[93:94], v93
	v_add_u32_e32 v90, -1, v90
	s_add_i32 s22, s22, 8
	s_add_i32 s21, s21, 8
	v_cmp_eq_u32_e32 vcc, 0, v90
	s_or_b64 s[6:7], vcc, s[6:7]
	s_waitcnt vmcnt(0) lgkmcnt(0)
	v_fma_f64 v[85:86], v[91:92], v[93:94], v[85:86]
	s_andn2_b64 exec, exec, s[6:7]
	s_cbranch_execnz .LBB105_333
; %bb.334:
	s_or_b64 exec, exec, s[6:7]
.LBB105_335:
	s_or_b64 exec, exec, s[12:13]
	v_mov_b32_e32 v90, 0
	ds_read_b64 v[90:91], v90 offset:56
	s_waitcnt lgkmcnt(0)
	v_mul_f64 v[85:86], v[85:86], v[90:91]
	buffer_store_dword v86, off, s[0:3], 0 offset:60
	buffer_store_dword v85, off, s[0:3], 0 offset:56
.LBB105_336:
	s_or_b64 exec, exec, s[8:9]
	buffer_load_dword v85, off, s[0:3], 0 offset:48
	buffer_load_dword v86, off, s[0:3], 0 offset:52
	v_cmp_lt_u32_e64 s[6:7], 6, v0
	s_waitcnt vmcnt(0)
	ds_write_b64 v88, v[85:86]
	s_waitcnt lgkmcnt(0)
	; wave barrier
	s_and_saveexec_b64 s[8:9], s[6:7]
	s_cbranch_execz .LBB105_346
; %bb.337:
	s_andn2_b64 vcc, exec, s[10:11]
	s_cbranch_vccnz .LBB105_339
; %bb.338:
	buffer_load_dword v85, v89, s[0:3], 0 offen
	buffer_load_dword v86, v89, s[0:3], 0 offen offset:4
	ds_read_b64 v[90:91], v88
	s_waitcnt vmcnt(0) lgkmcnt(0)
	v_mul_f64 v[85:86], v[85:86], v[90:91]
	s_cbranch_execz .LBB105_340
	s_branch .LBB105_341
.LBB105_339:
                                        ; implicit-def: $vgpr85_vgpr86
.LBB105_340:
	ds_read_b64 v[85:86], v88
.LBB105_341:
	s_and_saveexec_b64 s[12:13], s[4:5]
	s_cbranch_execz .LBB105_345
; %bb.342:
	v_add_u32_e32 v90, -7, v0
	s_movk_i32 s21, 0x188
	s_mov_b64 s[4:5], 0
.LBB105_343:                            ; =>This Inner Loop Header: Depth=1
	v_mov_b32_e32 v93, s20
	buffer_load_dword v91, v93, s[0:3], 0 offen
	buffer_load_dword v92, v93, s[0:3], 0 offen offset:4
	v_mov_b32_e32 v93, s21
	ds_read_b64 v[93:94], v93
	v_add_u32_e32 v90, -1, v90
	s_add_i32 s21, s21, 8
	s_add_i32 s20, s20, 8
	v_cmp_eq_u32_e32 vcc, 0, v90
	s_or_b64 s[4:5], vcc, s[4:5]
	s_waitcnt vmcnt(0) lgkmcnt(0)
	v_fma_f64 v[85:86], v[91:92], v[93:94], v[85:86]
	s_andn2_b64 exec, exec, s[4:5]
	s_cbranch_execnz .LBB105_343
; %bb.344:
	s_or_b64 exec, exec, s[4:5]
.LBB105_345:
	s_or_b64 exec, exec, s[12:13]
	v_mov_b32_e32 v90, 0
	ds_read_b64 v[90:91], v90 offset:48
	s_waitcnt lgkmcnt(0)
	v_mul_f64 v[85:86], v[85:86], v[90:91]
	buffer_store_dword v86, off, s[0:3], 0 offset:52
	buffer_store_dword v85, off, s[0:3], 0 offset:48
.LBB105_346:
	s_or_b64 exec, exec, s[8:9]
	buffer_load_dword v85, off, s[0:3], 0 offset:40
	buffer_load_dword v86, off, s[0:3], 0 offset:44
	v_cmp_lt_u32_e64 s[4:5], 5, v0
	s_waitcnt vmcnt(0)
	ds_write_b64 v88, v[85:86]
	s_waitcnt lgkmcnt(0)
	; wave barrier
	s_and_saveexec_b64 s[8:9], s[4:5]
	s_cbranch_execz .LBB105_356
; %bb.347:
	s_andn2_b64 vcc, exec, s[10:11]
	s_cbranch_vccnz .LBB105_349
; %bb.348:
	buffer_load_dword v85, v89, s[0:3], 0 offen
	buffer_load_dword v86, v89, s[0:3], 0 offen offset:4
	ds_read_b64 v[90:91], v88
	s_waitcnt vmcnt(0) lgkmcnt(0)
	v_mul_f64 v[85:86], v[85:86], v[90:91]
	s_cbranch_execz .LBB105_350
	s_branch .LBB105_351
.LBB105_349:
                                        ; implicit-def: $vgpr85_vgpr86
.LBB105_350:
	ds_read_b64 v[85:86], v88
.LBB105_351:
	s_and_saveexec_b64 s[12:13], s[6:7]
	s_cbranch_execz .LBB105_355
; %bb.352:
	v_add_u32_e32 v90, -6, v0
	s_movk_i32 s20, 0x180
	s_mov_b64 s[6:7], 0
.LBB105_353:                            ; =>This Inner Loop Header: Depth=1
	v_mov_b32_e32 v93, s19
	buffer_load_dword v91, v93, s[0:3], 0 offen
	buffer_load_dword v92, v93, s[0:3], 0 offen offset:4
	v_mov_b32_e32 v93, s20
	ds_read_b64 v[93:94], v93
	v_add_u32_e32 v90, -1, v90
	s_add_i32 s20, s20, 8
	s_add_i32 s19, s19, 8
	v_cmp_eq_u32_e32 vcc, 0, v90
	s_or_b64 s[6:7], vcc, s[6:7]
	s_waitcnt vmcnt(0) lgkmcnt(0)
	v_fma_f64 v[85:86], v[91:92], v[93:94], v[85:86]
	s_andn2_b64 exec, exec, s[6:7]
	s_cbranch_execnz .LBB105_353
; %bb.354:
	s_or_b64 exec, exec, s[6:7]
.LBB105_355:
	s_or_b64 exec, exec, s[12:13]
	v_mov_b32_e32 v90, 0
	ds_read_b64 v[90:91], v90 offset:40
	s_waitcnt lgkmcnt(0)
	v_mul_f64 v[85:86], v[85:86], v[90:91]
	buffer_store_dword v86, off, s[0:3], 0 offset:44
	buffer_store_dword v85, off, s[0:3], 0 offset:40
.LBB105_356:
	s_or_b64 exec, exec, s[8:9]
	buffer_load_dword v85, off, s[0:3], 0 offset:32
	buffer_load_dword v86, off, s[0:3], 0 offset:36
	v_cmp_lt_u32_e64 s[6:7], 4, v0
	s_waitcnt vmcnt(0)
	ds_write_b64 v88, v[85:86]
	s_waitcnt lgkmcnt(0)
	; wave barrier
	s_and_saveexec_b64 s[8:9], s[6:7]
	s_cbranch_execz .LBB105_366
; %bb.357:
	s_andn2_b64 vcc, exec, s[10:11]
	s_cbranch_vccnz .LBB105_359
; %bb.358:
	buffer_load_dword v85, v89, s[0:3], 0 offen
	buffer_load_dword v86, v89, s[0:3], 0 offen offset:4
	ds_read_b64 v[90:91], v88
	s_waitcnt vmcnt(0) lgkmcnt(0)
	v_mul_f64 v[85:86], v[85:86], v[90:91]
	s_cbranch_execz .LBB105_360
	s_branch .LBB105_361
.LBB105_359:
                                        ; implicit-def: $vgpr85_vgpr86
.LBB105_360:
	ds_read_b64 v[85:86], v88
.LBB105_361:
	s_and_saveexec_b64 s[12:13], s[4:5]
	s_cbranch_execz .LBB105_365
; %bb.362:
	v_add_u32_e32 v90, -5, v0
	s_movk_i32 s19, 0x178
	s_mov_b64 s[4:5], 0
.LBB105_363:                            ; =>This Inner Loop Header: Depth=1
	v_mov_b32_e32 v93, s18
	buffer_load_dword v91, v93, s[0:3], 0 offen
	buffer_load_dword v92, v93, s[0:3], 0 offen offset:4
	v_mov_b32_e32 v93, s19
	ds_read_b64 v[93:94], v93
	v_add_u32_e32 v90, -1, v90
	s_add_i32 s19, s19, 8
	s_add_i32 s18, s18, 8
	v_cmp_eq_u32_e32 vcc, 0, v90
	s_or_b64 s[4:5], vcc, s[4:5]
	s_waitcnt vmcnt(0) lgkmcnt(0)
	v_fma_f64 v[85:86], v[91:92], v[93:94], v[85:86]
	s_andn2_b64 exec, exec, s[4:5]
	s_cbranch_execnz .LBB105_363
; %bb.364:
	s_or_b64 exec, exec, s[4:5]
.LBB105_365:
	s_or_b64 exec, exec, s[12:13]
	v_mov_b32_e32 v90, 0
	ds_read_b64 v[90:91], v90 offset:32
	s_waitcnt lgkmcnt(0)
	v_mul_f64 v[85:86], v[85:86], v[90:91]
	buffer_store_dword v86, off, s[0:3], 0 offset:36
	buffer_store_dword v85, off, s[0:3], 0 offset:32
.LBB105_366:
	s_or_b64 exec, exec, s[8:9]
	buffer_load_dword v85, off, s[0:3], 0 offset:24
	buffer_load_dword v86, off, s[0:3], 0 offset:28
	v_cmp_lt_u32_e64 s[4:5], 3, v0
	s_waitcnt vmcnt(0)
	ds_write_b64 v88, v[85:86]
	s_waitcnt lgkmcnt(0)
	; wave barrier
	s_and_saveexec_b64 s[8:9], s[4:5]
	s_cbranch_execz .LBB105_376
; %bb.367:
	s_andn2_b64 vcc, exec, s[10:11]
	s_cbranch_vccnz .LBB105_369
; %bb.368:
	buffer_load_dword v85, v89, s[0:3], 0 offen
	buffer_load_dword v86, v89, s[0:3], 0 offen offset:4
	ds_read_b64 v[90:91], v88
	s_waitcnt vmcnt(0) lgkmcnt(0)
	v_mul_f64 v[85:86], v[85:86], v[90:91]
	s_cbranch_execz .LBB105_370
	s_branch .LBB105_371
.LBB105_369:
                                        ; implicit-def: $vgpr85_vgpr86
.LBB105_370:
	ds_read_b64 v[85:86], v88
.LBB105_371:
	s_and_saveexec_b64 s[12:13], s[6:7]
	s_cbranch_execz .LBB105_375
; %bb.372:
	v_add_u32_e32 v90, -4, v0
	s_movk_i32 s18, 0x170
	s_mov_b64 s[6:7], 0
.LBB105_373:                            ; =>This Inner Loop Header: Depth=1
	v_mov_b32_e32 v93, s17
	buffer_load_dword v91, v93, s[0:3], 0 offen
	buffer_load_dword v92, v93, s[0:3], 0 offen offset:4
	v_mov_b32_e32 v93, s18
	ds_read_b64 v[93:94], v93
	v_add_u32_e32 v90, -1, v90
	s_add_i32 s18, s18, 8
	s_add_i32 s17, s17, 8
	v_cmp_eq_u32_e32 vcc, 0, v90
	s_or_b64 s[6:7], vcc, s[6:7]
	s_waitcnt vmcnt(0) lgkmcnt(0)
	v_fma_f64 v[85:86], v[91:92], v[93:94], v[85:86]
	s_andn2_b64 exec, exec, s[6:7]
	s_cbranch_execnz .LBB105_373
; %bb.374:
	s_or_b64 exec, exec, s[6:7]
.LBB105_375:
	s_or_b64 exec, exec, s[12:13]
	v_mov_b32_e32 v90, 0
	ds_read_b64 v[90:91], v90 offset:24
	s_waitcnt lgkmcnt(0)
	v_mul_f64 v[85:86], v[85:86], v[90:91]
	buffer_store_dword v86, off, s[0:3], 0 offset:28
	buffer_store_dword v85, off, s[0:3], 0 offset:24
.LBB105_376:
	s_or_b64 exec, exec, s[8:9]
	buffer_load_dword v85, off, s[0:3], 0 offset:16
	buffer_load_dword v86, off, s[0:3], 0 offset:20
	v_cmp_lt_u32_e64 s[6:7], 2, v0
	s_waitcnt vmcnt(0)
	ds_write_b64 v88, v[85:86]
	s_waitcnt lgkmcnt(0)
	; wave barrier
	s_and_saveexec_b64 s[8:9], s[6:7]
	s_cbranch_execz .LBB105_386
; %bb.377:
	s_andn2_b64 vcc, exec, s[10:11]
	s_cbranch_vccnz .LBB105_379
; %bb.378:
	buffer_load_dword v85, v89, s[0:3], 0 offen
	buffer_load_dword v86, v89, s[0:3], 0 offen offset:4
	ds_read_b64 v[90:91], v88
	s_waitcnt vmcnt(0) lgkmcnt(0)
	v_mul_f64 v[85:86], v[85:86], v[90:91]
	s_cbranch_execz .LBB105_380
	s_branch .LBB105_381
.LBB105_379:
                                        ; implicit-def: $vgpr85_vgpr86
.LBB105_380:
	ds_read_b64 v[85:86], v88
.LBB105_381:
	s_and_saveexec_b64 s[12:13], s[4:5]
	s_cbranch_execz .LBB105_385
; %bb.382:
	v_add_u32_e32 v90, -3, v0
	s_movk_i32 s17, 0x168
	s_mov_b64 s[4:5], 0
.LBB105_383:                            ; =>This Inner Loop Header: Depth=1
	v_mov_b32_e32 v93, s16
	buffer_load_dword v91, v93, s[0:3], 0 offen
	buffer_load_dword v92, v93, s[0:3], 0 offen offset:4
	v_mov_b32_e32 v93, s17
	ds_read_b64 v[93:94], v93
	v_add_u32_e32 v90, -1, v90
	s_add_i32 s17, s17, 8
	s_add_i32 s16, s16, 8
	v_cmp_eq_u32_e32 vcc, 0, v90
	s_or_b64 s[4:5], vcc, s[4:5]
	s_waitcnt vmcnt(0) lgkmcnt(0)
	v_fma_f64 v[85:86], v[91:92], v[93:94], v[85:86]
	s_andn2_b64 exec, exec, s[4:5]
	s_cbranch_execnz .LBB105_383
; %bb.384:
	s_or_b64 exec, exec, s[4:5]
.LBB105_385:
	s_or_b64 exec, exec, s[12:13]
	v_mov_b32_e32 v90, 0
	ds_read_b64 v[90:91], v90 offset:16
	s_waitcnt lgkmcnt(0)
	v_mul_f64 v[85:86], v[85:86], v[90:91]
	buffer_store_dword v86, off, s[0:3], 0 offset:20
	buffer_store_dword v85, off, s[0:3], 0 offset:16
.LBB105_386:
	s_or_b64 exec, exec, s[8:9]
	buffer_load_dword v85, off, s[0:3], 0 offset:8
	buffer_load_dword v86, off, s[0:3], 0 offset:12
	v_cmp_lt_u32_e64 s[4:5], 1, v0
	s_waitcnt vmcnt(0)
	ds_write_b64 v88, v[85:86]
	s_waitcnt lgkmcnt(0)
	; wave barrier
	s_and_saveexec_b64 s[8:9], s[4:5]
	s_cbranch_execz .LBB105_396
; %bb.387:
	s_andn2_b64 vcc, exec, s[10:11]
	s_cbranch_vccnz .LBB105_389
; %bb.388:
	buffer_load_dword v85, v89, s[0:3], 0 offen
	buffer_load_dword v86, v89, s[0:3], 0 offen offset:4
	ds_read_b64 v[90:91], v88
	s_waitcnt vmcnt(0) lgkmcnt(0)
	v_mul_f64 v[85:86], v[85:86], v[90:91]
	s_cbranch_execz .LBB105_390
	s_branch .LBB105_391
.LBB105_389:
                                        ; implicit-def: $vgpr85_vgpr86
.LBB105_390:
	ds_read_b64 v[85:86], v88
.LBB105_391:
	s_and_saveexec_b64 s[12:13], s[6:7]
	s_cbranch_execz .LBB105_395
; %bb.392:
	v_add_u32_e32 v90, -2, v0
	s_movk_i32 s16, 0x160
	s_mov_b64 s[6:7], 0
.LBB105_393:                            ; =>This Inner Loop Header: Depth=1
	v_mov_b32_e32 v93, s15
	buffer_load_dword v91, v93, s[0:3], 0 offen
	buffer_load_dword v92, v93, s[0:3], 0 offen offset:4
	v_mov_b32_e32 v93, s16
	ds_read_b64 v[93:94], v93
	v_add_u32_e32 v90, -1, v90
	s_add_i32 s16, s16, 8
	s_add_i32 s15, s15, 8
	v_cmp_eq_u32_e32 vcc, 0, v90
	s_or_b64 s[6:7], vcc, s[6:7]
	s_waitcnt vmcnt(0) lgkmcnt(0)
	v_fma_f64 v[85:86], v[91:92], v[93:94], v[85:86]
	s_andn2_b64 exec, exec, s[6:7]
	s_cbranch_execnz .LBB105_393
; %bb.394:
	s_or_b64 exec, exec, s[6:7]
.LBB105_395:
	s_or_b64 exec, exec, s[12:13]
	v_mov_b32_e32 v90, 0
	ds_read_b64 v[90:91], v90 offset:8
	s_waitcnt lgkmcnt(0)
	v_mul_f64 v[85:86], v[85:86], v[90:91]
	buffer_store_dword v86, off, s[0:3], 0 offset:12
	buffer_store_dword v85, off, s[0:3], 0 offset:8
.LBB105_396:
	s_or_b64 exec, exec, s[8:9]
	buffer_load_dword v85, off, s[0:3], 0
	buffer_load_dword v86, off, s[0:3], 0 offset:4
	v_cmp_ne_u32_e32 vcc, 0, v0
	s_waitcnt vmcnt(0)
	ds_write_b64 v88, v[85:86]
	s_waitcnt lgkmcnt(0)
	; wave barrier
	s_and_saveexec_b64 s[6:7], vcc
	s_cbranch_execz .LBB105_406
; %bb.397:
	s_andn2_b64 vcc, exec, s[10:11]
	s_cbranch_vccnz .LBB105_399
; %bb.398:
	buffer_load_dword v85, v89, s[0:3], 0 offen
	buffer_load_dword v86, v89, s[0:3], 0 offen offset:4
	ds_read_b64 v[90:91], v88
	s_waitcnt vmcnt(0) lgkmcnt(0)
	v_mul_f64 v[85:86], v[85:86], v[90:91]
	s_cbranch_execz .LBB105_400
	s_branch .LBB105_401
.LBB105_399:
                                        ; implicit-def: $vgpr85_vgpr86
.LBB105_400:
	ds_read_b64 v[85:86], v88
.LBB105_401:
	s_and_saveexec_b64 s[8:9], s[4:5]
	s_cbranch_execz .LBB105_405
; %bb.402:
	v_add_u32_e32 v90, -1, v0
	s_movk_i32 s12, 0x158
	s_mov_b64 s[4:5], 0
.LBB105_403:                            ; =>This Inner Loop Header: Depth=1
	v_mov_b32_e32 v93, s14
	buffer_load_dword v91, v93, s[0:3], 0 offen
	buffer_load_dword v92, v93, s[0:3], 0 offen offset:4
	v_mov_b32_e32 v93, s12
	ds_read_b64 v[93:94], v93
	v_add_u32_e32 v90, -1, v90
	s_add_i32 s12, s12, 8
	s_add_i32 s14, s14, 8
	v_cmp_eq_u32_e32 vcc, 0, v90
	s_or_b64 s[4:5], vcc, s[4:5]
	s_waitcnt vmcnt(0) lgkmcnt(0)
	v_fma_f64 v[85:86], v[91:92], v[93:94], v[85:86]
	s_andn2_b64 exec, exec, s[4:5]
	s_cbranch_execnz .LBB105_403
; %bb.404:
	s_or_b64 exec, exec, s[4:5]
.LBB105_405:
	s_or_b64 exec, exec, s[8:9]
	v_mov_b32_e32 v90, 0
	ds_read_b64 v[90:91], v90
	s_waitcnt lgkmcnt(0)
	v_mul_f64 v[85:86], v[85:86], v[90:91]
	buffer_store_dword v86, off, s[0:3], 0 offset:4
	buffer_store_dword v85, off, s[0:3], 0
.LBB105_406:
	s_or_b64 exec, exec, s[6:7]
	s_mov_b64 s[4:5], 0
.LBB105_407:
	s_and_b64 vcc, exec, s[4:5]
	s_cbranch_vccz .LBB105_809
; %bb.408:
	buffer_load_dword v85, off, s[0:3], 0 offset:8
	buffer_load_dword v86, off, s[0:3], 0 offset:12
	v_cmp_eq_u32_e64 s[6:7], 0, v0
	s_waitcnt vmcnt(0)
	ds_write_b64 v88, v[85:86]
	s_waitcnt lgkmcnt(0)
	; wave barrier
	s_and_saveexec_b64 s[4:5], s[6:7]
	s_cbranch_execz .LBB105_414
; %bb.409:
	s_and_b64 vcc, exec, s[10:11]
	s_cbranch_vccz .LBB105_411
; %bb.410:
	buffer_load_dword v85, v89, s[0:3], 0 offen
	buffer_load_dword v86, v89, s[0:3], 0 offen offset:4
	ds_read_b64 v[90:91], v88
	s_waitcnt vmcnt(0) lgkmcnt(0)
	v_mul_f64 v[85:86], v[85:86], v[90:91]
	s_cbranch_execz .LBB105_412
	s_branch .LBB105_413
.LBB105_411:
                                        ; implicit-def: $vgpr85_vgpr86
.LBB105_412:
	ds_read_b64 v[85:86], v88
.LBB105_413:
	v_mov_b32_e32 v90, 0
	ds_read_b64 v[90:91], v90 offset:8
	s_waitcnt lgkmcnt(0)
	v_mul_f64 v[85:86], v[85:86], v[90:91]
	buffer_store_dword v86, off, s[0:3], 0 offset:12
	buffer_store_dword v85, off, s[0:3], 0 offset:8
.LBB105_414:
	s_or_b64 exec, exec, s[4:5]
	buffer_load_dword v85, off, s[0:3], 0 offset:16
	buffer_load_dword v86, off, s[0:3], 0 offset:20
	v_cndmask_b32_e64 v90, 0, 1, s[10:11]
	v_cmp_gt_u32_e32 vcc, 2, v0
	v_cmp_ne_u32_e64 s[4:5], 1, v90
	s_waitcnt vmcnt(0)
	ds_write_b64 v88, v[85:86]
	s_waitcnt lgkmcnt(0)
	; wave barrier
	s_and_saveexec_b64 s[8:9], vcc
	s_cbranch_execz .LBB105_420
; %bb.415:
	s_and_b64 vcc, exec, s[4:5]
	s_cbranch_vccnz .LBB105_417
; %bb.416:
	buffer_load_dword v85, v89, s[0:3], 0 offen
	buffer_load_dword v86, v89, s[0:3], 0 offen offset:4
	ds_read_b64 v[90:91], v88
	s_waitcnt vmcnt(0) lgkmcnt(0)
	v_mul_f64 v[85:86], v[85:86], v[90:91]
	s_cbranch_execz .LBB105_418
	s_branch .LBB105_419
.LBB105_417:
                                        ; implicit-def: $vgpr85_vgpr86
.LBB105_418:
	ds_read_b64 v[85:86], v88
.LBB105_419:
	buffer_load_dword v94, off, s[0:3], 0 offset:8
	buffer_load_dword v95, off, s[0:3], 0 offset:12
	v_mov_b32_e32 v90, 0
	ds_read2_b64 v[90:93], v90 offset0:2 offset1:43
	s_waitcnt vmcnt(0) lgkmcnt(0)
	v_fma_f64 v[92:93], v[94:95], v[92:93], v[85:86]
	v_cndmask_b32_e64 v86, v86, v93, s[6:7]
	v_cndmask_b32_e64 v85, v85, v92, s[6:7]
	v_mul_f64 v[85:86], v[85:86], v[90:91]
	buffer_store_dword v86, off, s[0:3], 0 offset:20
	buffer_store_dword v85, off, s[0:3], 0 offset:16
.LBB105_420:
	s_or_b64 exec, exec, s[8:9]
	buffer_load_dword v85, off, s[0:3], 0 offset:24
	buffer_load_dword v86, off, s[0:3], 0 offset:28
	v_cmp_gt_u32_e32 vcc, 3, v0
	s_waitcnt vmcnt(0)
	ds_write_b64 v88, v[85:86]
	s_waitcnt lgkmcnt(0)
	; wave barrier
	s_and_saveexec_b64 s[8:9], vcc
	s_cbranch_execz .LBB105_428
; %bb.421:
	s_and_b64 vcc, exec, s[4:5]
	s_cbranch_vccnz .LBB105_423
; %bb.422:
	buffer_load_dword v85, v89, s[0:3], 0 offen
	buffer_load_dword v86, v89, s[0:3], 0 offen offset:4
	ds_read_b64 v[90:91], v88
	s_waitcnt vmcnt(0) lgkmcnt(0)
	v_mul_f64 v[85:86], v[85:86], v[90:91]
	s_cbranch_execz .LBB105_424
	s_branch .LBB105_425
.LBB105_423:
                                        ; implicit-def: $vgpr85_vgpr86
.LBB105_424:
	ds_read_b64 v[85:86], v88
.LBB105_425:
	v_cmp_ne_u32_e32 vcc, 2, v0
	s_and_saveexec_b64 s[10:11], vcc
	s_cbranch_execz .LBB105_427
; %bb.426:
	buffer_load_dword v90, v89, s[0:3], 0 offen offset:8
	buffer_load_dword v91, v89, s[0:3], 0 offen offset:12
	buffer_load_dword v92, off, s[0:3], 0 offset:16
	buffer_load_dword v93, off, s[0:3], 0 offset:20
	ds_read_b64 v[94:95], v88 offset:8
	v_mov_b32_e32 v96, 0
	ds_read_b64 v[96:97], v96 offset:352
	s_waitcnt vmcnt(2) lgkmcnt(1)
	v_fma_f64 v[85:86], v[90:91], v[94:95], v[85:86]
	s_waitcnt vmcnt(0) lgkmcnt(0)
	v_fma_f64 v[90:91], v[92:93], v[96:97], v[85:86]
	v_cndmask_b32_e64 v86, v86, v91, s[6:7]
	v_cndmask_b32_e64 v85, v85, v90, s[6:7]
.LBB105_427:
	s_or_b64 exec, exec, s[10:11]
	v_mov_b32_e32 v90, 0
	ds_read_b64 v[90:91], v90 offset:24
	s_waitcnt lgkmcnt(0)
	v_mul_f64 v[85:86], v[85:86], v[90:91]
	buffer_store_dword v86, off, s[0:3], 0 offset:28
	buffer_store_dword v85, off, s[0:3], 0 offset:24
.LBB105_428:
	s_or_b64 exec, exec, s[8:9]
	buffer_load_dword v85, off, s[0:3], 0 offset:32
	buffer_load_dword v86, off, s[0:3], 0 offset:36
	v_cmp_gt_u32_e32 vcc, 4, v0
	s_waitcnt vmcnt(0)
	ds_write_b64 v88, v[85:86]
	s_waitcnt lgkmcnt(0)
	; wave barrier
	s_and_saveexec_b64 s[6:7], vcc
	s_cbranch_execz .LBB105_438
; %bb.429:
	s_and_b64 vcc, exec, s[4:5]
	s_cbranch_vccnz .LBB105_431
; %bb.430:
	buffer_load_dword v85, v89, s[0:3], 0 offen
	buffer_load_dword v86, v89, s[0:3], 0 offen offset:4
	ds_read_b64 v[90:91], v88
	s_waitcnt vmcnt(0) lgkmcnt(0)
	v_mul_f64 v[85:86], v[85:86], v[90:91]
	s_cbranch_execz .LBB105_432
	s_branch .LBB105_433
.LBB105_431:
                                        ; implicit-def: $vgpr85_vgpr86
.LBB105_432:
	ds_read_b64 v[85:86], v88
.LBB105_433:
	v_cmp_ne_u32_e32 vcc, 3, v0
	s_and_saveexec_b64 s[8:9], vcc
	s_cbranch_execz .LBB105_437
; %bb.434:
	s_mov_b32 s10, 0
	v_add_u32_e32 v90, 0x158, v87
	v_add3_u32 v91, v87, s10, 8
	s_mov_b64 s[10:11], 0
	v_mov_b32_e32 v92, v0
.LBB105_435:                            ; =>This Inner Loop Header: Depth=1
	buffer_load_dword v93, v91, s[0:3], 0 offen
	buffer_load_dword v94, v91, s[0:3], 0 offen offset:4
	ds_read_b64 v[95:96], v90
	v_add_u32_e32 v92, 1, v92
	v_cmp_lt_u32_e32 vcc, 2, v92
	v_add_u32_e32 v90, 8, v90
	s_or_b64 s[10:11], vcc, s[10:11]
	v_add_u32_e32 v91, 8, v91
	s_waitcnt vmcnt(0) lgkmcnt(0)
	v_fma_f64 v[85:86], v[93:94], v[95:96], v[85:86]
	s_andn2_b64 exec, exec, s[10:11]
	s_cbranch_execnz .LBB105_435
; %bb.436:
	s_or_b64 exec, exec, s[10:11]
.LBB105_437:
	s_or_b64 exec, exec, s[8:9]
	v_mov_b32_e32 v90, 0
	ds_read_b64 v[90:91], v90 offset:32
	s_waitcnt lgkmcnt(0)
	v_mul_f64 v[85:86], v[85:86], v[90:91]
	buffer_store_dword v86, off, s[0:3], 0 offset:36
	buffer_store_dword v85, off, s[0:3], 0 offset:32
.LBB105_438:
	s_or_b64 exec, exec, s[6:7]
	buffer_load_dword v85, off, s[0:3], 0 offset:40
	buffer_load_dword v86, off, s[0:3], 0 offset:44
	v_cmp_gt_u32_e32 vcc, 5, v0
	s_waitcnt vmcnt(0)
	ds_write_b64 v88, v[85:86]
	s_waitcnt lgkmcnt(0)
	; wave barrier
	s_and_saveexec_b64 s[6:7], vcc
	s_cbranch_execz .LBB105_448
; %bb.439:
	s_and_b64 vcc, exec, s[4:5]
	s_cbranch_vccnz .LBB105_441
; %bb.440:
	buffer_load_dword v85, v89, s[0:3], 0 offen
	buffer_load_dword v86, v89, s[0:3], 0 offen offset:4
	ds_read_b64 v[90:91], v88
	s_waitcnt vmcnt(0) lgkmcnt(0)
	v_mul_f64 v[85:86], v[85:86], v[90:91]
	s_cbranch_execz .LBB105_442
	s_branch .LBB105_443
.LBB105_441:
                                        ; implicit-def: $vgpr85_vgpr86
.LBB105_442:
	ds_read_b64 v[85:86], v88
.LBB105_443:
	v_cmp_ne_u32_e32 vcc, 4, v0
	s_and_saveexec_b64 s[8:9], vcc
	s_cbranch_execz .LBB105_447
; %bb.444:
	s_mov_b32 s10, 0
	v_add_u32_e32 v90, 0x158, v87
	v_add3_u32 v91, v87, s10, 8
	s_mov_b64 s[10:11], 0
	v_mov_b32_e32 v92, v0
.LBB105_445:                            ; =>This Inner Loop Header: Depth=1
	buffer_load_dword v93, v91, s[0:3], 0 offen
	buffer_load_dword v94, v91, s[0:3], 0 offen offset:4
	ds_read_b64 v[95:96], v90
	v_add_u32_e32 v92, 1, v92
	v_cmp_lt_u32_e32 vcc, 3, v92
	v_add_u32_e32 v90, 8, v90
	s_or_b64 s[10:11], vcc, s[10:11]
	v_add_u32_e32 v91, 8, v91
	s_waitcnt vmcnt(0) lgkmcnt(0)
	v_fma_f64 v[85:86], v[93:94], v[95:96], v[85:86]
	s_andn2_b64 exec, exec, s[10:11]
	s_cbranch_execnz .LBB105_445
; %bb.446:
	s_or_b64 exec, exec, s[10:11]
.LBB105_447:
	s_or_b64 exec, exec, s[8:9]
	v_mov_b32_e32 v90, 0
	ds_read_b64 v[90:91], v90 offset:40
	s_waitcnt lgkmcnt(0)
	v_mul_f64 v[85:86], v[85:86], v[90:91]
	buffer_store_dword v86, off, s[0:3], 0 offset:44
	buffer_store_dword v85, off, s[0:3], 0 offset:40
.LBB105_448:
	s_or_b64 exec, exec, s[6:7]
	buffer_load_dword v85, off, s[0:3], 0 offset:48
	buffer_load_dword v86, off, s[0:3], 0 offset:52
	v_cmp_gt_u32_e32 vcc, 6, v0
	s_waitcnt vmcnt(0)
	ds_write_b64 v88, v[85:86]
	s_waitcnt lgkmcnt(0)
	; wave barrier
	s_and_saveexec_b64 s[6:7], vcc
	s_cbranch_execz .LBB105_458
; %bb.449:
	s_and_b64 vcc, exec, s[4:5]
	s_cbranch_vccnz .LBB105_451
; %bb.450:
	buffer_load_dword v85, v89, s[0:3], 0 offen
	buffer_load_dword v86, v89, s[0:3], 0 offen offset:4
	ds_read_b64 v[90:91], v88
	s_waitcnt vmcnt(0) lgkmcnt(0)
	v_mul_f64 v[85:86], v[85:86], v[90:91]
	s_cbranch_execz .LBB105_452
	s_branch .LBB105_453
.LBB105_451:
                                        ; implicit-def: $vgpr85_vgpr86
.LBB105_452:
	ds_read_b64 v[85:86], v88
.LBB105_453:
	v_cmp_ne_u32_e32 vcc, 5, v0
	s_and_saveexec_b64 s[8:9], vcc
	s_cbranch_execz .LBB105_457
; %bb.454:
	s_mov_b32 s10, 0
	v_add_u32_e32 v90, 0x158, v87
	v_add3_u32 v91, v87, s10, 8
	s_mov_b64 s[10:11], 0
	v_mov_b32_e32 v92, v0
.LBB105_455:                            ; =>This Inner Loop Header: Depth=1
	buffer_load_dword v93, v91, s[0:3], 0 offen
	buffer_load_dword v94, v91, s[0:3], 0 offen offset:4
	ds_read_b64 v[95:96], v90
	v_add_u32_e32 v92, 1, v92
	v_cmp_lt_u32_e32 vcc, 4, v92
	v_add_u32_e32 v90, 8, v90
	s_or_b64 s[10:11], vcc, s[10:11]
	v_add_u32_e32 v91, 8, v91
	s_waitcnt vmcnt(0) lgkmcnt(0)
	v_fma_f64 v[85:86], v[93:94], v[95:96], v[85:86]
	s_andn2_b64 exec, exec, s[10:11]
	s_cbranch_execnz .LBB105_455
; %bb.456:
	s_or_b64 exec, exec, s[10:11]
.LBB105_457:
	s_or_b64 exec, exec, s[8:9]
	v_mov_b32_e32 v90, 0
	ds_read_b64 v[90:91], v90 offset:48
	s_waitcnt lgkmcnt(0)
	v_mul_f64 v[85:86], v[85:86], v[90:91]
	buffer_store_dword v86, off, s[0:3], 0 offset:52
	buffer_store_dword v85, off, s[0:3], 0 offset:48
.LBB105_458:
	s_or_b64 exec, exec, s[6:7]
	buffer_load_dword v85, off, s[0:3], 0 offset:56
	buffer_load_dword v86, off, s[0:3], 0 offset:60
	v_cmp_gt_u32_e32 vcc, 7, v0
	s_waitcnt vmcnt(0)
	ds_write_b64 v88, v[85:86]
	s_waitcnt lgkmcnt(0)
	; wave barrier
	s_and_saveexec_b64 s[6:7], vcc
	s_cbranch_execz .LBB105_468
; %bb.459:
	s_and_b64 vcc, exec, s[4:5]
	s_cbranch_vccnz .LBB105_461
; %bb.460:
	buffer_load_dword v85, v89, s[0:3], 0 offen
	buffer_load_dword v86, v89, s[0:3], 0 offen offset:4
	ds_read_b64 v[90:91], v88
	s_waitcnt vmcnt(0) lgkmcnt(0)
	v_mul_f64 v[85:86], v[85:86], v[90:91]
	s_cbranch_execz .LBB105_462
	s_branch .LBB105_463
.LBB105_461:
                                        ; implicit-def: $vgpr85_vgpr86
.LBB105_462:
	ds_read_b64 v[85:86], v88
.LBB105_463:
	v_cmp_ne_u32_e32 vcc, 6, v0
	s_and_saveexec_b64 s[8:9], vcc
	s_cbranch_execz .LBB105_467
; %bb.464:
	s_mov_b32 s10, 0
	v_add_u32_e32 v90, 0x158, v87
	v_add3_u32 v91, v87, s10, 8
	s_mov_b64 s[10:11], 0
	v_mov_b32_e32 v92, v0
.LBB105_465:                            ; =>This Inner Loop Header: Depth=1
	buffer_load_dword v93, v91, s[0:3], 0 offen
	buffer_load_dword v94, v91, s[0:3], 0 offen offset:4
	ds_read_b64 v[95:96], v90
	v_add_u32_e32 v92, 1, v92
	v_cmp_lt_u32_e32 vcc, 5, v92
	v_add_u32_e32 v90, 8, v90
	s_or_b64 s[10:11], vcc, s[10:11]
	v_add_u32_e32 v91, 8, v91
	s_waitcnt vmcnt(0) lgkmcnt(0)
	v_fma_f64 v[85:86], v[93:94], v[95:96], v[85:86]
	s_andn2_b64 exec, exec, s[10:11]
	s_cbranch_execnz .LBB105_465
; %bb.466:
	s_or_b64 exec, exec, s[10:11]
.LBB105_467:
	s_or_b64 exec, exec, s[8:9]
	v_mov_b32_e32 v90, 0
	ds_read_b64 v[90:91], v90 offset:56
	s_waitcnt lgkmcnt(0)
	v_mul_f64 v[85:86], v[85:86], v[90:91]
	buffer_store_dword v86, off, s[0:3], 0 offset:60
	buffer_store_dword v85, off, s[0:3], 0 offset:56
.LBB105_468:
	s_or_b64 exec, exec, s[6:7]
	buffer_load_dword v85, off, s[0:3], 0 offset:64
	buffer_load_dword v86, off, s[0:3], 0 offset:68
	v_cmp_gt_u32_e32 vcc, 8, v0
	s_waitcnt vmcnt(0)
	ds_write_b64 v88, v[85:86]
	s_waitcnt lgkmcnt(0)
	; wave barrier
	s_and_saveexec_b64 s[6:7], vcc
	s_cbranch_execz .LBB105_478
; %bb.469:
	s_and_b64 vcc, exec, s[4:5]
	s_cbranch_vccnz .LBB105_471
; %bb.470:
	buffer_load_dword v85, v89, s[0:3], 0 offen
	buffer_load_dword v86, v89, s[0:3], 0 offen offset:4
	ds_read_b64 v[90:91], v88
	s_waitcnt vmcnt(0) lgkmcnt(0)
	v_mul_f64 v[85:86], v[85:86], v[90:91]
	s_cbranch_execz .LBB105_472
	s_branch .LBB105_473
.LBB105_471:
                                        ; implicit-def: $vgpr85_vgpr86
.LBB105_472:
	ds_read_b64 v[85:86], v88
.LBB105_473:
	v_cmp_ne_u32_e32 vcc, 7, v0
	s_and_saveexec_b64 s[8:9], vcc
	s_cbranch_execz .LBB105_477
; %bb.474:
	s_mov_b32 s10, 0
	v_add_u32_e32 v90, 0x158, v87
	v_add3_u32 v91, v87, s10, 8
	s_mov_b64 s[10:11], 0
	v_mov_b32_e32 v92, v0
.LBB105_475:                            ; =>This Inner Loop Header: Depth=1
	buffer_load_dword v93, v91, s[0:3], 0 offen
	buffer_load_dword v94, v91, s[0:3], 0 offen offset:4
	ds_read_b64 v[95:96], v90
	v_add_u32_e32 v92, 1, v92
	v_cmp_lt_u32_e32 vcc, 6, v92
	v_add_u32_e32 v90, 8, v90
	s_or_b64 s[10:11], vcc, s[10:11]
	v_add_u32_e32 v91, 8, v91
	s_waitcnt vmcnt(0) lgkmcnt(0)
	v_fma_f64 v[85:86], v[93:94], v[95:96], v[85:86]
	s_andn2_b64 exec, exec, s[10:11]
	s_cbranch_execnz .LBB105_475
; %bb.476:
	s_or_b64 exec, exec, s[10:11]
.LBB105_477:
	s_or_b64 exec, exec, s[8:9]
	v_mov_b32_e32 v90, 0
	ds_read_b64 v[90:91], v90 offset:64
	s_waitcnt lgkmcnt(0)
	v_mul_f64 v[85:86], v[85:86], v[90:91]
	buffer_store_dword v86, off, s[0:3], 0 offset:68
	buffer_store_dword v85, off, s[0:3], 0 offset:64
.LBB105_478:
	s_or_b64 exec, exec, s[6:7]
	buffer_load_dword v85, off, s[0:3], 0 offset:72
	buffer_load_dword v86, off, s[0:3], 0 offset:76
	v_cmp_gt_u32_e32 vcc, 9, v0
	s_waitcnt vmcnt(0)
	ds_write_b64 v88, v[85:86]
	s_waitcnt lgkmcnt(0)
	; wave barrier
	s_and_saveexec_b64 s[6:7], vcc
	s_cbranch_execz .LBB105_488
; %bb.479:
	s_and_b64 vcc, exec, s[4:5]
	s_cbranch_vccnz .LBB105_481
; %bb.480:
	buffer_load_dword v85, v89, s[0:3], 0 offen
	buffer_load_dword v86, v89, s[0:3], 0 offen offset:4
	ds_read_b64 v[90:91], v88
	s_waitcnt vmcnt(0) lgkmcnt(0)
	v_mul_f64 v[85:86], v[85:86], v[90:91]
	s_cbranch_execz .LBB105_482
	s_branch .LBB105_483
.LBB105_481:
                                        ; implicit-def: $vgpr85_vgpr86
.LBB105_482:
	ds_read_b64 v[85:86], v88
.LBB105_483:
	v_cmp_ne_u32_e32 vcc, 8, v0
	s_and_saveexec_b64 s[8:9], vcc
	s_cbranch_execz .LBB105_487
; %bb.484:
	s_mov_b32 s10, 0
	v_add_u32_e32 v90, 0x158, v87
	v_add3_u32 v91, v87, s10, 8
	s_mov_b64 s[10:11], 0
	v_mov_b32_e32 v92, v0
.LBB105_485:                            ; =>This Inner Loop Header: Depth=1
	buffer_load_dword v93, v91, s[0:3], 0 offen
	buffer_load_dword v94, v91, s[0:3], 0 offen offset:4
	ds_read_b64 v[95:96], v90
	v_add_u32_e32 v92, 1, v92
	v_cmp_lt_u32_e32 vcc, 7, v92
	v_add_u32_e32 v90, 8, v90
	s_or_b64 s[10:11], vcc, s[10:11]
	v_add_u32_e32 v91, 8, v91
	s_waitcnt vmcnt(0) lgkmcnt(0)
	v_fma_f64 v[85:86], v[93:94], v[95:96], v[85:86]
	s_andn2_b64 exec, exec, s[10:11]
	s_cbranch_execnz .LBB105_485
; %bb.486:
	s_or_b64 exec, exec, s[10:11]
.LBB105_487:
	s_or_b64 exec, exec, s[8:9]
	v_mov_b32_e32 v90, 0
	ds_read_b64 v[90:91], v90 offset:72
	s_waitcnt lgkmcnt(0)
	v_mul_f64 v[85:86], v[85:86], v[90:91]
	buffer_store_dword v86, off, s[0:3], 0 offset:76
	buffer_store_dword v85, off, s[0:3], 0 offset:72
.LBB105_488:
	s_or_b64 exec, exec, s[6:7]
	buffer_load_dword v85, off, s[0:3], 0 offset:80
	buffer_load_dword v86, off, s[0:3], 0 offset:84
	v_cmp_gt_u32_e32 vcc, 10, v0
	s_waitcnt vmcnt(0)
	ds_write_b64 v88, v[85:86]
	s_waitcnt lgkmcnt(0)
	; wave barrier
	s_and_saveexec_b64 s[6:7], vcc
	s_cbranch_execz .LBB105_498
; %bb.489:
	s_and_b64 vcc, exec, s[4:5]
	s_cbranch_vccnz .LBB105_491
; %bb.490:
	buffer_load_dword v85, v89, s[0:3], 0 offen
	buffer_load_dword v86, v89, s[0:3], 0 offen offset:4
	ds_read_b64 v[90:91], v88
	s_waitcnt vmcnt(0) lgkmcnt(0)
	v_mul_f64 v[85:86], v[85:86], v[90:91]
	s_cbranch_execz .LBB105_492
	s_branch .LBB105_493
.LBB105_491:
                                        ; implicit-def: $vgpr85_vgpr86
.LBB105_492:
	ds_read_b64 v[85:86], v88
.LBB105_493:
	v_cmp_ne_u32_e32 vcc, 9, v0
	s_and_saveexec_b64 s[8:9], vcc
	s_cbranch_execz .LBB105_497
; %bb.494:
	s_mov_b32 s10, 0
	v_add_u32_e32 v90, 0x158, v87
	v_add3_u32 v91, v87, s10, 8
	s_mov_b64 s[10:11], 0
	v_mov_b32_e32 v92, v0
.LBB105_495:                            ; =>This Inner Loop Header: Depth=1
	buffer_load_dword v93, v91, s[0:3], 0 offen
	buffer_load_dword v94, v91, s[0:3], 0 offen offset:4
	ds_read_b64 v[95:96], v90
	v_add_u32_e32 v92, 1, v92
	v_cmp_lt_u32_e32 vcc, 8, v92
	v_add_u32_e32 v90, 8, v90
	s_or_b64 s[10:11], vcc, s[10:11]
	v_add_u32_e32 v91, 8, v91
	s_waitcnt vmcnt(0) lgkmcnt(0)
	v_fma_f64 v[85:86], v[93:94], v[95:96], v[85:86]
	s_andn2_b64 exec, exec, s[10:11]
	s_cbranch_execnz .LBB105_495
; %bb.496:
	s_or_b64 exec, exec, s[10:11]
.LBB105_497:
	s_or_b64 exec, exec, s[8:9]
	v_mov_b32_e32 v90, 0
	ds_read_b64 v[90:91], v90 offset:80
	s_waitcnt lgkmcnt(0)
	v_mul_f64 v[85:86], v[85:86], v[90:91]
	buffer_store_dword v86, off, s[0:3], 0 offset:84
	buffer_store_dword v85, off, s[0:3], 0 offset:80
.LBB105_498:
	s_or_b64 exec, exec, s[6:7]
	buffer_load_dword v85, off, s[0:3], 0 offset:88
	buffer_load_dword v86, off, s[0:3], 0 offset:92
	v_cmp_gt_u32_e32 vcc, 11, v0
	s_waitcnt vmcnt(0)
	ds_write_b64 v88, v[85:86]
	s_waitcnt lgkmcnt(0)
	; wave barrier
	s_and_saveexec_b64 s[6:7], vcc
	s_cbranch_execz .LBB105_508
; %bb.499:
	s_and_b64 vcc, exec, s[4:5]
	s_cbranch_vccnz .LBB105_501
; %bb.500:
	buffer_load_dword v85, v89, s[0:3], 0 offen
	buffer_load_dword v86, v89, s[0:3], 0 offen offset:4
	ds_read_b64 v[90:91], v88
	s_waitcnt vmcnt(0) lgkmcnt(0)
	v_mul_f64 v[85:86], v[85:86], v[90:91]
	s_cbranch_execz .LBB105_502
	s_branch .LBB105_503
.LBB105_501:
                                        ; implicit-def: $vgpr85_vgpr86
.LBB105_502:
	ds_read_b64 v[85:86], v88
.LBB105_503:
	v_cmp_ne_u32_e32 vcc, 10, v0
	s_and_saveexec_b64 s[8:9], vcc
	s_cbranch_execz .LBB105_507
; %bb.504:
	s_mov_b32 s10, 0
	v_add_u32_e32 v90, 0x158, v87
	v_add3_u32 v91, v87, s10, 8
	s_mov_b64 s[10:11], 0
	v_mov_b32_e32 v92, v0
.LBB105_505:                            ; =>This Inner Loop Header: Depth=1
	buffer_load_dword v93, v91, s[0:3], 0 offen
	buffer_load_dword v94, v91, s[0:3], 0 offen offset:4
	ds_read_b64 v[95:96], v90
	v_add_u32_e32 v92, 1, v92
	v_cmp_lt_u32_e32 vcc, 9, v92
	v_add_u32_e32 v90, 8, v90
	s_or_b64 s[10:11], vcc, s[10:11]
	v_add_u32_e32 v91, 8, v91
	s_waitcnt vmcnt(0) lgkmcnt(0)
	v_fma_f64 v[85:86], v[93:94], v[95:96], v[85:86]
	s_andn2_b64 exec, exec, s[10:11]
	s_cbranch_execnz .LBB105_505
; %bb.506:
	s_or_b64 exec, exec, s[10:11]
.LBB105_507:
	s_or_b64 exec, exec, s[8:9]
	v_mov_b32_e32 v90, 0
	ds_read_b64 v[90:91], v90 offset:88
	s_waitcnt lgkmcnt(0)
	v_mul_f64 v[85:86], v[85:86], v[90:91]
	buffer_store_dword v86, off, s[0:3], 0 offset:92
	buffer_store_dword v85, off, s[0:3], 0 offset:88
.LBB105_508:
	s_or_b64 exec, exec, s[6:7]
	buffer_load_dword v85, off, s[0:3], 0 offset:96
	buffer_load_dword v86, off, s[0:3], 0 offset:100
	v_cmp_gt_u32_e32 vcc, 12, v0
	s_waitcnt vmcnt(0)
	ds_write_b64 v88, v[85:86]
	s_waitcnt lgkmcnt(0)
	; wave barrier
	s_and_saveexec_b64 s[6:7], vcc
	s_cbranch_execz .LBB105_518
; %bb.509:
	s_and_b64 vcc, exec, s[4:5]
	s_cbranch_vccnz .LBB105_511
; %bb.510:
	buffer_load_dword v85, v89, s[0:3], 0 offen
	buffer_load_dword v86, v89, s[0:3], 0 offen offset:4
	ds_read_b64 v[90:91], v88
	s_waitcnt vmcnt(0) lgkmcnt(0)
	v_mul_f64 v[85:86], v[85:86], v[90:91]
	s_cbranch_execz .LBB105_512
	s_branch .LBB105_513
.LBB105_511:
                                        ; implicit-def: $vgpr85_vgpr86
.LBB105_512:
	ds_read_b64 v[85:86], v88
.LBB105_513:
	v_cmp_ne_u32_e32 vcc, 11, v0
	s_and_saveexec_b64 s[8:9], vcc
	s_cbranch_execz .LBB105_517
; %bb.514:
	s_mov_b32 s10, 0
	v_add_u32_e32 v90, 0x158, v87
	v_add3_u32 v91, v87, s10, 8
	s_mov_b64 s[10:11], 0
	v_mov_b32_e32 v92, v0
.LBB105_515:                            ; =>This Inner Loop Header: Depth=1
	buffer_load_dword v93, v91, s[0:3], 0 offen
	buffer_load_dword v94, v91, s[0:3], 0 offen offset:4
	ds_read_b64 v[95:96], v90
	v_add_u32_e32 v92, 1, v92
	v_cmp_lt_u32_e32 vcc, 10, v92
	v_add_u32_e32 v90, 8, v90
	s_or_b64 s[10:11], vcc, s[10:11]
	v_add_u32_e32 v91, 8, v91
	s_waitcnt vmcnt(0) lgkmcnt(0)
	v_fma_f64 v[85:86], v[93:94], v[95:96], v[85:86]
	s_andn2_b64 exec, exec, s[10:11]
	s_cbranch_execnz .LBB105_515
; %bb.516:
	s_or_b64 exec, exec, s[10:11]
.LBB105_517:
	s_or_b64 exec, exec, s[8:9]
	v_mov_b32_e32 v90, 0
	ds_read_b64 v[90:91], v90 offset:96
	s_waitcnt lgkmcnt(0)
	v_mul_f64 v[85:86], v[85:86], v[90:91]
	buffer_store_dword v86, off, s[0:3], 0 offset:100
	buffer_store_dword v85, off, s[0:3], 0 offset:96
.LBB105_518:
	s_or_b64 exec, exec, s[6:7]
	buffer_load_dword v85, off, s[0:3], 0 offset:104
	buffer_load_dword v86, off, s[0:3], 0 offset:108
	v_cmp_gt_u32_e32 vcc, 13, v0
	s_waitcnt vmcnt(0)
	ds_write_b64 v88, v[85:86]
	s_waitcnt lgkmcnt(0)
	; wave barrier
	s_and_saveexec_b64 s[6:7], vcc
	s_cbranch_execz .LBB105_528
; %bb.519:
	s_and_b64 vcc, exec, s[4:5]
	s_cbranch_vccnz .LBB105_521
; %bb.520:
	buffer_load_dword v85, v89, s[0:3], 0 offen
	buffer_load_dword v86, v89, s[0:3], 0 offen offset:4
	ds_read_b64 v[90:91], v88
	s_waitcnt vmcnt(0) lgkmcnt(0)
	v_mul_f64 v[85:86], v[85:86], v[90:91]
	s_cbranch_execz .LBB105_522
	s_branch .LBB105_523
.LBB105_521:
                                        ; implicit-def: $vgpr85_vgpr86
.LBB105_522:
	ds_read_b64 v[85:86], v88
.LBB105_523:
	v_cmp_ne_u32_e32 vcc, 12, v0
	s_and_saveexec_b64 s[8:9], vcc
	s_cbranch_execz .LBB105_527
; %bb.524:
	s_mov_b32 s10, 0
	v_add_u32_e32 v90, 0x158, v87
	v_add3_u32 v91, v87, s10, 8
	s_mov_b64 s[10:11], 0
	v_mov_b32_e32 v92, v0
.LBB105_525:                            ; =>This Inner Loop Header: Depth=1
	buffer_load_dword v93, v91, s[0:3], 0 offen
	buffer_load_dword v94, v91, s[0:3], 0 offen offset:4
	ds_read_b64 v[95:96], v90
	v_add_u32_e32 v92, 1, v92
	v_cmp_lt_u32_e32 vcc, 11, v92
	v_add_u32_e32 v90, 8, v90
	s_or_b64 s[10:11], vcc, s[10:11]
	v_add_u32_e32 v91, 8, v91
	s_waitcnt vmcnt(0) lgkmcnt(0)
	v_fma_f64 v[85:86], v[93:94], v[95:96], v[85:86]
	s_andn2_b64 exec, exec, s[10:11]
	s_cbranch_execnz .LBB105_525
; %bb.526:
	s_or_b64 exec, exec, s[10:11]
.LBB105_527:
	s_or_b64 exec, exec, s[8:9]
	v_mov_b32_e32 v90, 0
	ds_read_b64 v[90:91], v90 offset:104
	s_waitcnt lgkmcnt(0)
	v_mul_f64 v[85:86], v[85:86], v[90:91]
	buffer_store_dword v86, off, s[0:3], 0 offset:108
	buffer_store_dword v85, off, s[0:3], 0 offset:104
.LBB105_528:
	s_or_b64 exec, exec, s[6:7]
	buffer_load_dword v85, off, s[0:3], 0 offset:112
	buffer_load_dword v86, off, s[0:3], 0 offset:116
	v_cmp_gt_u32_e32 vcc, 14, v0
	s_waitcnt vmcnt(0)
	ds_write_b64 v88, v[85:86]
	s_waitcnt lgkmcnt(0)
	; wave barrier
	s_and_saveexec_b64 s[6:7], vcc
	s_cbranch_execz .LBB105_538
; %bb.529:
	s_and_b64 vcc, exec, s[4:5]
	s_cbranch_vccnz .LBB105_531
; %bb.530:
	buffer_load_dword v85, v89, s[0:3], 0 offen
	buffer_load_dword v86, v89, s[0:3], 0 offen offset:4
	ds_read_b64 v[90:91], v88
	s_waitcnt vmcnt(0) lgkmcnt(0)
	v_mul_f64 v[85:86], v[85:86], v[90:91]
	s_cbranch_execz .LBB105_532
	s_branch .LBB105_533
.LBB105_531:
                                        ; implicit-def: $vgpr85_vgpr86
.LBB105_532:
	ds_read_b64 v[85:86], v88
.LBB105_533:
	v_cmp_ne_u32_e32 vcc, 13, v0
	s_and_saveexec_b64 s[8:9], vcc
	s_cbranch_execz .LBB105_537
; %bb.534:
	s_mov_b32 s10, 0
	v_add_u32_e32 v90, 0x158, v87
	v_add3_u32 v91, v87, s10, 8
	s_mov_b64 s[10:11], 0
	v_mov_b32_e32 v92, v0
.LBB105_535:                            ; =>This Inner Loop Header: Depth=1
	buffer_load_dword v93, v91, s[0:3], 0 offen
	buffer_load_dword v94, v91, s[0:3], 0 offen offset:4
	ds_read_b64 v[95:96], v90
	v_add_u32_e32 v92, 1, v92
	v_cmp_lt_u32_e32 vcc, 12, v92
	v_add_u32_e32 v90, 8, v90
	s_or_b64 s[10:11], vcc, s[10:11]
	v_add_u32_e32 v91, 8, v91
	s_waitcnt vmcnt(0) lgkmcnt(0)
	v_fma_f64 v[85:86], v[93:94], v[95:96], v[85:86]
	s_andn2_b64 exec, exec, s[10:11]
	s_cbranch_execnz .LBB105_535
; %bb.536:
	s_or_b64 exec, exec, s[10:11]
.LBB105_537:
	s_or_b64 exec, exec, s[8:9]
	v_mov_b32_e32 v90, 0
	ds_read_b64 v[90:91], v90 offset:112
	s_waitcnt lgkmcnt(0)
	v_mul_f64 v[85:86], v[85:86], v[90:91]
	buffer_store_dword v86, off, s[0:3], 0 offset:116
	buffer_store_dword v85, off, s[0:3], 0 offset:112
.LBB105_538:
	s_or_b64 exec, exec, s[6:7]
	buffer_load_dword v85, off, s[0:3], 0 offset:120
	buffer_load_dword v86, off, s[0:3], 0 offset:124
	v_cmp_gt_u32_e32 vcc, 15, v0
	s_waitcnt vmcnt(0)
	ds_write_b64 v88, v[85:86]
	s_waitcnt lgkmcnt(0)
	; wave barrier
	s_and_saveexec_b64 s[6:7], vcc
	s_cbranch_execz .LBB105_548
; %bb.539:
	s_and_b64 vcc, exec, s[4:5]
	s_cbranch_vccnz .LBB105_541
; %bb.540:
	buffer_load_dword v85, v89, s[0:3], 0 offen
	buffer_load_dword v86, v89, s[0:3], 0 offen offset:4
	ds_read_b64 v[90:91], v88
	s_waitcnt vmcnt(0) lgkmcnt(0)
	v_mul_f64 v[85:86], v[85:86], v[90:91]
	s_cbranch_execz .LBB105_542
	s_branch .LBB105_543
.LBB105_541:
                                        ; implicit-def: $vgpr85_vgpr86
.LBB105_542:
	ds_read_b64 v[85:86], v88
.LBB105_543:
	v_cmp_ne_u32_e32 vcc, 14, v0
	s_and_saveexec_b64 s[8:9], vcc
	s_cbranch_execz .LBB105_547
; %bb.544:
	s_mov_b32 s10, 0
	v_add_u32_e32 v90, 0x158, v87
	v_add3_u32 v91, v87, s10, 8
	s_mov_b64 s[10:11], 0
	v_mov_b32_e32 v92, v0
.LBB105_545:                            ; =>This Inner Loop Header: Depth=1
	buffer_load_dword v93, v91, s[0:3], 0 offen
	buffer_load_dword v94, v91, s[0:3], 0 offen offset:4
	ds_read_b64 v[95:96], v90
	v_add_u32_e32 v92, 1, v92
	v_cmp_lt_u32_e32 vcc, 13, v92
	v_add_u32_e32 v90, 8, v90
	s_or_b64 s[10:11], vcc, s[10:11]
	v_add_u32_e32 v91, 8, v91
	s_waitcnt vmcnt(0) lgkmcnt(0)
	v_fma_f64 v[85:86], v[93:94], v[95:96], v[85:86]
	s_andn2_b64 exec, exec, s[10:11]
	s_cbranch_execnz .LBB105_545
; %bb.546:
	s_or_b64 exec, exec, s[10:11]
.LBB105_547:
	s_or_b64 exec, exec, s[8:9]
	v_mov_b32_e32 v90, 0
	ds_read_b64 v[90:91], v90 offset:120
	s_waitcnt lgkmcnt(0)
	v_mul_f64 v[85:86], v[85:86], v[90:91]
	buffer_store_dword v86, off, s[0:3], 0 offset:124
	buffer_store_dword v85, off, s[0:3], 0 offset:120
.LBB105_548:
	s_or_b64 exec, exec, s[6:7]
	buffer_load_dword v85, off, s[0:3], 0 offset:128
	buffer_load_dword v86, off, s[0:3], 0 offset:132
	v_cmp_gt_u32_e32 vcc, 16, v0
	s_waitcnt vmcnt(0)
	ds_write_b64 v88, v[85:86]
	s_waitcnt lgkmcnt(0)
	; wave barrier
	s_and_saveexec_b64 s[6:7], vcc
	s_cbranch_execz .LBB105_558
; %bb.549:
	s_and_b64 vcc, exec, s[4:5]
	s_cbranch_vccnz .LBB105_551
; %bb.550:
	buffer_load_dword v85, v89, s[0:3], 0 offen
	buffer_load_dword v86, v89, s[0:3], 0 offen offset:4
	ds_read_b64 v[90:91], v88
	s_waitcnt vmcnt(0) lgkmcnt(0)
	v_mul_f64 v[85:86], v[85:86], v[90:91]
	s_cbranch_execz .LBB105_552
	s_branch .LBB105_553
.LBB105_551:
                                        ; implicit-def: $vgpr85_vgpr86
.LBB105_552:
	ds_read_b64 v[85:86], v88
.LBB105_553:
	v_cmp_ne_u32_e32 vcc, 15, v0
	s_and_saveexec_b64 s[8:9], vcc
	s_cbranch_execz .LBB105_557
; %bb.554:
	s_mov_b32 s10, 0
	v_add_u32_e32 v90, 0x158, v87
	v_add3_u32 v91, v87, s10, 8
	s_mov_b64 s[10:11], 0
	v_mov_b32_e32 v92, v0
.LBB105_555:                            ; =>This Inner Loop Header: Depth=1
	buffer_load_dword v93, v91, s[0:3], 0 offen
	buffer_load_dword v94, v91, s[0:3], 0 offen offset:4
	ds_read_b64 v[95:96], v90
	v_add_u32_e32 v92, 1, v92
	v_cmp_lt_u32_e32 vcc, 14, v92
	v_add_u32_e32 v90, 8, v90
	s_or_b64 s[10:11], vcc, s[10:11]
	v_add_u32_e32 v91, 8, v91
	s_waitcnt vmcnt(0) lgkmcnt(0)
	v_fma_f64 v[85:86], v[93:94], v[95:96], v[85:86]
	s_andn2_b64 exec, exec, s[10:11]
	s_cbranch_execnz .LBB105_555
; %bb.556:
	s_or_b64 exec, exec, s[10:11]
.LBB105_557:
	s_or_b64 exec, exec, s[8:9]
	v_mov_b32_e32 v90, 0
	ds_read_b64 v[90:91], v90 offset:128
	s_waitcnt lgkmcnt(0)
	v_mul_f64 v[85:86], v[85:86], v[90:91]
	buffer_store_dword v86, off, s[0:3], 0 offset:132
	buffer_store_dword v85, off, s[0:3], 0 offset:128
.LBB105_558:
	s_or_b64 exec, exec, s[6:7]
	buffer_load_dword v85, off, s[0:3], 0 offset:136
	buffer_load_dword v86, off, s[0:3], 0 offset:140
	v_cmp_gt_u32_e32 vcc, 17, v0
	s_waitcnt vmcnt(0)
	ds_write_b64 v88, v[85:86]
	s_waitcnt lgkmcnt(0)
	; wave barrier
	s_and_saveexec_b64 s[6:7], vcc
	s_cbranch_execz .LBB105_568
; %bb.559:
	s_and_b64 vcc, exec, s[4:5]
	s_cbranch_vccnz .LBB105_561
; %bb.560:
	buffer_load_dword v85, v89, s[0:3], 0 offen
	buffer_load_dword v86, v89, s[0:3], 0 offen offset:4
	ds_read_b64 v[90:91], v88
	s_waitcnt vmcnt(0) lgkmcnt(0)
	v_mul_f64 v[85:86], v[85:86], v[90:91]
	s_cbranch_execz .LBB105_562
	s_branch .LBB105_563
.LBB105_561:
                                        ; implicit-def: $vgpr85_vgpr86
.LBB105_562:
	ds_read_b64 v[85:86], v88
.LBB105_563:
	v_cmp_ne_u32_e32 vcc, 16, v0
	s_and_saveexec_b64 s[8:9], vcc
	s_cbranch_execz .LBB105_567
; %bb.564:
	s_mov_b32 s10, 0
	v_add_u32_e32 v90, 0x158, v87
	v_add3_u32 v91, v87, s10, 8
	s_mov_b64 s[10:11], 0
	v_mov_b32_e32 v92, v0
.LBB105_565:                            ; =>This Inner Loop Header: Depth=1
	buffer_load_dword v93, v91, s[0:3], 0 offen
	buffer_load_dword v94, v91, s[0:3], 0 offen offset:4
	ds_read_b64 v[95:96], v90
	v_add_u32_e32 v92, 1, v92
	v_cmp_lt_u32_e32 vcc, 15, v92
	v_add_u32_e32 v90, 8, v90
	s_or_b64 s[10:11], vcc, s[10:11]
	v_add_u32_e32 v91, 8, v91
	s_waitcnt vmcnt(0) lgkmcnt(0)
	v_fma_f64 v[85:86], v[93:94], v[95:96], v[85:86]
	s_andn2_b64 exec, exec, s[10:11]
	s_cbranch_execnz .LBB105_565
; %bb.566:
	s_or_b64 exec, exec, s[10:11]
.LBB105_567:
	s_or_b64 exec, exec, s[8:9]
	v_mov_b32_e32 v90, 0
	ds_read_b64 v[90:91], v90 offset:136
	s_waitcnt lgkmcnt(0)
	v_mul_f64 v[85:86], v[85:86], v[90:91]
	buffer_store_dword v86, off, s[0:3], 0 offset:140
	buffer_store_dword v85, off, s[0:3], 0 offset:136
.LBB105_568:
	s_or_b64 exec, exec, s[6:7]
	buffer_load_dword v85, off, s[0:3], 0 offset:144
	buffer_load_dword v86, off, s[0:3], 0 offset:148
	v_cmp_gt_u32_e32 vcc, 18, v0
	s_waitcnt vmcnt(0)
	ds_write_b64 v88, v[85:86]
	s_waitcnt lgkmcnt(0)
	; wave barrier
	s_and_saveexec_b64 s[6:7], vcc
	s_cbranch_execz .LBB105_578
; %bb.569:
	s_and_b64 vcc, exec, s[4:5]
	s_cbranch_vccnz .LBB105_571
; %bb.570:
	buffer_load_dword v85, v89, s[0:3], 0 offen
	buffer_load_dword v86, v89, s[0:3], 0 offen offset:4
	ds_read_b64 v[90:91], v88
	s_waitcnt vmcnt(0) lgkmcnt(0)
	v_mul_f64 v[85:86], v[85:86], v[90:91]
	s_cbranch_execz .LBB105_572
	s_branch .LBB105_573
.LBB105_571:
                                        ; implicit-def: $vgpr85_vgpr86
.LBB105_572:
	ds_read_b64 v[85:86], v88
.LBB105_573:
	v_cmp_ne_u32_e32 vcc, 17, v0
	s_and_saveexec_b64 s[8:9], vcc
	s_cbranch_execz .LBB105_577
; %bb.574:
	s_mov_b32 s10, 0
	v_add_u32_e32 v90, 0x158, v87
	v_add3_u32 v91, v87, s10, 8
	s_mov_b64 s[10:11], 0
	v_mov_b32_e32 v92, v0
.LBB105_575:                            ; =>This Inner Loop Header: Depth=1
	buffer_load_dword v93, v91, s[0:3], 0 offen
	buffer_load_dword v94, v91, s[0:3], 0 offen offset:4
	ds_read_b64 v[95:96], v90
	v_add_u32_e32 v92, 1, v92
	v_cmp_lt_u32_e32 vcc, 16, v92
	v_add_u32_e32 v90, 8, v90
	s_or_b64 s[10:11], vcc, s[10:11]
	v_add_u32_e32 v91, 8, v91
	s_waitcnt vmcnt(0) lgkmcnt(0)
	v_fma_f64 v[85:86], v[93:94], v[95:96], v[85:86]
	s_andn2_b64 exec, exec, s[10:11]
	s_cbranch_execnz .LBB105_575
; %bb.576:
	s_or_b64 exec, exec, s[10:11]
.LBB105_577:
	s_or_b64 exec, exec, s[8:9]
	v_mov_b32_e32 v90, 0
	ds_read_b64 v[90:91], v90 offset:144
	s_waitcnt lgkmcnt(0)
	v_mul_f64 v[85:86], v[85:86], v[90:91]
	buffer_store_dword v86, off, s[0:3], 0 offset:148
	buffer_store_dword v85, off, s[0:3], 0 offset:144
.LBB105_578:
	s_or_b64 exec, exec, s[6:7]
	buffer_load_dword v85, off, s[0:3], 0 offset:152
	buffer_load_dword v86, off, s[0:3], 0 offset:156
	v_cmp_gt_u32_e32 vcc, 19, v0
	s_waitcnt vmcnt(0)
	ds_write_b64 v88, v[85:86]
	s_waitcnt lgkmcnt(0)
	; wave barrier
	s_and_saveexec_b64 s[6:7], vcc
	s_cbranch_execz .LBB105_588
; %bb.579:
	s_and_b64 vcc, exec, s[4:5]
	s_cbranch_vccnz .LBB105_581
; %bb.580:
	buffer_load_dword v85, v89, s[0:3], 0 offen
	buffer_load_dword v86, v89, s[0:3], 0 offen offset:4
	ds_read_b64 v[90:91], v88
	s_waitcnt vmcnt(0) lgkmcnt(0)
	v_mul_f64 v[85:86], v[85:86], v[90:91]
	s_cbranch_execz .LBB105_582
	s_branch .LBB105_583
.LBB105_581:
                                        ; implicit-def: $vgpr85_vgpr86
.LBB105_582:
	ds_read_b64 v[85:86], v88
.LBB105_583:
	v_cmp_ne_u32_e32 vcc, 18, v0
	s_and_saveexec_b64 s[8:9], vcc
	s_cbranch_execz .LBB105_587
; %bb.584:
	s_mov_b32 s10, 0
	v_add_u32_e32 v90, 0x158, v87
	v_add3_u32 v91, v87, s10, 8
	s_mov_b64 s[10:11], 0
	v_mov_b32_e32 v92, v0
.LBB105_585:                            ; =>This Inner Loop Header: Depth=1
	buffer_load_dword v93, v91, s[0:3], 0 offen
	buffer_load_dword v94, v91, s[0:3], 0 offen offset:4
	ds_read_b64 v[95:96], v90
	v_add_u32_e32 v92, 1, v92
	v_cmp_lt_u32_e32 vcc, 17, v92
	v_add_u32_e32 v90, 8, v90
	s_or_b64 s[10:11], vcc, s[10:11]
	v_add_u32_e32 v91, 8, v91
	s_waitcnt vmcnt(0) lgkmcnt(0)
	v_fma_f64 v[85:86], v[93:94], v[95:96], v[85:86]
	s_andn2_b64 exec, exec, s[10:11]
	s_cbranch_execnz .LBB105_585
; %bb.586:
	s_or_b64 exec, exec, s[10:11]
.LBB105_587:
	s_or_b64 exec, exec, s[8:9]
	v_mov_b32_e32 v90, 0
	ds_read_b64 v[90:91], v90 offset:152
	s_waitcnt lgkmcnt(0)
	v_mul_f64 v[85:86], v[85:86], v[90:91]
	buffer_store_dword v86, off, s[0:3], 0 offset:156
	buffer_store_dword v85, off, s[0:3], 0 offset:152
.LBB105_588:
	s_or_b64 exec, exec, s[6:7]
	buffer_load_dword v85, off, s[0:3], 0 offset:160
	buffer_load_dword v86, off, s[0:3], 0 offset:164
	v_cmp_gt_u32_e32 vcc, 20, v0
	s_waitcnt vmcnt(0)
	ds_write_b64 v88, v[85:86]
	s_waitcnt lgkmcnt(0)
	; wave barrier
	s_and_saveexec_b64 s[6:7], vcc
	s_cbranch_execz .LBB105_598
; %bb.589:
	s_and_b64 vcc, exec, s[4:5]
	s_cbranch_vccnz .LBB105_591
; %bb.590:
	buffer_load_dword v85, v89, s[0:3], 0 offen
	buffer_load_dword v86, v89, s[0:3], 0 offen offset:4
	ds_read_b64 v[90:91], v88
	s_waitcnt vmcnt(0) lgkmcnt(0)
	v_mul_f64 v[85:86], v[85:86], v[90:91]
	s_cbranch_execz .LBB105_592
	s_branch .LBB105_593
.LBB105_591:
                                        ; implicit-def: $vgpr85_vgpr86
.LBB105_592:
	ds_read_b64 v[85:86], v88
.LBB105_593:
	v_cmp_ne_u32_e32 vcc, 19, v0
	s_and_saveexec_b64 s[8:9], vcc
	s_cbranch_execz .LBB105_597
; %bb.594:
	s_mov_b32 s10, 0
	v_add_u32_e32 v90, 0x158, v87
	v_add3_u32 v91, v87, s10, 8
	s_mov_b64 s[10:11], 0
	v_mov_b32_e32 v92, v0
.LBB105_595:                            ; =>This Inner Loop Header: Depth=1
	buffer_load_dword v93, v91, s[0:3], 0 offen
	buffer_load_dword v94, v91, s[0:3], 0 offen offset:4
	ds_read_b64 v[95:96], v90
	v_add_u32_e32 v92, 1, v92
	v_cmp_lt_u32_e32 vcc, 18, v92
	v_add_u32_e32 v90, 8, v90
	s_or_b64 s[10:11], vcc, s[10:11]
	v_add_u32_e32 v91, 8, v91
	s_waitcnt vmcnt(0) lgkmcnt(0)
	v_fma_f64 v[85:86], v[93:94], v[95:96], v[85:86]
	s_andn2_b64 exec, exec, s[10:11]
	s_cbranch_execnz .LBB105_595
; %bb.596:
	s_or_b64 exec, exec, s[10:11]
.LBB105_597:
	s_or_b64 exec, exec, s[8:9]
	v_mov_b32_e32 v90, 0
	ds_read_b64 v[90:91], v90 offset:160
	s_waitcnt lgkmcnt(0)
	v_mul_f64 v[85:86], v[85:86], v[90:91]
	buffer_store_dword v86, off, s[0:3], 0 offset:164
	buffer_store_dword v85, off, s[0:3], 0 offset:160
.LBB105_598:
	s_or_b64 exec, exec, s[6:7]
	buffer_load_dword v85, off, s[0:3], 0 offset:168
	buffer_load_dword v86, off, s[0:3], 0 offset:172
	v_cmp_gt_u32_e32 vcc, 21, v0
	s_waitcnt vmcnt(0)
	ds_write_b64 v88, v[85:86]
	s_waitcnt lgkmcnt(0)
	; wave barrier
	s_and_saveexec_b64 s[6:7], vcc
	s_cbranch_execz .LBB105_608
; %bb.599:
	s_and_b64 vcc, exec, s[4:5]
	s_cbranch_vccnz .LBB105_601
; %bb.600:
	buffer_load_dword v85, v89, s[0:3], 0 offen
	buffer_load_dword v86, v89, s[0:3], 0 offen offset:4
	ds_read_b64 v[90:91], v88
	s_waitcnt vmcnt(0) lgkmcnt(0)
	v_mul_f64 v[85:86], v[85:86], v[90:91]
	s_cbranch_execz .LBB105_602
	s_branch .LBB105_603
.LBB105_601:
                                        ; implicit-def: $vgpr85_vgpr86
.LBB105_602:
	ds_read_b64 v[85:86], v88
.LBB105_603:
	v_cmp_ne_u32_e32 vcc, 20, v0
	s_and_saveexec_b64 s[8:9], vcc
	s_cbranch_execz .LBB105_607
; %bb.604:
	s_mov_b32 s10, 0
	v_add_u32_e32 v90, 0x158, v87
	v_add3_u32 v91, v87, s10, 8
	s_mov_b64 s[10:11], 0
	v_mov_b32_e32 v92, v0
.LBB105_605:                            ; =>This Inner Loop Header: Depth=1
	buffer_load_dword v93, v91, s[0:3], 0 offen
	buffer_load_dword v94, v91, s[0:3], 0 offen offset:4
	ds_read_b64 v[95:96], v90
	v_add_u32_e32 v92, 1, v92
	v_cmp_lt_u32_e32 vcc, 19, v92
	v_add_u32_e32 v90, 8, v90
	s_or_b64 s[10:11], vcc, s[10:11]
	v_add_u32_e32 v91, 8, v91
	s_waitcnt vmcnt(0) lgkmcnt(0)
	v_fma_f64 v[85:86], v[93:94], v[95:96], v[85:86]
	s_andn2_b64 exec, exec, s[10:11]
	s_cbranch_execnz .LBB105_605
; %bb.606:
	s_or_b64 exec, exec, s[10:11]
.LBB105_607:
	s_or_b64 exec, exec, s[8:9]
	v_mov_b32_e32 v90, 0
	ds_read_b64 v[90:91], v90 offset:168
	s_waitcnt lgkmcnt(0)
	v_mul_f64 v[85:86], v[85:86], v[90:91]
	buffer_store_dword v86, off, s[0:3], 0 offset:172
	buffer_store_dword v85, off, s[0:3], 0 offset:168
.LBB105_608:
	s_or_b64 exec, exec, s[6:7]
	buffer_load_dword v85, off, s[0:3], 0 offset:176
	buffer_load_dword v86, off, s[0:3], 0 offset:180
	v_cmp_gt_u32_e32 vcc, 22, v0
	s_waitcnt vmcnt(0)
	ds_write_b64 v88, v[85:86]
	s_waitcnt lgkmcnt(0)
	; wave barrier
	s_and_saveexec_b64 s[6:7], vcc
	s_cbranch_execz .LBB105_618
; %bb.609:
	s_and_b64 vcc, exec, s[4:5]
	s_cbranch_vccnz .LBB105_611
; %bb.610:
	buffer_load_dword v85, v89, s[0:3], 0 offen
	buffer_load_dword v86, v89, s[0:3], 0 offen offset:4
	ds_read_b64 v[90:91], v88
	s_waitcnt vmcnt(0) lgkmcnt(0)
	v_mul_f64 v[85:86], v[85:86], v[90:91]
	s_cbranch_execz .LBB105_612
	s_branch .LBB105_613
.LBB105_611:
                                        ; implicit-def: $vgpr85_vgpr86
.LBB105_612:
	ds_read_b64 v[85:86], v88
.LBB105_613:
	v_cmp_ne_u32_e32 vcc, 21, v0
	s_and_saveexec_b64 s[8:9], vcc
	s_cbranch_execz .LBB105_617
; %bb.614:
	s_mov_b32 s10, 0
	v_add_u32_e32 v90, 0x158, v87
	v_add3_u32 v91, v87, s10, 8
	s_mov_b64 s[10:11], 0
	v_mov_b32_e32 v92, v0
.LBB105_615:                            ; =>This Inner Loop Header: Depth=1
	buffer_load_dword v93, v91, s[0:3], 0 offen
	buffer_load_dword v94, v91, s[0:3], 0 offen offset:4
	ds_read_b64 v[95:96], v90
	v_add_u32_e32 v92, 1, v92
	v_cmp_lt_u32_e32 vcc, 20, v92
	v_add_u32_e32 v90, 8, v90
	s_or_b64 s[10:11], vcc, s[10:11]
	v_add_u32_e32 v91, 8, v91
	s_waitcnt vmcnt(0) lgkmcnt(0)
	v_fma_f64 v[85:86], v[93:94], v[95:96], v[85:86]
	s_andn2_b64 exec, exec, s[10:11]
	s_cbranch_execnz .LBB105_615
; %bb.616:
	s_or_b64 exec, exec, s[10:11]
.LBB105_617:
	s_or_b64 exec, exec, s[8:9]
	v_mov_b32_e32 v90, 0
	ds_read_b64 v[90:91], v90 offset:176
	s_waitcnt lgkmcnt(0)
	v_mul_f64 v[85:86], v[85:86], v[90:91]
	buffer_store_dword v86, off, s[0:3], 0 offset:180
	buffer_store_dword v85, off, s[0:3], 0 offset:176
.LBB105_618:
	s_or_b64 exec, exec, s[6:7]
	buffer_load_dword v85, off, s[0:3], 0 offset:184
	buffer_load_dword v86, off, s[0:3], 0 offset:188
	v_cmp_gt_u32_e32 vcc, 23, v0
	s_waitcnt vmcnt(0)
	ds_write_b64 v88, v[85:86]
	s_waitcnt lgkmcnt(0)
	; wave barrier
	s_and_saveexec_b64 s[6:7], vcc
	s_cbranch_execz .LBB105_628
; %bb.619:
	s_and_b64 vcc, exec, s[4:5]
	s_cbranch_vccnz .LBB105_621
; %bb.620:
	buffer_load_dword v85, v89, s[0:3], 0 offen
	buffer_load_dword v86, v89, s[0:3], 0 offen offset:4
	ds_read_b64 v[90:91], v88
	s_waitcnt vmcnt(0) lgkmcnt(0)
	v_mul_f64 v[85:86], v[85:86], v[90:91]
	s_cbranch_execz .LBB105_622
	s_branch .LBB105_623
.LBB105_621:
                                        ; implicit-def: $vgpr85_vgpr86
.LBB105_622:
	ds_read_b64 v[85:86], v88
.LBB105_623:
	v_cmp_ne_u32_e32 vcc, 22, v0
	s_and_saveexec_b64 s[8:9], vcc
	s_cbranch_execz .LBB105_627
; %bb.624:
	s_mov_b32 s10, 0
	v_add_u32_e32 v90, 0x158, v87
	v_add3_u32 v91, v87, s10, 8
	s_mov_b64 s[10:11], 0
	v_mov_b32_e32 v92, v0
.LBB105_625:                            ; =>This Inner Loop Header: Depth=1
	buffer_load_dword v93, v91, s[0:3], 0 offen
	buffer_load_dword v94, v91, s[0:3], 0 offen offset:4
	ds_read_b64 v[95:96], v90
	v_add_u32_e32 v92, 1, v92
	v_cmp_lt_u32_e32 vcc, 21, v92
	v_add_u32_e32 v90, 8, v90
	s_or_b64 s[10:11], vcc, s[10:11]
	v_add_u32_e32 v91, 8, v91
	s_waitcnt vmcnt(0) lgkmcnt(0)
	v_fma_f64 v[85:86], v[93:94], v[95:96], v[85:86]
	s_andn2_b64 exec, exec, s[10:11]
	s_cbranch_execnz .LBB105_625
; %bb.626:
	s_or_b64 exec, exec, s[10:11]
.LBB105_627:
	s_or_b64 exec, exec, s[8:9]
	v_mov_b32_e32 v90, 0
	ds_read_b64 v[90:91], v90 offset:184
	s_waitcnt lgkmcnt(0)
	v_mul_f64 v[85:86], v[85:86], v[90:91]
	buffer_store_dword v86, off, s[0:3], 0 offset:188
	buffer_store_dword v85, off, s[0:3], 0 offset:184
.LBB105_628:
	s_or_b64 exec, exec, s[6:7]
	buffer_load_dword v85, off, s[0:3], 0 offset:192
	buffer_load_dword v86, off, s[0:3], 0 offset:196
	v_cmp_gt_u32_e32 vcc, 24, v0
	s_waitcnt vmcnt(0)
	ds_write_b64 v88, v[85:86]
	s_waitcnt lgkmcnt(0)
	; wave barrier
	s_and_saveexec_b64 s[6:7], vcc
	s_cbranch_execz .LBB105_638
; %bb.629:
	s_and_b64 vcc, exec, s[4:5]
	s_cbranch_vccnz .LBB105_631
; %bb.630:
	buffer_load_dword v85, v89, s[0:3], 0 offen
	buffer_load_dword v86, v89, s[0:3], 0 offen offset:4
	ds_read_b64 v[90:91], v88
	s_waitcnt vmcnt(0) lgkmcnt(0)
	v_mul_f64 v[85:86], v[85:86], v[90:91]
	s_cbranch_execz .LBB105_632
	s_branch .LBB105_633
.LBB105_631:
                                        ; implicit-def: $vgpr85_vgpr86
.LBB105_632:
	ds_read_b64 v[85:86], v88
.LBB105_633:
	v_cmp_ne_u32_e32 vcc, 23, v0
	s_and_saveexec_b64 s[8:9], vcc
	s_cbranch_execz .LBB105_637
; %bb.634:
	s_mov_b32 s10, 0
	v_add_u32_e32 v90, 0x158, v87
	v_add3_u32 v91, v87, s10, 8
	s_mov_b64 s[10:11], 0
	v_mov_b32_e32 v92, v0
.LBB105_635:                            ; =>This Inner Loop Header: Depth=1
	buffer_load_dword v93, v91, s[0:3], 0 offen
	buffer_load_dword v94, v91, s[0:3], 0 offen offset:4
	ds_read_b64 v[95:96], v90
	v_add_u32_e32 v92, 1, v92
	v_cmp_lt_u32_e32 vcc, 22, v92
	v_add_u32_e32 v90, 8, v90
	s_or_b64 s[10:11], vcc, s[10:11]
	v_add_u32_e32 v91, 8, v91
	s_waitcnt vmcnt(0) lgkmcnt(0)
	v_fma_f64 v[85:86], v[93:94], v[95:96], v[85:86]
	s_andn2_b64 exec, exec, s[10:11]
	s_cbranch_execnz .LBB105_635
; %bb.636:
	s_or_b64 exec, exec, s[10:11]
.LBB105_637:
	s_or_b64 exec, exec, s[8:9]
	v_mov_b32_e32 v90, 0
	ds_read_b64 v[90:91], v90 offset:192
	s_waitcnt lgkmcnt(0)
	v_mul_f64 v[85:86], v[85:86], v[90:91]
	buffer_store_dword v86, off, s[0:3], 0 offset:196
	buffer_store_dword v85, off, s[0:3], 0 offset:192
.LBB105_638:
	s_or_b64 exec, exec, s[6:7]
	buffer_load_dword v85, off, s[0:3], 0 offset:200
	buffer_load_dword v86, off, s[0:3], 0 offset:204
	v_cmp_gt_u32_e32 vcc, 25, v0
	s_waitcnt vmcnt(0)
	ds_write_b64 v88, v[85:86]
	s_waitcnt lgkmcnt(0)
	; wave barrier
	s_and_saveexec_b64 s[6:7], vcc
	s_cbranch_execz .LBB105_648
; %bb.639:
	s_and_b64 vcc, exec, s[4:5]
	s_cbranch_vccnz .LBB105_641
; %bb.640:
	buffer_load_dword v85, v89, s[0:3], 0 offen
	buffer_load_dword v86, v89, s[0:3], 0 offen offset:4
	ds_read_b64 v[90:91], v88
	s_waitcnt vmcnt(0) lgkmcnt(0)
	v_mul_f64 v[85:86], v[85:86], v[90:91]
	s_cbranch_execz .LBB105_642
	s_branch .LBB105_643
.LBB105_641:
                                        ; implicit-def: $vgpr85_vgpr86
.LBB105_642:
	ds_read_b64 v[85:86], v88
.LBB105_643:
	v_cmp_ne_u32_e32 vcc, 24, v0
	s_and_saveexec_b64 s[8:9], vcc
	s_cbranch_execz .LBB105_647
; %bb.644:
	s_mov_b32 s10, 0
	v_add_u32_e32 v90, 0x158, v87
	v_add3_u32 v91, v87, s10, 8
	s_mov_b64 s[10:11], 0
	v_mov_b32_e32 v92, v0
.LBB105_645:                            ; =>This Inner Loop Header: Depth=1
	buffer_load_dword v93, v91, s[0:3], 0 offen
	buffer_load_dword v94, v91, s[0:3], 0 offen offset:4
	ds_read_b64 v[95:96], v90
	v_add_u32_e32 v92, 1, v92
	v_cmp_lt_u32_e32 vcc, 23, v92
	v_add_u32_e32 v90, 8, v90
	s_or_b64 s[10:11], vcc, s[10:11]
	v_add_u32_e32 v91, 8, v91
	s_waitcnt vmcnt(0) lgkmcnt(0)
	v_fma_f64 v[85:86], v[93:94], v[95:96], v[85:86]
	s_andn2_b64 exec, exec, s[10:11]
	s_cbranch_execnz .LBB105_645
; %bb.646:
	s_or_b64 exec, exec, s[10:11]
.LBB105_647:
	s_or_b64 exec, exec, s[8:9]
	v_mov_b32_e32 v90, 0
	ds_read_b64 v[90:91], v90 offset:200
	s_waitcnt lgkmcnt(0)
	v_mul_f64 v[85:86], v[85:86], v[90:91]
	buffer_store_dword v86, off, s[0:3], 0 offset:204
	buffer_store_dword v85, off, s[0:3], 0 offset:200
.LBB105_648:
	s_or_b64 exec, exec, s[6:7]
	buffer_load_dword v85, off, s[0:3], 0 offset:208
	buffer_load_dword v86, off, s[0:3], 0 offset:212
	v_cmp_gt_u32_e32 vcc, 26, v0
	s_waitcnt vmcnt(0)
	ds_write_b64 v88, v[85:86]
	s_waitcnt lgkmcnt(0)
	; wave barrier
	s_and_saveexec_b64 s[6:7], vcc
	s_cbranch_execz .LBB105_658
; %bb.649:
	s_and_b64 vcc, exec, s[4:5]
	s_cbranch_vccnz .LBB105_651
; %bb.650:
	buffer_load_dword v85, v89, s[0:3], 0 offen
	buffer_load_dword v86, v89, s[0:3], 0 offen offset:4
	ds_read_b64 v[90:91], v88
	s_waitcnt vmcnt(0) lgkmcnt(0)
	v_mul_f64 v[85:86], v[85:86], v[90:91]
	s_cbranch_execz .LBB105_652
	s_branch .LBB105_653
.LBB105_651:
                                        ; implicit-def: $vgpr85_vgpr86
.LBB105_652:
	ds_read_b64 v[85:86], v88
.LBB105_653:
	v_cmp_ne_u32_e32 vcc, 25, v0
	s_and_saveexec_b64 s[8:9], vcc
	s_cbranch_execz .LBB105_657
; %bb.654:
	s_mov_b32 s10, 0
	v_add_u32_e32 v90, 0x158, v87
	v_add3_u32 v91, v87, s10, 8
	s_mov_b64 s[10:11], 0
	v_mov_b32_e32 v92, v0
.LBB105_655:                            ; =>This Inner Loop Header: Depth=1
	buffer_load_dword v93, v91, s[0:3], 0 offen
	buffer_load_dword v94, v91, s[0:3], 0 offen offset:4
	ds_read_b64 v[95:96], v90
	v_add_u32_e32 v92, 1, v92
	v_cmp_lt_u32_e32 vcc, 24, v92
	v_add_u32_e32 v90, 8, v90
	s_or_b64 s[10:11], vcc, s[10:11]
	v_add_u32_e32 v91, 8, v91
	s_waitcnt vmcnt(0) lgkmcnt(0)
	v_fma_f64 v[85:86], v[93:94], v[95:96], v[85:86]
	s_andn2_b64 exec, exec, s[10:11]
	s_cbranch_execnz .LBB105_655
; %bb.656:
	s_or_b64 exec, exec, s[10:11]
.LBB105_657:
	s_or_b64 exec, exec, s[8:9]
	v_mov_b32_e32 v90, 0
	ds_read_b64 v[90:91], v90 offset:208
	s_waitcnt lgkmcnt(0)
	v_mul_f64 v[85:86], v[85:86], v[90:91]
	buffer_store_dword v86, off, s[0:3], 0 offset:212
	buffer_store_dword v85, off, s[0:3], 0 offset:208
.LBB105_658:
	s_or_b64 exec, exec, s[6:7]
	buffer_load_dword v85, off, s[0:3], 0 offset:216
	buffer_load_dword v86, off, s[0:3], 0 offset:220
	v_cmp_gt_u32_e32 vcc, 27, v0
	s_waitcnt vmcnt(0)
	ds_write_b64 v88, v[85:86]
	s_waitcnt lgkmcnt(0)
	; wave barrier
	s_and_saveexec_b64 s[6:7], vcc
	s_cbranch_execz .LBB105_668
; %bb.659:
	s_and_b64 vcc, exec, s[4:5]
	s_cbranch_vccnz .LBB105_661
; %bb.660:
	buffer_load_dword v85, v89, s[0:3], 0 offen
	buffer_load_dword v86, v89, s[0:3], 0 offen offset:4
	ds_read_b64 v[90:91], v88
	s_waitcnt vmcnt(0) lgkmcnt(0)
	v_mul_f64 v[85:86], v[85:86], v[90:91]
	s_cbranch_execz .LBB105_662
	s_branch .LBB105_663
.LBB105_661:
                                        ; implicit-def: $vgpr85_vgpr86
.LBB105_662:
	ds_read_b64 v[85:86], v88
.LBB105_663:
	v_cmp_ne_u32_e32 vcc, 26, v0
	s_and_saveexec_b64 s[8:9], vcc
	s_cbranch_execz .LBB105_667
; %bb.664:
	s_mov_b32 s10, 0
	v_add_u32_e32 v90, 0x158, v87
	v_add3_u32 v91, v87, s10, 8
	s_mov_b64 s[10:11], 0
	v_mov_b32_e32 v92, v0
.LBB105_665:                            ; =>This Inner Loop Header: Depth=1
	buffer_load_dword v93, v91, s[0:3], 0 offen
	buffer_load_dword v94, v91, s[0:3], 0 offen offset:4
	ds_read_b64 v[95:96], v90
	v_add_u32_e32 v92, 1, v92
	v_cmp_lt_u32_e32 vcc, 25, v92
	v_add_u32_e32 v90, 8, v90
	s_or_b64 s[10:11], vcc, s[10:11]
	v_add_u32_e32 v91, 8, v91
	s_waitcnt vmcnt(0) lgkmcnt(0)
	v_fma_f64 v[85:86], v[93:94], v[95:96], v[85:86]
	s_andn2_b64 exec, exec, s[10:11]
	s_cbranch_execnz .LBB105_665
; %bb.666:
	s_or_b64 exec, exec, s[10:11]
.LBB105_667:
	s_or_b64 exec, exec, s[8:9]
	v_mov_b32_e32 v90, 0
	ds_read_b64 v[90:91], v90 offset:216
	s_waitcnt lgkmcnt(0)
	v_mul_f64 v[85:86], v[85:86], v[90:91]
	buffer_store_dword v86, off, s[0:3], 0 offset:220
	buffer_store_dword v85, off, s[0:3], 0 offset:216
.LBB105_668:
	s_or_b64 exec, exec, s[6:7]
	buffer_load_dword v85, off, s[0:3], 0 offset:224
	buffer_load_dword v86, off, s[0:3], 0 offset:228
	v_cmp_gt_u32_e32 vcc, 28, v0
	s_waitcnt vmcnt(0)
	ds_write_b64 v88, v[85:86]
	s_waitcnt lgkmcnt(0)
	; wave barrier
	s_and_saveexec_b64 s[6:7], vcc
	s_cbranch_execz .LBB105_678
; %bb.669:
	s_and_b64 vcc, exec, s[4:5]
	s_cbranch_vccnz .LBB105_671
; %bb.670:
	buffer_load_dword v85, v89, s[0:3], 0 offen
	buffer_load_dword v86, v89, s[0:3], 0 offen offset:4
	ds_read_b64 v[90:91], v88
	s_waitcnt vmcnt(0) lgkmcnt(0)
	v_mul_f64 v[85:86], v[85:86], v[90:91]
	s_cbranch_execz .LBB105_672
	s_branch .LBB105_673
.LBB105_671:
                                        ; implicit-def: $vgpr85_vgpr86
.LBB105_672:
	ds_read_b64 v[85:86], v88
.LBB105_673:
	v_cmp_ne_u32_e32 vcc, 27, v0
	s_and_saveexec_b64 s[8:9], vcc
	s_cbranch_execz .LBB105_677
; %bb.674:
	s_mov_b32 s10, 0
	v_add_u32_e32 v90, 0x158, v87
	v_add3_u32 v91, v87, s10, 8
	s_mov_b64 s[10:11], 0
	v_mov_b32_e32 v92, v0
.LBB105_675:                            ; =>This Inner Loop Header: Depth=1
	buffer_load_dword v93, v91, s[0:3], 0 offen
	buffer_load_dword v94, v91, s[0:3], 0 offen offset:4
	ds_read_b64 v[95:96], v90
	v_add_u32_e32 v92, 1, v92
	v_cmp_lt_u32_e32 vcc, 26, v92
	v_add_u32_e32 v90, 8, v90
	s_or_b64 s[10:11], vcc, s[10:11]
	v_add_u32_e32 v91, 8, v91
	s_waitcnt vmcnt(0) lgkmcnt(0)
	v_fma_f64 v[85:86], v[93:94], v[95:96], v[85:86]
	s_andn2_b64 exec, exec, s[10:11]
	s_cbranch_execnz .LBB105_675
; %bb.676:
	s_or_b64 exec, exec, s[10:11]
.LBB105_677:
	s_or_b64 exec, exec, s[8:9]
	v_mov_b32_e32 v90, 0
	ds_read_b64 v[90:91], v90 offset:224
	s_waitcnt lgkmcnt(0)
	v_mul_f64 v[85:86], v[85:86], v[90:91]
	buffer_store_dword v86, off, s[0:3], 0 offset:228
	buffer_store_dword v85, off, s[0:3], 0 offset:224
.LBB105_678:
	s_or_b64 exec, exec, s[6:7]
	buffer_load_dword v85, off, s[0:3], 0 offset:232
	buffer_load_dword v86, off, s[0:3], 0 offset:236
	v_cmp_gt_u32_e32 vcc, 29, v0
	s_waitcnt vmcnt(0)
	ds_write_b64 v88, v[85:86]
	s_waitcnt lgkmcnt(0)
	; wave barrier
	s_and_saveexec_b64 s[6:7], vcc
	s_cbranch_execz .LBB105_688
; %bb.679:
	s_and_b64 vcc, exec, s[4:5]
	s_cbranch_vccnz .LBB105_681
; %bb.680:
	buffer_load_dword v85, v89, s[0:3], 0 offen
	buffer_load_dword v86, v89, s[0:3], 0 offen offset:4
	ds_read_b64 v[90:91], v88
	s_waitcnt vmcnt(0) lgkmcnt(0)
	v_mul_f64 v[85:86], v[85:86], v[90:91]
	s_cbranch_execz .LBB105_682
	s_branch .LBB105_683
.LBB105_681:
                                        ; implicit-def: $vgpr85_vgpr86
.LBB105_682:
	ds_read_b64 v[85:86], v88
.LBB105_683:
	v_cmp_ne_u32_e32 vcc, 28, v0
	s_and_saveexec_b64 s[8:9], vcc
	s_cbranch_execz .LBB105_687
; %bb.684:
	s_mov_b32 s10, 0
	v_add_u32_e32 v90, 0x158, v87
	v_add3_u32 v91, v87, s10, 8
	s_mov_b64 s[10:11], 0
	v_mov_b32_e32 v92, v0
.LBB105_685:                            ; =>This Inner Loop Header: Depth=1
	buffer_load_dword v93, v91, s[0:3], 0 offen
	buffer_load_dword v94, v91, s[0:3], 0 offen offset:4
	ds_read_b64 v[95:96], v90
	v_add_u32_e32 v92, 1, v92
	v_cmp_lt_u32_e32 vcc, 27, v92
	v_add_u32_e32 v90, 8, v90
	s_or_b64 s[10:11], vcc, s[10:11]
	v_add_u32_e32 v91, 8, v91
	s_waitcnt vmcnt(0) lgkmcnt(0)
	v_fma_f64 v[85:86], v[93:94], v[95:96], v[85:86]
	s_andn2_b64 exec, exec, s[10:11]
	s_cbranch_execnz .LBB105_685
; %bb.686:
	s_or_b64 exec, exec, s[10:11]
.LBB105_687:
	s_or_b64 exec, exec, s[8:9]
	v_mov_b32_e32 v90, 0
	ds_read_b64 v[90:91], v90 offset:232
	s_waitcnt lgkmcnt(0)
	v_mul_f64 v[85:86], v[85:86], v[90:91]
	buffer_store_dword v86, off, s[0:3], 0 offset:236
	buffer_store_dword v85, off, s[0:3], 0 offset:232
.LBB105_688:
	s_or_b64 exec, exec, s[6:7]
	buffer_load_dword v85, off, s[0:3], 0 offset:240
	buffer_load_dword v86, off, s[0:3], 0 offset:244
	v_cmp_gt_u32_e32 vcc, 30, v0
	s_waitcnt vmcnt(0)
	ds_write_b64 v88, v[85:86]
	s_waitcnt lgkmcnt(0)
	; wave barrier
	s_and_saveexec_b64 s[6:7], vcc
	s_cbranch_execz .LBB105_698
; %bb.689:
	s_and_b64 vcc, exec, s[4:5]
	s_cbranch_vccnz .LBB105_691
; %bb.690:
	buffer_load_dword v85, v89, s[0:3], 0 offen
	buffer_load_dword v86, v89, s[0:3], 0 offen offset:4
	ds_read_b64 v[90:91], v88
	s_waitcnt vmcnt(0) lgkmcnt(0)
	v_mul_f64 v[85:86], v[85:86], v[90:91]
	s_cbranch_execz .LBB105_692
	s_branch .LBB105_693
.LBB105_691:
                                        ; implicit-def: $vgpr85_vgpr86
.LBB105_692:
	ds_read_b64 v[85:86], v88
.LBB105_693:
	v_cmp_ne_u32_e32 vcc, 29, v0
	s_and_saveexec_b64 s[8:9], vcc
	s_cbranch_execz .LBB105_697
; %bb.694:
	s_mov_b32 s10, 0
	v_add_u32_e32 v90, 0x158, v87
	v_add3_u32 v91, v87, s10, 8
	s_mov_b64 s[10:11], 0
	v_mov_b32_e32 v92, v0
.LBB105_695:                            ; =>This Inner Loop Header: Depth=1
	buffer_load_dword v93, v91, s[0:3], 0 offen
	buffer_load_dword v94, v91, s[0:3], 0 offen offset:4
	ds_read_b64 v[95:96], v90
	v_add_u32_e32 v92, 1, v92
	v_cmp_lt_u32_e32 vcc, 28, v92
	v_add_u32_e32 v90, 8, v90
	s_or_b64 s[10:11], vcc, s[10:11]
	v_add_u32_e32 v91, 8, v91
	s_waitcnt vmcnt(0) lgkmcnt(0)
	v_fma_f64 v[85:86], v[93:94], v[95:96], v[85:86]
	s_andn2_b64 exec, exec, s[10:11]
	s_cbranch_execnz .LBB105_695
; %bb.696:
	s_or_b64 exec, exec, s[10:11]
.LBB105_697:
	s_or_b64 exec, exec, s[8:9]
	v_mov_b32_e32 v90, 0
	ds_read_b64 v[90:91], v90 offset:240
	s_waitcnt lgkmcnt(0)
	v_mul_f64 v[85:86], v[85:86], v[90:91]
	buffer_store_dword v86, off, s[0:3], 0 offset:244
	buffer_store_dword v85, off, s[0:3], 0 offset:240
.LBB105_698:
	s_or_b64 exec, exec, s[6:7]
	buffer_load_dword v85, off, s[0:3], 0 offset:248
	buffer_load_dword v86, off, s[0:3], 0 offset:252
	v_cmp_gt_u32_e32 vcc, 31, v0
	s_waitcnt vmcnt(0)
	ds_write_b64 v88, v[85:86]
	s_waitcnt lgkmcnt(0)
	; wave barrier
	s_and_saveexec_b64 s[6:7], vcc
	s_cbranch_execz .LBB105_708
; %bb.699:
	s_and_b64 vcc, exec, s[4:5]
	s_cbranch_vccnz .LBB105_701
; %bb.700:
	buffer_load_dword v85, v89, s[0:3], 0 offen
	buffer_load_dword v86, v89, s[0:3], 0 offen offset:4
	ds_read_b64 v[90:91], v88
	s_waitcnt vmcnt(0) lgkmcnt(0)
	v_mul_f64 v[85:86], v[85:86], v[90:91]
	s_cbranch_execz .LBB105_702
	s_branch .LBB105_703
.LBB105_701:
                                        ; implicit-def: $vgpr85_vgpr86
.LBB105_702:
	ds_read_b64 v[85:86], v88
.LBB105_703:
	v_cmp_ne_u32_e32 vcc, 30, v0
	s_and_saveexec_b64 s[8:9], vcc
	s_cbranch_execz .LBB105_707
; %bb.704:
	s_mov_b32 s10, 0
	v_add_u32_e32 v90, 0x158, v87
	v_add3_u32 v91, v87, s10, 8
	s_mov_b64 s[10:11], 0
	v_mov_b32_e32 v92, v0
.LBB105_705:                            ; =>This Inner Loop Header: Depth=1
	buffer_load_dword v93, v91, s[0:3], 0 offen
	buffer_load_dword v94, v91, s[0:3], 0 offen offset:4
	ds_read_b64 v[95:96], v90
	v_add_u32_e32 v92, 1, v92
	v_cmp_lt_u32_e32 vcc, 29, v92
	v_add_u32_e32 v90, 8, v90
	s_or_b64 s[10:11], vcc, s[10:11]
	v_add_u32_e32 v91, 8, v91
	s_waitcnt vmcnt(0) lgkmcnt(0)
	v_fma_f64 v[85:86], v[93:94], v[95:96], v[85:86]
	s_andn2_b64 exec, exec, s[10:11]
	s_cbranch_execnz .LBB105_705
; %bb.706:
	s_or_b64 exec, exec, s[10:11]
.LBB105_707:
	s_or_b64 exec, exec, s[8:9]
	v_mov_b32_e32 v90, 0
	ds_read_b64 v[90:91], v90 offset:248
	s_waitcnt lgkmcnt(0)
	v_mul_f64 v[85:86], v[85:86], v[90:91]
	buffer_store_dword v86, off, s[0:3], 0 offset:252
	buffer_store_dword v85, off, s[0:3], 0 offset:248
.LBB105_708:
	s_or_b64 exec, exec, s[6:7]
	buffer_load_dword v85, off, s[0:3], 0 offset:256
	buffer_load_dword v86, off, s[0:3], 0 offset:260
	v_cmp_gt_u32_e32 vcc, 32, v0
	s_waitcnt vmcnt(0)
	ds_write_b64 v88, v[85:86]
	s_waitcnt lgkmcnt(0)
	; wave barrier
	s_and_saveexec_b64 s[6:7], vcc
	s_cbranch_execz .LBB105_718
; %bb.709:
	s_and_b64 vcc, exec, s[4:5]
	s_cbranch_vccnz .LBB105_711
; %bb.710:
	buffer_load_dword v85, v89, s[0:3], 0 offen
	buffer_load_dword v86, v89, s[0:3], 0 offen offset:4
	ds_read_b64 v[90:91], v88
	s_waitcnt vmcnt(0) lgkmcnt(0)
	v_mul_f64 v[85:86], v[85:86], v[90:91]
	s_cbranch_execz .LBB105_712
	s_branch .LBB105_713
.LBB105_711:
                                        ; implicit-def: $vgpr85_vgpr86
.LBB105_712:
	ds_read_b64 v[85:86], v88
.LBB105_713:
	v_cmp_ne_u32_e32 vcc, 31, v0
	s_and_saveexec_b64 s[8:9], vcc
	s_cbranch_execz .LBB105_717
; %bb.714:
	s_mov_b32 s10, 0
	v_add_u32_e32 v90, 0x158, v87
	v_add3_u32 v91, v87, s10, 8
	s_mov_b64 s[10:11], 0
	v_mov_b32_e32 v92, v0
.LBB105_715:                            ; =>This Inner Loop Header: Depth=1
	buffer_load_dword v93, v91, s[0:3], 0 offen
	buffer_load_dword v94, v91, s[0:3], 0 offen offset:4
	ds_read_b64 v[95:96], v90
	v_add_u32_e32 v92, 1, v92
	v_cmp_lt_u32_e32 vcc, 30, v92
	v_add_u32_e32 v90, 8, v90
	s_or_b64 s[10:11], vcc, s[10:11]
	v_add_u32_e32 v91, 8, v91
	s_waitcnt vmcnt(0) lgkmcnt(0)
	v_fma_f64 v[85:86], v[93:94], v[95:96], v[85:86]
	s_andn2_b64 exec, exec, s[10:11]
	s_cbranch_execnz .LBB105_715
; %bb.716:
	s_or_b64 exec, exec, s[10:11]
.LBB105_717:
	s_or_b64 exec, exec, s[8:9]
	v_mov_b32_e32 v90, 0
	ds_read_b64 v[90:91], v90 offset:256
	s_waitcnt lgkmcnt(0)
	v_mul_f64 v[85:86], v[85:86], v[90:91]
	buffer_store_dword v86, off, s[0:3], 0 offset:260
	buffer_store_dword v85, off, s[0:3], 0 offset:256
.LBB105_718:
	s_or_b64 exec, exec, s[6:7]
	buffer_load_dword v85, off, s[0:3], 0 offset:264
	buffer_load_dword v86, off, s[0:3], 0 offset:268
	v_cmp_gt_u32_e32 vcc, 33, v0
	s_waitcnt vmcnt(0)
	ds_write_b64 v88, v[85:86]
	s_waitcnt lgkmcnt(0)
	; wave barrier
	s_and_saveexec_b64 s[6:7], vcc
	s_cbranch_execz .LBB105_728
; %bb.719:
	s_and_b64 vcc, exec, s[4:5]
	s_cbranch_vccnz .LBB105_721
; %bb.720:
	buffer_load_dword v85, v89, s[0:3], 0 offen
	buffer_load_dword v86, v89, s[0:3], 0 offen offset:4
	ds_read_b64 v[90:91], v88
	s_waitcnt vmcnt(0) lgkmcnt(0)
	v_mul_f64 v[85:86], v[85:86], v[90:91]
	s_cbranch_execz .LBB105_722
	s_branch .LBB105_723
.LBB105_721:
                                        ; implicit-def: $vgpr85_vgpr86
.LBB105_722:
	ds_read_b64 v[85:86], v88
.LBB105_723:
	v_cmp_ne_u32_e32 vcc, 32, v0
	s_and_saveexec_b64 s[8:9], vcc
	s_cbranch_execz .LBB105_727
; %bb.724:
	s_mov_b32 s10, 0
	v_add_u32_e32 v90, 0x158, v87
	v_add3_u32 v91, v87, s10, 8
	s_mov_b64 s[10:11], 0
	v_mov_b32_e32 v92, v0
.LBB105_725:                            ; =>This Inner Loop Header: Depth=1
	buffer_load_dword v93, v91, s[0:3], 0 offen
	buffer_load_dword v94, v91, s[0:3], 0 offen offset:4
	ds_read_b64 v[95:96], v90
	v_add_u32_e32 v92, 1, v92
	v_cmp_lt_u32_e32 vcc, 31, v92
	v_add_u32_e32 v90, 8, v90
	s_or_b64 s[10:11], vcc, s[10:11]
	v_add_u32_e32 v91, 8, v91
	s_waitcnt vmcnt(0) lgkmcnt(0)
	v_fma_f64 v[85:86], v[93:94], v[95:96], v[85:86]
	s_andn2_b64 exec, exec, s[10:11]
	s_cbranch_execnz .LBB105_725
; %bb.726:
	s_or_b64 exec, exec, s[10:11]
.LBB105_727:
	s_or_b64 exec, exec, s[8:9]
	v_mov_b32_e32 v90, 0
	ds_read_b64 v[90:91], v90 offset:264
	s_waitcnt lgkmcnt(0)
	v_mul_f64 v[85:86], v[85:86], v[90:91]
	buffer_store_dword v86, off, s[0:3], 0 offset:268
	buffer_store_dword v85, off, s[0:3], 0 offset:264
.LBB105_728:
	s_or_b64 exec, exec, s[6:7]
	buffer_load_dword v85, off, s[0:3], 0 offset:272
	buffer_load_dword v86, off, s[0:3], 0 offset:276
	v_cmp_gt_u32_e32 vcc, 34, v0
	s_waitcnt vmcnt(0)
	ds_write_b64 v88, v[85:86]
	s_waitcnt lgkmcnt(0)
	; wave barrier
	s_and_saveexec_b64 s[6:7], vcc
	s_cbranch_execz .LBB105_738
; %bb.729:
	s_and_b64 vcc, exec, s[4:5]
	s_cbranch_vccnz .LBB105_731
; %bb.730:
	buffer_load_dword v85, v89, s[0:3], 0 offen
	buffer_load_dword v86, v89, s[0:3], 0 offen offset:4
	ds_read_b64 v[90:91], v88
	s_waitcnt vmcnt(0) lgkmcnt(0)
	v_mul_f64 v[85:86], v[85:86], v[90:91]
	s_cbranch_execz .LBB105_732
	s_branch .LBB105_733
.LBB105_731:
                                        ; implicit-def: $vgpr85_vgpr86
.LBB105_732:
	ds_read_b64 v[85:86], v88
.LBB105_733:
	v_cmp_ne_u32_e32 vcc, 33, v0
	s_and_saveexec_b64 s[8:9], vcc
	s_cbranch_execz .LBB105_737
; %bb.734:
	s_mov_b32 s10, 0
	v_add_u32_e32 v90, 0x158, v87
	v_add3_u32 v91, v87, s10, 8
	s_mov_b64 s[10:11], 0
	v_mov_b32_e32 v92, v0
.LBB105_735:                            ; =>This Inner Loop Header: Depth=1
	buffer_load_dword v93, v91, s[0:3], 0 offen
	buffer_load_dword v94, v91, s[0:3], 0 offen offset:4
	ds_read_b64 v[95:96], v90
	v_add_u32_e32 v92, 1, v92
	v_cmp_lt_u32_e32 vcc, 32, v92
	v_add_u32_e32 v90, 8, v90
	s_or_b64 s[10:11], vcc, s[10:11]
	v_add_u32_e32 v91, 8, v91
	s_waitcnt vmcnt(0) lgkmcnt(0)
	v_fma_f64 v[85:86], v[93:94], v[95:96], v[85:86]
	s_andn2_b64 exec, exec, s[10:11]
	s_cbranch_execnz .LBB105_735
; %bb.736:
	s_or_b64 exec, exec, s[10:11]
.LBB105_737:
	s_or_b64 exec, exec, s[8:9]
	v_mov_b32_e32 v90, 0
	ds_read_b64 v[90:91], v90 offset:272
	s_waitcnt lgkmcnt(0)
	v_mul_f64 v[85:86], v[85:86], v[90:91]
	buffer_store_dword v86, off, s[0:3], 0 offset:276
	buffer_store_dword v85, off, s[0:3], 0 offset:272
.LBB105_738:
	s_or_b64 exec, exec, s[6:7]
	buffer_load_dword v85, off, s[0:3], 0 offset:280
	buffer_load_dword v86, off, s[0:3], 0 offset:284
	v_cmp_gt_u32_e32 vcc, 35, v0
	s_waitcnt vmcnt(0)
	ds_write_b64 v88, v[85:86]
	s_waitcnt lgkmcnt(0)
	; wave barrier
	s_and_saveexec_b64 s[6:7], vcc
	s_cbranch_execz .LBB105_748
; %bb.739:
	s_and_b64 vcc, exec, s[4:5]
	s_cbranch_vccnz .LBB105_741
; %bb.740:
	buffer_load_dword v85, v89, s[0:3], 0 offen
	buffer_load_dword v86, v89, s[0:3], 0 offen offset:4
	ds_read_b64 v[90:91], v88
	s_waitcnt vmcnt(0) lgkmcnt(0)
	v_mul_f64 v[85:86], v[85:86], v[90:91]
	s_cbranch_execz .LBB105_742
	s_branch .LBB105_743
.LBB105_741:
                                        ; implicit-def: $vgpr85_vgpr86
.LBB105_742:
	ds_read_b64 v[85:86], v88
.LBB105_743:
	v_cmp_ne_u32_e32 vcc, 34, v0
	s_and_saveexec_b64 s[8:9], vcc
	s_cbranch_execz .LBB105_747
; %bb.744:
	s_mov_b32 s10, 0
	v_add_u32_e32 v90, 0x158, v87
	v_add3_u32 v91, v87, s10, 8
	s_mov_b64 s[10:11], 0
	v_mov_b32_e32 v92, v0
.LBB105_745:                            ; =>This Inner Loop Header: Depth=1
	buffer_load_dword v93, v91, s[0:3], 0 offen
	buffer_load_dword v94, v91, s[0:3], 0 offen offset:4
	ds_read_b64 v[95:96], v90
	v_add_u32_e32 v92, 1, v92
	v_cmp_lt_u32_e32 vcc, 33, v92
	v_add_u32_e32 v90, 8, v90
	s_or_b64 s[10:11], vcc, s[10:11]
	v_add_u32_e32 v91, 8, v91
	s_waitcnt vmcnt(0) lgkmcnt(0)
	v_fma_f64 v[85:86], v[93:94], v[95:96], v[85:86]
	s_andn2_b64 exec, exec, s[10:11]
	s_cbranch_execnz .LBB105_745
; %bb.746:
	s_or_b64 exec, exec, s[10:11]
.LBB105_747:
	s_or_b64 exec, exec, s[8:9]
	v_mov_b32_e32 v90, 0
	ds_read_b64 v[90:91], v90 offset:280
	s_waitcnt lgkmcnt(0)
	v_mul_f64 v[85:86], v[85:86], v[90:91]
	buffer_store_dword v86, off, s[0:3], 0 offset:284
	buffer_store_dword v85, off, s[0:3], 0 offset:280
.LBB105_748:
	s_or_b64 exec, exec, s[6:7]
	buffer_load_dword v85, off, s[0:3], 0 offset:288
	buffer_load_dword v86, off, s[0:3], 0 offset:292
	v_cmp_gt_u32_e32 vcc, 36, v0
	s_waitcnt vmcnt(0)
	ds_write_b64 v88, v[85:86]
	s_waitcnt lgkmcnt(0)
	; wave barrier
	s_and_saveexec_b64 s[6:7], vcc
	s_cbranch_execz .LBB105_758
; %bb.749:
	s_and_b64 vcc, exec, s[4:5]
	s_cbranch_vccnz .LBB105_751
; %bb.750:
	buffer_load_dword v85, v89, s[0:3], 0 offen
	buffer_load_dword v86, v89, s[0:3], 0 offen offset:4
	ds_read_b64 v[90:91], v88
	s_waitcnt vmcnt(0) lgkmcnt(0)
	v_mul_f64 v[85:86], v[85:86], v[90:91]
	s_cbranch_execz .LBB105_752
	s_branch .LBB105_753
.LBB105_751:
                                        ; implicit-def: $vgpr85_vgpr86
.LBB105_752:
	ds_read_b64 v[85:86], v88
.LBB105_753:
	v_cmp_ne_u32_e32 vcc, 35, v0
	s_and_saveexec_b64 s[8:9], vcc
	s_cbranch_execz .LBB105_757
; %bb.754:
	s_mov_b32 s10, 0
	v_add_u32_e32 v90, 0x158, v87
	v_add3_u32 v91, v87, s10, 8
	s_mov_b64 s[10:11], 0
	v_mov_b32_e32 v92, v0
.LBB105_755:                            ; =>This Inner Loop Header: Depth=1
	buffer_load_dword v93, v91, s[0:3], 0 offen
	buffer_load_dword v94, v91, s[0:3], 0 offen offset:4
	ds_read_b64 v[95:96], v90
	v_add_u32_e32 v92, 1, v92
	v_cmp_lt_u32_e32 vcc, 34, v92
	v_add_u32_e32 v90, 8, v90
	s_or_b64 s[10:11], vcc, s[10:11]
	v_add_u32_e32 v91, 8, v91
	s_waitcnt vmcnt(0) lgkmcnt(0)
	v_fma_f64 v[85:86], v[93:94], v[95:96], v[85:86]
	s_andn2_b64 exec, exec, s[10:11]
	s_cbranch_execnz .LBB105_755
; %bb.756:
	s_or_b64 exec, exec, s[10:11]
.LBB105_757:
	s_or_b64 exec, exec, s[8:9]
	v_mov_b32_e32 v90, 0
	ds_read_b64 v[90:91], v90 offset:288
	s_waitcnt lgkmcnt(0)
	v_mul_f64 v[85:86], v[85:86], v[90:91]
	buffer_store_dword v86, off, s[0:3], 0 offset:292
	buffer_store_dword v85, off, s[0:3], 0 offset:288
.LBB105_758:
	s_or_b64 exec, exec, s[6:7]
	buffer_load_dword v85, off, s[0:3], 0 offset:296
	buffer_load_dword v86, off, s[0:3], 0 offset:300
	v_cmp_gt_u32_e32 vcc, 37, v0
	s_waitcnt vmcnt(0)
	ds_write_b64 v88, v[85:86]
	s_waitcnt lgkmcnt(0)
	; wave barrier
	s_and_saveexec_b64 s[6:7], vcc
	s_cbranch_execz .LBB105_768
; %bb.759:
	s_and_b64 vcc, exec, s[4:5]
	s_cbranch_vccnz .LBB105_761
; %bb.760:
	buffer_load_dword v85, v89, s[0:3], 0 offen
	buffer_load_dword v86, v89, s[0:3], 0 offen offset:4
	ds_read_b64 v[90:91], v88
	s_waitcnt vmcnt(0) lgkmcnt(0)
	v_mul_f64 v[85:86], v[85:86], v[90:91]
	s_cbranch_execz .LBB105_762
	s_branch .LBB105_763
.LBB105_761:
                                        ; implicit-def: $vgpr85_vgpr86
.LBB105_762:
	ds_read_b64 v[85:86], v88
.LBB105_763:
	v_cmp_ne_u32_e32 vcc, 36, v0
	s_and_saveexec_b64 s[8:9], vcc
	s_cbranch_execz .LBB105_767
; %bb.764:
	s_mov_b32 s10, 0
	v_add_u32_e32 v90, 0x158, v87
	v_add3_u32 v91, v87, s10, 8
	s_mov_b64 s[10:11], 0
	v_mov_b32_e32 v92, v0
.LBB105_765:                            ; =>This Inner Loop Header: Depth=1
	buffer_load_dword v93, v91, s[0:3], 0 offen
	buffer_load_dword v94, v91, s[0:3], 0 offen offset:4
	ds_read_b64 v[95:96], v90
	v_add_u32_e32 v92, 1, v92
	v_cmp_lt_u32_e32 vcc, 35, v92
	v_add_u32_e32 v90, 8, v90
	s_or_b64 s[10:11], vcc, s[10:11]
	v_add_u32_e32 v91, 8, v91
	s_waitcnt vmcnt(0) lgkmcnt(0)
	v_fma_f64 v[85:86], v[93:94], v[95:96], v[85:86]
	s_andn2_b64 exec, exec, s[10:11]
	s_cbranch_execnz .LBB105_765
; %bb.766:
	s_or_b64 exec, exec, s[10:11]
.LBB105_767:
	s_or_b64 exec, exec, s[8:9]
	v_mov_b32_e32 v90, 0
	ds_read_b64 v[90:91], v90 offset:296
	s_waitcnt lgkmcnt(0)
	v_mul_f64 v[85:86], v[85:86], v[90:91]
	buffer_store_dword v86, off, s[0:3], 0 offset:300
	buffer_store_dword v85, off, s[0:3], 0 offset:296
.LBB105_768:
	s_or_b64 exec, exec, s[6:7]
	buffer_load_dword v85, off, s[0:3], 0 offset:304
	buffer_load_dword v86, off, s[0:3], 0 offset:308
	v_cmp_gt_u32_e32 vcc, 38, v0
	s_waitcnt vmcnt(0)
	ds_write_b64 v88, v[85:86]
	s_waitcnt lgkmcnt(0)
	; wave barrier
	s_and_saveexec_b64 s[6:7], vcc
	s_cbranch_execz .LBB105_778
; %bb.769:
	s_and_b64 vcc, exec, s[4:5]
	s_cbranch_vccnz .LBB105_771
; %bb.770:
	buffer_load_dword v85, v89, s[0:3], 0 offen
	buffer_load_dword v86, v89, s[0:3], 0 offen offset:4
	ds_read_b64 v[90:91], v88
	s_waitcnt vmcnt(0) lgkmcnt(0)
	v_mul_f64 v[85:86], v[85:86], v[90:91]
	s_cbranch_execz .LBB105_772
	s_branch .LBB105_773
.LBB105_771:
                                        ; implicit-def: $vgpr85_vgpr86
.LBB105_772:
	ds_read_b64 v[85:86], v88
.LBB105_773:
	v_cmp_ne_u32_e32 vcc, 37, v0
	s_and_saveexec_b64 s[8:9], vcc
	s_cbranch_execz .LBB105_777
; %bb.774:
	s_mov_b32 s10, 0
	v_add_u32_e32 v90, 0x158, v87
	v_add3_u32 v91, v87, s10, 8
	s_mov_b64 s[10:11], 0
	v_mov_b32_e32 v92, v0
.LBB105_775:                            ; =>This Inner Loop Header: Depth=1
	buffer_load_dword v93, v91, s[0:3], 0 offen
	buffer_load_dword v94, v91, s[0:3], 0 offen offset:4
	ds_read_b64 v[95:96], v90
	v_add_u32_e32 v92, 1, v92
	v_cmp_lt_u32_e32 vcc, 36, v92
	v_add_u32_e32 v90, 8, v90
	s_or_b64 s[10:11], vcc, s[10:11]
	v_add_u32_e32 v91, 8, v91
	s_waitcnt vmcnt(0) lgkmcnt(0)
	v_fma_f64 v[85:86], v[93:94], v[95:96], v[85:86]
	s_andn2_b64 exec, exec, s[10:11]
	s_cbranch_execnz .LBB105_775
; %bb.776:
	s_or_b64 exec, exec, s[10:11]
.LBB105_777:
	s_or_b64 exec, exec, s[8:9]
	v_mov_b32_e32 v90, 0
	ds_read_b64 v[90:91], v90 offset:304
	s_waitcnt lgkmcnt(0)
	v_mul_f64 v[85:86], v[85:86], v[90:91]
	buffer_store_dword v86, off, s[0:3], 0 offset:308
	buffer_store_dword v85, off, s[0:3], 0 offset:304
.LBB105_778:
	s_or_b64 exec, exec, s[6:7]
	buffer_load_dword v85, off, s[0:3], 0 offset:312
	buffer_load_dword v86, off, s[0:3], 0 offset:316
	v_cmp_gt_u32_e32 vcc, 39, v0
	s_waitcnt vmcnt(0)
	ds_write_b64 v88, v[85:86]
	s_waitcnt lgkmcnt(0)
	; wave barrier
	s_and_saveexec_b64 s[6:7], vcc
	s_cbranch_execz .LBB105_788
; %bb.779:
	s_and_b64 vcc, exec, s[4:5]
	s_cbranch_vccnz .LBB105_781
; %bb.780:
	buffer_load_dword v85, v89, s[0:3], 0 offen
	buffer_load_dword v86, v89, s[0:3], 0 offen offset:4
	ds_read_b64 v[90:91], v88
	s_waitcnt vmcnt(0) lgkmcnt(0)
	v_mul_f64 v[85:86], v[85:86], v[90:91]
	s_cbranch_execz .LBB105_782
	s_branch .LBB105_783
.LBB105_781:
                                        ; implicit-def: $vgpr85_vgpr86
.LBB105_782:
	ds_read_b64 v[85:86], v88
.LBB105_783:
	v_cmp_ne_u32_e32 vcc, 38, v0
	s_and_saveexec_b64 s[8:9], vcc
	s_cbranch_execz .LBB105_787
; %bb.784:
	s_mov_b32 s10, 0
	v_add_u32_e32 v90, 0x158, v87
	v_add3_u32 v91, v87, s10, 8
	s_mov_b64 s[10:11], 0
	v_mov_b32_e32 v92, v0
.LBB105_785:                            ; =>This Inner Loop Header: Depth=1
	buffer_load_dword v93, v91, s[0:3], 0 offen
	buffer_load_dword v94, v91, s[0:3], 0 offen offset:4
	ds_read_b64 v[95:96], v90
	v_add_u32_e32 v92, 1, v92
	v_cmp_lt_u32_e32 vcc, 37, v92
	v_add_u32_e32 v90, 8, v90
	s_or_b64 s[10:11], vcc, s[10:11]
	v_add_u32_e32 v91, 8, v91
	s_waitcnt vmcnt(0) lgkmcnt(0)
	v_fma_f64 v[85:86], v[93:94], v[95:96], v[85:86]
	s_andn2_b64 exec, exec, s[10:11]
	s_cbranch_execnz .LBB105_785
; %bb.786:
	s_or_b64 exec, exec, s[10:11]
.LBB105_787:
	s_or_b64 exec, exec, s[8:9]
	v_mov_b32_e32 v90, 0
	ds_read_b64 v[90:91], v90 offset:312
	s_waitcnt lgkmcnt(0)
	v_mul_f64 v[85:86], v[85:86], v[90:91]
	buffer_store_dword v86, off, s[0:3], 0 offset:316
	buffer_store_dword v85, off, s[0:3], 0 offset:312
.LBB105_788:
	s_or_b64 exec, exec, s[6:7]
	buffer_load_dword v85, off, s[0:3], 0 offset:320
	buffer_load_dword v86, off, s[0:3], 0 offset:324
	v_cmp_gt_u32_e64 s[6:7], 40, v0
	s_waitcnt vmcnt(0)
	ds_write_b64 v88, v[85:86]
	s_waitcnt lgkmcnt(0)
	; wave barrier
	s_and_saveexec_b64 s[8:9], s[6:7]
	s_cbranch_execz .LBB105_798
; %bb.789:
	s_and_b64 vcc, exec, s[4:5]
	s_cbranch_vccnz .LBB105_791
; %bb.790:
	buffer_load_dword v85, v89, s[0:3], 0 offen
	buffer_load_dword v86, v89, s[0:3], 0 offen offset:4
	ds_read_b64 v[90:91], v88
	s_waitcnt vmcnt(0) lgkmcnt(0)
	v_mul_f64 v[85:86], v[85:86], v[90:91]
	s_cbranch_execz .LBB105_792
	s_branch .LBB105_793
.LBB105_791:
                                        ; implicit-def: $vgpr85_vgpr86
.LBB105_792:
	ds_read_b64 v[85:86], v88
.LBB105_793:
	v_cmp_ne_u32_e32 vcc, 39, v0
	s_and_saveexec_b64 s[10:11], vcc
	s_cbranch_execz .LBB105_797
; %bb.794:
	s_mov_b32 s12, 0
	v_add_u32_e32 v90, 0x158, v87
	v_add3_u32 v91, v87, s12, 8
	s_mov_b64 s[12:13], 0
	v_mov_b32_e32 v92, v0
.LBB105_795:                            ; =>This Inner Loop Header: Depth=1
	buffer_load_dword v93, v91, s[0:3], 0 offen
	buffer_load_dword v94, v91, s[0:3], 0 offen offset:4
	ds_read_b64 v[95:96], v90
	v_add_u32_e32 v92, 1, v92
	v_cmp_lt_u32_e32 vcc, 38, v92
	v_add_u32_e32 v90, 8, v90
	s_or_b64 s[12:13], vcc, s[12:13]
	v_add_u32_e32 v91, 8, v91
	s_waitcnt vmcnt(0) lgkmcnt(0)
	v_fma_f64 v[85:86], v[93:94], v[95:96], v[85:86]
	s_andn2_b64 exec, exec, s[12:13]
	s_cbranch_execnz .LBB105_795
; %bb.796:
	s_or_b64 exec, exec, s[12:13]
.LBB105_797:
	s_or_b64 exec, exec, s[10:11]
	v_mov_b32_e32 v90, 0
	ds_read_b64 v[90:91], v90 offset:320
	s_waitcnt lgkmcnt(0)
	v_mul_f64 v[85:86], v[85:86], v[90:91]
	buffer_store_dword v86, off, s[0:3], 0 offset:324
	buffer_store_dword v85, off, s[0:3], 0 offset:320
.LBB105_798:
	s_or_b64 exec, exec, s[8:9]
	buffer_load_dword v85, off, s[0:3], 0 offset:328
	buffer_load_dword v86, off, s[0:3], 0 offset:332
	v_cmp_ne_u32_e32 vcc, 41, v0
	s_waitcnt vmcnt(0)
	ds_write_b64 v88, v[85:86]
	s_waitcnt lgkmcnt(0)
	; wave barrier
	s_and_saveexec_b64 s[8:9], vcc
	s_cbranch_execz .LBB105_808
; %bb.799:
	s_and_b64 vcc, exec, s[4:5]
	s_cbranch_vccnz .LBB105_801
; %bb.800:
	buffer_load_dword v85, v89, s[0:3], 0 offen
	buffer_load_dword v86, v89, s[0:3], 0 offen offset:4
	ds_read_b64 v[89:90], v88
	s_waitcnt vmcnt(0) lgkmcnt(0)
	v_mul_f64 v[85:86], v[85:86], v[89:90]
	s_cbranch_execz .LBB105_802
	s_branch .LBB105_803
.LBB105_801:
                                        ; implicit-def: $vgpr85_vgpr86
.LBB105_802:
	ds_read_b64 v[85:86], v88
.LBB105_803:
	s_and_saveexec_b64 s[4:5], s[6:7]
	s_cbranch_execz .LBB105_807
; %bb.804:
	s_mov_b32 s6, 0
	v_add_u32_e32 v88, 0x158, v87
	v_add3_u32 v87, v87, s6, 8
	s_mov_b64 s[6:7], 0
.LBB105_805:                            ; =>This Inner Loop Header: Depth=1
	buffer_load_dword v89, v87, s[0:3], 0 offen
	buffer_load_dword v90, v87, s[0:3], 0 offen offset:4
	ds_read_b64 v[91:92], v88
	v_add_u32_e32 v0, 1, v0
	v_cmp_lt_u32_e32 vcc, 39, v0
	v_add_u32_e32 v88, 8, v88
	s_or_b64 s[6:7], vcc, s[6:7]
	v_add_u32_e32 v87, 8, v87
	s_waitcnt vmcnt(0) lgkmcnt(0)
	v_fma_f64 v[85:86], v[89:90], v[91:92], v[85:86]
	s_andn2_b64 exec, exec, s[6:7]
	s_cbranch_execnz .LBB105_805
; %bb.806:
	s_or_b64 exec, exec, s[6:7]
.LBB105_807:
	s_or_b64 exec, exec, s[4:5]
	v_mov_b32_e32 v0, 0
	ds_read_b64 v[87:88], v0 offset:328
	s_waitcnt lgkmcnt(0)
	v_mul_f64 v[85:86], v[85:86], v[87:88]
	buffer_store_dword v86, off, s[0:3], 0 offset:332
	buffer_store_dword v85, off, s[0:3], 0 offset:328
.LBB105_808:
	s_or_b64 exec, exec, s[8:9]
.LBB105_809:
	buffer_load_dword v85, off, s[0:3], 0
	buffer_load_dword v86, off, s[0:3], 0 offset:4
	s_waitcnt vmcnt(0)
	flat_store_dwordx2 v[1:2], v[85:86]
	buffer_load_dword v0, off, s[0:3], 0 offset:8
	s_nop 0
	buffer_load_dword v1, off, s[0:3], 0 offset:12
	s_waitcnt vmcnt(0)
	flat_store_dwordx2 v[3:4], v[0:1]
	buffer_load_dword v0, off, s[0:3], 0 offset:16
	s_nop 0
	;; [unrolled: 5-line block ×41, first 2 shown]
	buffer_load_dword v1, off, s[0:3], 0 offset:332
	s_waitcnt vmcnt(0)
	flat_store_dwordx2 v[83:84], v[0:1]
.LBB105_810:
	s_endpgm
	.section	.rodata,"a",@progbits
	.p2align	6, 0x0
	.amdhsa_kernel _ZN9rocsolver6v33100L18trti2_kernel_smallILi42EdPKPdEEv13rocblas_fill_17rocblas_diagonal_T1_iil
		.amdhsa_group_segment_fixed_size 672
		.amdhsa_private_segment_fixed_size 352
		.amdhsa_kernarg_size 32
		.amdhsa_user_sgpr_count 6
		.amdhsa_user_sgpr_private_segment_buffer 1
		.amdhsa_user_sgpr_dispatch_ptr 0
		.amdhsa_user_sgpr_queue_ptr 0
		.amdhsa_user_sgpr_kernarg_segment_ptr 1
		.amdhsa_user_sgpr_dispatch_id 0
		.amdhsa_user_sgpr_flat_scratch_init 0
		.amdhsa_user_sgpr_private_segment_size 0
		.amdhsa_uses_dynamic_stack 0
		.amdhsa_system_sgpr_private_segment_wavefront_offset 1
		.amdhsa_system_sgpr_workgroup_id_x 1
		.amdhsa_system_sgpr_workgroup_id_y 0
		.amdhsa_system_sgpr_workgroup_id_z 0
		.amdhsa_system_sgpr_workgroup_info 0
		.amdhsa_system_vgpr_workitem_id 0
		.amdhsa_next_free_vgpr 98
		.amdhsa_next_free_sgpr 55
		.amdhsa_reserve_vcc 1
		.amdhsa_reserve_flat_scratch 0
		.amdhsa_float_round_mode_32 0
		.amdhsa_float_round_mode_16_64 0
		.amdhsa_float_denorm_mode_32 3
		.amdhsa_float_denorm_mode_16_64 3
		.amdhsa_dx10_clamp 1
		.amdhsa_ieee_mode 1
		.amdhsa_fp16_overflow 0
		.amdhsa_exception_fp_ieee_invalid_op 0
		.amdhsa_exception_fp_denorm_src 0
		.amdhsa_exception_fp_ieee_div_zero 0
		.amdhsa_exception_fp_ieee_overflow 0
		.amdhsa_exception_fp_ieee_underflow 0
		.amdhsa_exception_fp_ieee_inexact 0
		.amdhsa_exception_int_div_zero 0
	.end_amdhsa_kernel
	.section	.text._ZN9rocsolver6v33100L18trti2_kernel_smallILi42EdPKPdEEv13rocblas_fill_17rocblas_diagonal_T1_iil,"axG",@progbits,_ZN9rocsolver6v33100L18trti2_kernel_smallILi42EdPKPdEEv13rocblas_fill_17rocblas_diagonal_T1_iil,comdat
.Lfunc_end105:
	.size	_ZN9rocsolver6v33100L18trti2_kernel_smallILi42EdPKPdEEv13rocblas_fill_17rocblas_diagonal_T1_iil, .Lfunc_end105-_ZN9rocsolver6v33100L18trti2_kernel_smallILi42EdPKPdEEv13rocblas_fill_17rocblas_diagonal_T1_iil
                                        ; -- End function
	.set _ZN9rocsolver6v33100L18trti2_kernel_smallILi42EdPKPdEEv13rocblas_fill_17rocblas_diagonal_T1_iil.num_vgpr, 98
	.set _ZN9rocsolver6v33100L18trti2_kernel_smallILi42EdPKPdEEv13rocblas_fill_17rocblas_diagonal_T1_iil.num_agpr, 0
	.set _ZN9rocsolver6v33100L18trti2_kernel_smallILi42EdPKPdEEv13rocblas_fill_17rocblas_diagonal_T1_iil.numbered_sgpr, 55
	.set _ZN9rocsolver6v33100L18trti2_kernel_smallILi42EdPKPdEEv13rocblas_fill_17rocblas_diagonal_T1_iil.num_named_barrier, 0
	.set _ZN9rocsolver6v33100L18trti2_kernel_smallILi42EdPKPdEEv13rocblas_fill_17rocblas_diagonal_T1_iil.private_seg_size, 352
	.set _ZN9rocsolver6v33100L18trti2_kernel_smallILi42EdPKPdEEv13rocblas_fill_17rocblas_diagonal_T1_iil.uses_vcc, 1
	.set _ZN9rocsolver6v33100L18trti2_kernel_smallILi42EdPKPdEEv13rocblas_fill_17rocblas_diagonal_T1_iil.uses_flat_scratch, 0
	.set _ZN9rocsolver6v33100L18trti2_kernel_smallILi42EdPKPdEEv13rocblas_fill_17rocblas_diagonal_T1_iil.has_dyn_sized_stack, 0
	.set _ZN9rocsolver6v33100L18trti2_kernel_smallILi42EdPKPdEEv13rocblas_fill_17rocblas_diagonal_T1_iil.has_recursion, 0
	.set _ZN9rocsolver6v33100L18trti2_kernel_smallILi42EdPKPdEEv13rocblas_fill_17rocblas_diagonal_T1_iil.has_indirect_call, 0
	.section	.AMDGPU.csdata,"",@progbits
; Kernel info:
; codeLenInByte = 24812
; TotalNumSgprs: 59
; NumVgprs: 98
; ScratchSize: 352
; MemoryBound: 0
; FloatMode: 240
; IeeeMode: 1
; LDSByteSize: 672 bytes/workgroup (compile time only)
; SGPRBlocks: 7
; VGPRBlocks: 24
; NumSGPRsForWavesPerEU: 59
; NumVGPRsForWavesPerEU: 98
; Occupancy: 2
; WaveLimiterHint : 1
; COMPUTE_PGM_RSRC2:SCRATCH_EN: 1
; COMPUTE_PGM_RSRC2:USER_SGPR: 6
; COMPUTE_PGM_RSRC2:TRAP_HANDLER: 0
; COMPUTE_PGM_RSRC2:TGID_X_EN: 1
; COMPUTE_PGM_RSRC2:TGID_Y_EN: 0
; COMPUTE_PGM_RSRC2:TGID_Z_EN: 0
; COMPUTE_PGM_RSRC2:TIDIG_COMP_CNT: 0
	.section	.text._ZN9rocsolver6v33100L18trti2_kernel_smallILi43EdPKPdEEv13rocblas_fill_17rocblas_diagonal_T1_iil,"axG",@progbits,_ZN9rocsolver6v33100L18trti2_kernel_smallILi43EdPKPdEEv13rocblas_fill_17rocblas_diagonal_T1_iil,comdat
	.globl	_ZN9rocsolver6v33100L18trti2_kernel_smallILi43EdPKPdEEv13rocblas_fill_17rocblas_diagonal_T1_iil ; -- Begin function _ZN9rocsolver6v33100L18trti2_kernel_smallILi43EdPKPdEEv13rocblas_fill_17rocblas_diagonal_T1_iil
	.p2align	8
	.type	_ZN9rocsolver6v33100L18trti2_kernel_smallILi43EdPKPdEEv13rocblas_fill_17rocblas_diagonal_T1_iil,@function
_ZN9rocsolver6v33100L18trti2_kernel_smallILi43EdPKPdEEv13rocblas_fill_17rocblas_diagonal_T1_iil: ; @_ZN9rocsolver6v33100L18trti2_kernel_smallILi43EdPKPdEEv13rocblas_fill_17rocblas_diagonal_T1_iil
; %bb.0:
	s_add_u32 s0, s0, s7
	s_addc_u32 s1, s1, 0
	v_cmp_gt_u32_e32 vcc, 43, v0
	s_and_saveexec_b64 s[8:9], vcc
	s_cbranch_execz .LBB106_830
; %bb.1:
	s_load_dwordx2 s[12:13], s[4:5], 0x10
	s_load_dwordx4 s[8:11], s[4:5], 0x0
	s_ashr_i32 s7, s6, 31
	s_lshl_b64 s[6:7], s[6:7], 3
	v_lshlrev_b32_e32 v89, 3, v0
	s_waitcnt lgkmcnt(0)
	s_ashr_i32 s5, s12, 31
	s_add_u32 s6, s10, s6
	s_addc_u32 s7, s11, s7
	s_load_dwordx2 s[6:7], s[6:7], 0x0
	s_mov_b32 s4, s12
	s_lshl_b64 s[4:5], s[4:5], 3
	s_waitcnt lgkmcnt(0)
	s_add_u32 s4, s6, s4
	s_addc_u32 s5, s7, s5
	v_mov_b32_e32 v2, s5
	v_add_co_u32_e32 v1, vcc, s4, v89
	v_addc_co_u32_e32 v2, vcc, 0, v2, vcc
	flat_load_dwordx2 v[5:6], v[1:2]
	s_mov_b32 s6, s13
	s_ashr_i32 s7, s13, 31
	s_lshl_b64 s[6:7], s[6:7], 3
	v_mov_b32_e32 v4, s7
	v_add_co_u32_e32 v3, vcc, s6, v1
	v_addc_co_u32_e32 v4, vcc, v2, v4, vcc
	s_add_i32 s6, s13, s13
	v_add_u32_e32 v9, s6, v0
	v_ashrrev_i32_e32 v10, 31, v9
	v_mov_b32_e32 v11, s5
	v_add_u32_e32 v12, s13, v9
	v_ashrrev_i32_e32 v13, 31, v12
	v_mov_b32_e32 v14, s5
	v_mov_b32_e32 v15, s5
	;; [unrolled: 1-line block ×39, first 2 shown]
	s_cmpk_lg_i32 s9, 0x84
	s_cselect_b64 s[10:11], -1, 0
	s_cmpk_eq_i32 s9, 0x84
	s_waitcnt vmcnt(0) lgkmcnt(0)
	buffer_store_dword v6, off, s[0:3], 0 offset:4
	buffer_store_dword v5, off, s[0:3], 0
	flat_load_dwordx2 v[7:8], v[3:4]
	v_lshlrev_b64 v[5:6], 3, v[9:10]
	s_waitcnt vmcnt(0) lgkmcnt(0)
	buffer_store_dword v8, off, s[0:3], 0 offset:12
	buffer_store_dword v7, off, s[0:3], 0 offset:8
	v_add_co_u32_e32 v5, vcc, s4, v5
	v_addc_co_u32_e32 v6, vcc, v11, v6, vcc
	flat_load_dwordx2 v[10:11], v[5:6]
	v_lshlrev_b64 v[7:8], 3, v[12:13]
	s_waitcnt vmcnt(0) lgkmcnt(0)
	buffer_store_dword v11, off, s[0:3], 0 offset:20
	buffer_store_dword v10, off, s[0:3], 0 offset:16
	v_add_co_u32_e32 v7, vcc, s4, v7
	v_addc_co_u32_e32 v8, vcc, v14, v8, vcc
	flat_load_dwordx2 v[13:14], v[7:8]
	v_add_u32_e32 v11, s13, v12
	v_ashrrev_i32_e32 v12, 31, v11
	v_lshlrev_b64 v[9:10], 3, v[11:12]
	s_waitcnt vmcnt(0) lgkmcnt(0)
	buffer_store_dword v14, off, s[0:3], 0 offset:28
	buffer_store_dword v13, off, s[0:3], 0 offset:24
	v_add_co_u32_e32 v9, vcc, s4, v9
	v_addc_co_u32_e32 v10, vcc, v15, v10, vcc
	flat_load_dwordx2 v[13:14], v[9:10]
	v_add_u32_e32 v15, s13, v11
	v_ashrrev_i32_e32 v16, 31, v15
	v_lshlrev_b64 v[11:12], 3, v[15:16]
	v_add_u32_e32 v18, s13, v15
	v_add_co_u32_e32 v11, vcc, s4, v11
	v_addc_co_u32_e32 v12, vcc, v17, v12, vcc
	v_ashrrev_i32_e32 v19, 31, v18
	s_waitcnt vmcnt(0) lgkmcnt(0)
	buffer_store_dword v14, off, s[0:3], 0 offset:36
	buffer_store_dword v13, off, s[0:3], 0 offset:32
	flat_load_dwordx2 v[16:17], v[11:12]
	v_lshlrev_b64 v[13:14], 3, v[18:19]
	s_waitcnt vmcnt(0) lgkmcnt(0)
	buffer_store_dword v17, off, s[0:3], 0 offset:44
	buffer_store_dword v16, off, s[0:3], 0 offset:40
	v_add_co_u32_e32 v13, vcc, s4, v13
	v_addc_co_u32_e32 v14, vcc, v20, v14, vcc
	flat_load_dwordx2 v[19:20], v[13:14]
	v_add_u32_e32 v17, s13, v18
	v_ashrrev_i32_e32 v18, 31, v17
	v_lshlrev_b64 v[15:16], 3, v[17:18]
	s_waitcnt vmcnt(0) lgkmcnt(0)
	buffer_store_dword v20, off, s[0:3], 0 offset:52
	buffer_store_dword v19, off, s[0:3], 0 offset:48
	v_add_co_u32_e32 v15, vcc, s4, v15
	v_addc_co_u32_e32 v16, vcc, v21, v16, vcc
	flat_load_dwordx2 v[19:20], v[15:16]
	v_add_u32_e32 v21, s13, v17
	v_ashrrev_i32_e32 v22, 31, v21
	v_lshlrev_b64 v[17:18], 3, v[21:22]
	v_add_u32_e32 v24, s13, v21
	v_add_co_u32_e32 v17, vcc, s4, v17
	v_addc_co_u32_e32 v18, vcc, v23, v18, vcc
	v_ashrrev_i32_e32 v25, 31, v24
	s_waitcnt vmcnt(0) lgkmcnt(0)
	buffer_store_dword v20, off, s[0:3], 0 offset:60
	buffer_store_dword v19, off, s[0:3], 0 offset:56
	;; [unrolled: 27-line block ×7, first 2 shown]
	flat_load_dwordx2 v[52:53], v[47:48]
	v_lshlrev_b64 v[49:50], 3, v[54:55]
	s_waitcnt vmcnt(0) lgkmcnt(0)
	buffer_store_dword v53, off, s[0:3], 0 offset:188
	buffer_store_dword v52, off, s[0:3], 0 offset:184
	v_add_co_u32_e32 v49, vcc, s4, v49
	v_addc_co_u32_e32 v50, vcc, v56, v50, vcc
	flat_load_dwordx2 v[55:56], v[49:50]
	v_add_u32_e32 v53, s13, v54
	v_ashrrev_i32_e32 v54, 31, v53
	v_lshlrev_b64 v[51:52], 3, v[53:54]
	s_waitcnt vmcnt(0) lgkmcnt(0)
	buffer_store_dword v56, off, s[0:3], 0 offset:196
	buffer_store_dword v55, off, s[0:3], 0 offset:192
	v_add_co_u32_e32 v51, vcc, s4, v51
	v_addc_co_u32_e32 v52, vcc, v57, v52, vcc
	flat_load_dwordx2 v[55:56], v[51:52]
	v_add_u32_e32 v57, s13, v53
	v_ashrrev_i32_e32 v58, 31, v57
	v_lshlrev_b64 v[53:54], 3, v[57:58]
	v_add_u32_e32 v60, s13, v57
	v_add_co_u32_e32 v53, vcc, s4, v53
	v_addc_co_u32_e32 v54, vcc, v59, v54, vcc
	s_waitcnt vmcnt(0) lgkmcnt(0)
	buffer_store_dword v56, off, s[0:3], 0 offset:204
	buffer_store_dword v55, off, s[0:3], 0 offset:200
	flat_load_dwordx2 v[58:59], v[53:54]
	v_ashrrev_i32_e32 v61, 31, v60
	v_lshlrev_b64 v[55:56], 3, v[60:61]
	s_waitcnt vmcnt(0) lgkmcnt(0)
	buffer_store_dword v59, off, s[0:3], 0 offset:212
	buffer_store_dword v58, off, s[0:3], 0 offset:208
	v_add_co_u32_e32 v55, vcc, s4, v55
	v_addc_co_u32_e32 v56, vcc, v62, v56, vcc
	flat_load_dwordx2 v[61:62], v[55:56]
	v_add_u32_e32 v59, s13, v60
	v_ashrrev_i32_e32 v60, 31, v59
	v_lshlrev_b64 v[57:58], 3, v[59:60]
	s_waitcnt vmcnt(0) lgkmcnt(0)
	buffer_store_dword v62, off, s[0:3], 0 offset:220
	buffer_store_dword v61, off, s[0:3], 0 offset:216
	v_add_co_u32_e32 v57, vcc, s4, v57
	v_addc_co_u32_e32 v58, vcc, v63, v58, vcc
	flat_load_dwordx2 v[61:62], v[57:58]
	v_add_u32_e32 v63, s13, v59
	;; [unrolled: 9-line block ×15, first 2 shown]
	v_ashrrev_i32_e32 v86, 31, v85
	v_lshlrev_b64 v[85:86], 3, v[85:86]
	v_mov_b32_e32 v88, s5
	v_add_co_u32_e32 v85, vcc, s4, v85
	v_addc_co_u32_e32 v86, vcc, v88, v86, vcc
	s_waitcnt vmcnt(0) lgkmcnt(0)
	buffer_store_dword v91, off, s[0:3], 0 offset:332
	buffer_store_dword v90, off, s[0:3], 0 offset:328
	flat_load_dwordx2 v[90:91], v[85:86]
	v_mov_b32_e32 v87, 0
	v_mov_b32_e32 v88, 0xbff00000
	s_waitcnt vmcnt(0) lgkmcnt(0)
	buffer_store_dword v91, off, s[0:3], 0 offset:340
	buffer_store_dword v90, off, s[0:3], 0 offset:336
	s_cbranch_scc1 .LBB106_3
; %bb.2:
	v_mov_b32_e32 v87, 0
	v_lshl_add_u32 v98, v0, 3, v87
	buffer_load_dword v87, v98, s[0:3], 0 offen
	buffer_load_dword v88, v98, s[0:3], 0 offen offset:4
	s_waitcnt vmcnt(0)
	v_div_scale_f64 v[90:91], s[4:5], v[87:88], v[87:88], 1.0
	v_rcp_f64_e32 v[92:93], v[90:91]
	v_fma_f64 v[94:95], -v[90:91], v[92:93], 1.0
	v_fma_f64 v[92:93], v[92:93], v[94:95], v[92:93]
	v_div_scale_f64 v[94:95], vcc, 1.0, v[87:88], 1.0
	v_fma_f64 v[96:97], -v[90:91], v[92:93], 1.0
	v_fma_f64 v[92:93], v[92:93], v[96:97], v[92:93]
	v_mul_f64 v[96:97], v[94:95], v[92:93]
	v_fma_f64 v[90:91], -v[90:91], v[96:97], v[94:95]
	v_div_fmas_f64 v[90:91], v[90:91], v[92:93], v[96:97]
	v_div_fixup_f64 v[87:88], v[90:91], v[87:88], 1.0
	buffer_store_dword v87, v98, s[0:3], 0 offen
	buffer_store_dword v88, v98, s[0:3], 0 offen offset:4
	v_xor_b32_e32 v88, 0x80000000, v88
.LBB106_3:
	s_cmpk_eq_i32 s8, 0x79
	v_add_u32_e32 v90, 0x160, v89
	v_mov_b32_e32 v91, v89
	s_mov_b64 s[4:5], -1
	ds_write_b64 v89, v[87:88]
	s_cbranch_scc1 .LBB106_417
; %bb.4:
	buffer_load_dword v87, off, s[0:3], 0 offset:328
	buffer_load_dword v88, off, s[0:3], 0 offset:332
	s_movk_i32 s12, 0x48
	s_movk_i32 s13, 0x50
	;; [unrolled: 1-line block ×32, first 2 shown]
	v_cmp_eq_u32_e64 s[4:5], 42, v0
	s_waitcnt vmcnt(0)
	ds_write_b64 v90, v[87:88]
	s_waitcnt lgkmcnt(0)
	; wave barrier
	s_and_saveexec_b64 s[6:7], s[4:5]
	s_cbranch_execz .LBB106_10
; %bb.5:
	s_and_b64 vcc, exec, s[10:11]
	s_cbranch_vccz .LBB106_7
; %bb.6:
	buffer_load_dword v87, v91, s[0:3], 0 offen
	buffer_load_dword v88, v91, s[0:3], 0 offen offset:4
	ds_read_b64 v[92:93], v90
	s_waitcnt vmcnt(0) lgkmcnt(0)
	v_mul_f64 v[87:88], v[87:88], v[92:93]
	s_cbranch_execz .LBB106_8
	s_branch .LBB106_9
.LBB106_7:
                                        ; implicit-def: $vgpr87_vgpr88
.LBB106_8:
	ds_read_b64 v[87:88], v90
.LBB106_9:
	v_mov_b32_e32 v92, 0
	ds_read_b64 v[92:93], v92 offset:328
	s_waitcnt lgkmcnt(0)
	v_mul_f64 v[87:88], v[87:88], v[92:93]
	buffer_store_dword v88, off, s[0:3], 0 offset:332
	buffer_store_dword v87, off, s[0:3], 0 offset:328
.LBB106_10:
	s_or_b64 exec, exec, s[6:7]
	buffer_load_dword v87, off, s[0:3], 0 offset:320
	buffer_load_dword v88, off, s[0:3], 0 offset:324
	s_or_b32 s14, 0, 8
	s_mov_b32 s15, 16
	s_mov_b32 s16, 24
	;; [unrolled: 1-line block ×9, first 2 shown]
	v_cmp_lt_u32_e64 s[6:7], 40, v0
	s_waitcnt vmcnt(0)
	ds_write_b64 v90, v[87:88]
	s_waitcnt lgkmcnt(0)
	; wave barrier
	s_and_saveexec_b64 s[8:9], s[6:7]
	s_cbranch_execz .LBB106_16
; %bb.11:
	s_andn2_b64 vcc, exec, s[10:11]
	s_cbranch_vccnz .LBB106_13
; %bb.12:
	buffer_load_dword v87, v91, s[0:3], 0 offen
	buffer_load_dword v88, v91, s[0:3], 0 offen offset:4
	ds_read_b64 v[92:93], v90
	s_waitcnt vmcnt(0) lgkmcnt(0)
	v_mul_f64 v[87:88], v[87:88], v[92:93]
	s_cbranch_execz .LBB106_14
	s_branch .LBB106_15
.LBB106_13:
                                        ; implicit-def: $vgpr87_vgpr88
.LBB106_14:
	ds_read_b64 v[87:88], v90
.LBB106_15:
	buffer_load_dword v96, off, s[0:3], 0 offset:328
	buffer_load_dword v97, off, s[0:3], 0 offset:332
	v_mov_b32_e32 v92, 0
	ds_read2_b64 v[92:95], v92 offset0:40 offset1:85
	s_waitcnt vmcnt(0) lgkmcnt(0)
	v_fma_f64 v[94:95], v[96:97], v[94:95], v[87:88]
	v_cndmask_b32_e64 v88, v88, v95, s[4:5]
	v_cndmask_b32_e64 v87, v87, v94, s[4:5]
	v_mul_f64 v[87:88], v[87:88], v[92:93]
	buffer_store_dword v88, off, s[0:3], 0 offset:324
	buffer_store_dword v87, off, s[0:3], 0 offset:320
.LBB106_16:
	s_or_b64 exec, exec, s[8:9]
	buffer_load_dword v87, off, s[0:3], 0 offset:312
	buffer_load_dword v88, off, s[0:3], 0 offset:316
	v_cmp_lt_u32_e64 s[4:5], 39, v0
	s_waitcnt vmcnt(0)
	ds_write_b64 v90, v[87:88]
	s_waitcnt lgkmcnt(0)
	; wave barrier
	s_and_saveexec_b64 s[8:9], s[4:5]
	s_cbranch_execz .LBB106_26
; %bb.17:
	s_andn2_b64 vcc, exec, s[10:11]
	s_cbranch_vccnz .LBB106_19
; %bb.18:
	buffer_load_dword v87, v91, s[0:3], 0 offen
	buffer_load_dword v88, v91, s[0:3], 0 offen offset:4
	ds_read_b64 v[92:93], v90
	s_waitcnt vmcnt(0) lgkmcnt(0)
	v_mul_f64 v[87:88], v[87:88], v[92:93]
	s_cbranch_execz .LBB106_20
	s_branch .LBB106_21
.LBB106_19:
                                        ; implicit-def: $vgpr87_vgpr88
.LBB106_20:
	ds_read_b64 v[87:88], v90
.LBB106_21:
	s_and_saveexec_b64 s[12:13], s[6:7]
	s_cbranch_execz .LBB106_25
; %bb.22:
	v_subrev_u32_e32 v92, 40, v0
	s_movk_i32 s55, 0x2a0
	s_mov_b64 s[6:7], 0
.LBB106_23:                             ; =>This Inner Loop Header: Depth=1
	v_mov_b32_e32 v94, s54
	buffer_load_dword v93, v94, s[0:3], 0 offen
	s_nop 0
	buffer_load_dword v94, v94, s[0:3], 0 offen offset:4
	v_mov_b32_e32 v95, s55
	ds_read_b64 v[95:96], v95
	v_add_u32_e32 v92, -1, v92
	s_add_i32 s55, s55, 8
	s_add_i32 s54, s54, 8
	v_cmp_eq_u32_e32 vcc, 0, v92
	s_or_b64 s[6:7], vcc, s[6:7]
	s_waitcnt vmcnt(0) lgkmcnt(0)
	v_fma_f64 v[87:88], v[93:94], v[95:96], v[87:88]
	s_andn2_b64 exec, exec, s[6:7]
	s_cbranch_execnz .LBB106_23
; %bb.24:
	s_or_b64 exec, exec, s[6:7]
.LBB106_25:
	s_or_b64 exec, exec, s[12:13]
	v_mov_b32_e32 v92, 0
	ds_read_b64 v[92:93], v92 offset:312
	s_waitcnt lgkmcnt(0)
	v_mul_f64 v[87:88], v[87:88], v[92:93]
	buffer_store_dword v88, off, s[0:3], 0 offset:316
	buffer_store_dword v87, off, s[0:3], 0 offset:312
.LBB106_26:
	s_or_b64 exec, exec, s[8:9]
	buffer_load_dword v87, off, s[0:3], 0 offset:304
	buffer_load_dword v88, off, s[0:3], 0 offset:308
	v_cmp_lt_u32_e64 s[6:7], 38, v0
	s_waitcnt vmcnt(0)
	ds_write_b64 v90, v[87:88]
	s_waitcnt lgkmcnt(0)
	; wave barrier
	s_and_saveexec_b64 s[8:9], s[6:7]
	s_cbranch_execz .LBB106_36
; %bb.27:
	s_andn2_b64 vcc, exec, s[10:11]
	s_cbranch_vccnz .LBB106_29
; %bb.28:
	buffer_load_dword v87, v91, s[0:3], 0 offen
	buffer_load_dword v88, v91, s[0:3], 0 offen offset:4
	ds_read_b64 v[92:93], v90
	s_waitcnt vmcnt(0) lgkmcnt(0)
	v_mul_f64 v[87:88], v[87:88], v[92:93]
	s_cbranch_execz .LBB106_30
	s_branch .LBB106_31
.LBB106_29:
                                        ; implicit-def: $vgpr87_vgpr88
.LBB106_30:
	ds_read_b64 v[87:88], v90
.LBB106_31:
	s_and_saveexec_b64 s[12:13], s[4:5]
	s_cbranch_execz .LBB106_35
; %bb.32:
	v_subrev_u32_e32 v92, 39, v0
	s_movk_i32 s54, 0x298
	s_mov_b64 s[4:5], 0
.LBB106_33:                             ; =>This Inner Loop Header: Depth=1
	v_mov_b32_e32 v94, s53
	buffer_load_dword v93, v94, s[0:3], 0 offen
	s_nop 0
	buffer_load_dword v94, v94, s[0:3], 0 offen offset:4
	v_mov_b32_e32 v95, s54
	ds_read_b64 v[95:96], v95
	v_add_u32_e32 v92, -1, v92
	s_add_i32 s54, s54, 8
	s_add_i32 s53, s53, 8
	v_cmp_eq_u32_e32 vcc, 0, v92
	s_or_b64 s[4:5], vcc, s[4:5]
	s_waitcnt vmcnt(0) lgkmcnt(0)
	v_fma_f64 v[87:88], v[93:94], v[95:96], v[87:88]
	s_andn2_b64 exec, exec, s[4:5]
	s_cbranch_execnz .LBB106_33
; %bb.34:
	s_or_b64 exec, exec, s[4:5]
.LBB106_35:
	s_or_b64 exec, exec, s[12:13]
	v_mov_b32_e32 v92, 0
	ds_read_b64 v[92:93], v92 offset:304
	s_waitcnt lgkmcnt(0)
	v_mul_f64 v[87:88], v[87:88], v[92:93]
	buffer_store_dword v88, off, s[0:3], 0 offset:308
	buffer_store_dword v87, off, s[0:3], 0 offset:304
.LBB106_36:
	;; [unrolled: 59-line block ×4, first 2 shown]
	s_or_b64 exec, exec, s[8:9]
	buffer_load_dword v87, off, s[0:3], 0 offset:280
	buffer_load_dword v88, off, s[0:3], 0 offset:284
	v_cmp_lt_u32_e64 s[4:5], 35, v0
	s_waitcnt vmcnt(0)
	ds_write_b64 v90, v[87:88]
	s_waitcnt lgkmcnt(0)
	; wave barrier
	s_and_saveexec_b64 s[8:9], s[4:5]
	s_cbranch_execz .LBB106_66
; %bb.57:
	s_andn2_b64 vcc, exec, s[10:11]
	s_cbranch_vccnz .LBB106_59
; %bb.58:
	buffer_load_dword v87, v91, s[0:3], 0 offen
	buffer_load_dword v88, v91, s[0:3], 0 offen offset:4
	ds_read_b64 v[92:93], v90
	s_waitcnt vmcnt(0) lgkmcnt(0)
	v_mul_f64 v[87:88], v[87:88], v[92:93]
	s_cbranch_execz .LBB106_60
	s_branch .LBB106_61
.LBB106_59:
                                        ; implicit-def: $vgpr87_vgpr88
.LBB106_60:
	ds_read_b64 v[87:88], v90
.LBB106_61:
	s_and_saveexec_b64 s[12:13], s[6:7]
	s_cbranch_execz .LBB106_65
; %bb.62:
	v_subrev_u32_e32 v92, 36, v0
	s_movk_i32 s51, 0x280
	s_mov_b64 s[6:7], 0
.LBB106_63:                             ; =>This Inner Loop Header: Depth=1
	v_mov_b32_e32 v95, s50
	buffer_load_dword v93, v95, s[0:3], 0 offen
	buffer_load_dword v94, v95, s[0:3], 0 offen offset:4
	v_mov_b32_e32 v95, s51
	ds_read_b64 v[95:96], v95
	v_add_u32_e32 v92, -1, v92
	s_add_i32 s51, s51, 8
	s_add_i32 s50, s50, 8
	v_cmp_eq_u32_e32 vcc, 0, v92
	s_or_b64 s[6:7], vcc, s[6:7]
	s_waitcnt vmcnt(0) lgkmcnt(0)
	v_fma_f64 v[87:88], v[93:94], v[95:96], v[87:88]
	s_andn2_b64 exec, exec, s[6:7]
	s_cbranch_execnz .LBB106_63
; %bb.64:
	s_or_b64 exec, exec, s[6:7]
.LBB106_65:
	s_or_b64 exec, exec, s[12:13]
	v_mov_b32_e32 v92, 0
	ds_read_b64 v[92:93], v92 offset:280
	s_waitcnt lgkmcnt(0)
	v_mul_f64 v[87:88], v[87:88], v[92:93]
	buffer_store_dword v88, off, s[0:3], 0 offset:284
	buffer_store_dword v87, off, s[0:3], 0 offset:280
.LBB106_66:
	s_or_b64 exec, exec, s[8:9]
	buffer_load_dword v87, off, s[0:3], 0 offset:272
	buffer_load_dword v88, off, s[0:3], 0 offset:276
	v_cmp_lt_u32_e64 s[6:7], 34, v0
	s_waitcnt vmcnt(0)
	ds_write_b64 v90, v[87:88]
	s_waitcnt lgkmcnt(0)
	; wave barrier
	s_and_saveexec_b64 s[8:9], s[6:7]
	s_cbranch_execz .LBB106_76
; %bb.67:
	s_andn2_b64 vcc, exec, s[10:11]
	s_cbranch_vccnz .LBB106_69
; %bb.68:
	buffer_load_dword v87, v91, s[0:3], 0 offen
	buffer_load_dword v88, v91, s[0:3], 0 offen offset:4
	ds_read_b64 v[92:93], v90
	s_waitcnt vmcnt(0) lgkmcnt(0)
	v_mul_f64 v[87:88], v[87:88], v[92:93]
	s_cbranch_execz .LBB106_70
	s_branch .LBB106_71
.LBB106_69:
                                        ; implicit-def: $vgpr87_vgpr88
.LBB106_70:
	ds_read_b64 v[87:88], v90
.LBB106_71:
	s_and_saveexec_b64 s[12:13], s[4:5]
	s_cbranch_execz .LBB106_75
; %bb.72:
	v_subrev_u32_e32 v92, 35, v0
	s_movk_i32 s50, 0x278
	s_mov_b64 s[4:5], 0
.LBB106_73:                             ; =>This Inner Loop Header: Depth=1
	v_mov_b32_e32 v95, s49
	buffer_load_dword v93, v95, s[0:3], 0 offen
	buffer_load_dword v94, v95, s[0:3], 0 offen offset:4
	v_mov_b32_e32 v95, s50
	ds_read_b64 v[95:96], v95
	v_add_u32_e32 v92, -1, v92
	s_add_i32 s50, s50, 8
	s_add_i32 s49, s49, 8
	v_cmp_eq_u32_e32 vcc, 0, v92
	s_or_b64 s[4:5], vcc, s[4:5]
	s_waitcnt vmcnt(0) lgkmcnt(0)
	v_fma_f64 v[87:88], v[93:94], v[95:96], v[87:88]
	s_andn2_b64 exec, exec, s[4:5]
	s_cbranch_execnz .LBB106_73
; %bb.74:
	s_or_b64 exec, exec, s[4:5]
.LBB106_75:
	s_or_b64 exec, exec, s[12:13]
	v_mov_b32_e32 v92, 0
	ds_read_b64 v[92:93], v92 offset:272
	s_waitcnt lgkmcnt(0)
	v_mul_f64 v[87:88], v[87:88], v[92:93]
	buffer_store_dword v88, off, s[0:3], 0 offset:276
	buffer_store_dword v87, off, s[0:3], 0 offset:272
.LBB106_76:
	;; [unrolled: 58-line block ×4, first 2 shown]
	s_or_b64 exec, exec, s[8:9]
	buffer_load_dword v87, off, s[0:3], 0 offset:248
	buffer_load_dword v88, off, s[0:3], 0 offset:252
	v_cmp_lt_u32_e64 s[4:5], 31, v0
	s_waitcnt vmcnt(0)
	ds_write_b64 v90, v[87:88]
	s_waitcnt lgkmcnt(0)
	; wave barrier
	s_and_saveexec_b64 s[8:9], s[4:5]
	s_cbranch_execz .LBB106_106
; %bb.97:
	s_andn2_b64 vcc, exec, s[10:11]
	s_cbranch_vccnz .LBB106_99
; %bb.98:
	buffer_load_dword v87, v91, s[0:3], 0 offen
	buffer_load_dword v88, v91, s[0:3], 0 offen offset:4
	ds_read_b64 v[92:93], v90
	s_waitcnt vmcnt(0) lgkmcnt(0)
	v_mul_f64 v[87:88], v[87:88], v[92:93]
	s_cbranch_execz .LBB106_100
	s_branch .LBB106_101
.LBB106_99:
                                        ; implicit-def: $vgpr87_vgpr88
.LBB106_100:
	ds_read_b64 v[87:88], v90
.LBB106_101:
	s_and_saveexec_b64 s[12:13], s[6:7]
	s_cbranch_execz .LBB106_105
; %bb.102:
	v_subrev_u32_e32 v92, 32, v0
	s_movk_i32 s47, 0x260
	s_mov_b64 s[6:7], 0
.LBB106_103:                            ; =>This Inner Loop Header: Depth=1
	v_mov_b32_e32 v95, s46
	buffer_load_dword v93, v95, s[0:3], 0 offen
	buffer_load_dword v94, v95, s[0:3], 0 offen offset:4
	v_mov_b32_e32 v95, s47
	ds_read_b64 v[95:96], v95
	v_add_u32_e32 v92, -1, v92
	s_add_i32 s47, s47, 8
	s_add_i32 s46, s46, 8
	v_cmp_eq_u32_e32 vcc, 0, v92
	s_or_b64 s[6:7], vcc, s[6:7]
	s_waitcnt vmcnt(0) lgkmcnt(0)
	v_fma_f64 v[87:88], v[93:94], v[95:96], v[87:88]
	s_andn2_b64 exec, exec, s[6:7]
	s_cbranch_execnz .LBB106_103
; %bb.104:
	s_or_b64 exec, exec, s[6:7]
.LBB106_105:
	s_or_b64 exec, exec, s[12:13]
	v_mov_b32_e32 v92, 0
	ds_read_b64 v[92:93], v92 offset:248
	s_waitcnt lgkmcnt(0)
	v_mul_f64 v[87:88], v[87:88], v[92:93]
	buffer_store_dword v88, off, s[0:3], 0 offset:252
	buffer_store_dword v87, off, s[0:3], 0 offset:248
.LBB106_106:
	s_or_b64 exec, exec, s[8:9]
	buffer_load_dword v87, off, s[0:3], 0 offset:240
	buffer_load_dword v88, off, s[0:3], 0 offset:244
	v_cmp_lt_u32_e64 s[6:7], 30, v0
	s_waitcnt vmcnt(0)
	ds_write_b64 v90, v[87:88]
	s_waitcnt lgkmcnt(0)
	; wave barrier
	s_and_saveexec_b64 s[8:9], s[6:7]
	s_cbranch_execz .LBB106_116
; %bb.107:
	s_andn2_b64 vcc, exec, s[10:11]
	s_cbranch_vccnz .LBB106_109
; %bb.108:
	buffer_load_dword v87, v91, s[0:3], 0 offen
	buffer_load_dword v88, v91, s[0:3], 0 offen offset:4
	ds_read_b64 v[92:93], v90
	s_waitcnt vmcnt(0) lgkmcnt(0)
	v_mul_f64 v[87:88], v[87:88], v[92:93]
	s_cbranch_execz .LBB106_110
	s_branch .LBB106_111
.LBB106_109:
                                        ; implicit-def: $vgpr87_vgpr88
.LBB106_110:
	ds_read_b64 v[87:88], v90
.LBB106_111:
	s_and_saveexec_b64 s[12:13], s[4:5]
	s_cbranch_execz .LBB106_115
; %bb.112:
	v_subrev_u32_e32 v92, 31, v0
	s_movk_i32 s46, 0x258
	s_mov_b64 s[4:5], 0
.LBB106_113:                            ; =>This Inner Loop Header: Depth=1
	v_mov_b32_e32 v95, s45
	buffer_load_dword v93, v95, s[0:3], 0 offen
	buffer_load_dword v94, v95, s[0:3], 0 offen offset:4
	v_mov_b32_e32 v95, s46
	ds_read_b64 v[95:96], v95
	v_add_u32_e32 v92, -1, v92
	s_add_i32 s46, s46, 8
	s_add_i32 s45, s45, 8
	v_cmp_eq_u32_e32 vcc, 0, v92
	s_or_b64 s[4:5], vcc, s[4:5]
	s_waitcnt vmcnt(0) lgkmcnt(0)
	v_fma_f64 v[87:88], v[93:94], v[95:96], v[87:88]
	s_andn2_b64 exec, exec, s[4:5]
	s_cbranch_execnz .LBB106_113
; %bb.114:
	s_or_b64 exec, exec, s[4:5]
.LBB106_115:
	s_or_b64 exec, exec, s[12:13]
	v_mov_b32_e32 v92, 0
	ds_read_b64 v[92:93], v92 offset:240
	s_waitcnt lgkmcnt(0)
	v_mul_f64 v[87:88], v[87:88], v[92:93]
	buffer_store_dword v88, off, s[0:3], 0 offset:244
	buffer_store_dword v87, off, s[0:3], 0 offset:240
.LBB106_116:
	;; [unrolled: 58-line block ×16, first 2 shown]
	s_or_b64 exec, exec, s[8:9]
	buffer_load_dword v87, off, s[0:3], 0 offset:120
	buffer_load_dword v88, off, s[0:3], 0 offset:124
	v_cmp_lt_u32_e64 s[4:5], 15, v0
	s_waitcnt vmcnt(0)
	ds_write_b64 v90, v[87:88]
	s_waitcnt lgkmcnt(0)
	; wave barrier
	s_and_saveexec_b64 s[8:9], s[4:5]
	s_cbranch_execz .LBB106_266
; %bb.257:
	s_andn2_b64 vcc, exec, s[10:11]
	s_cbranch_vccnz .LBB106_259
; %bb.258:
	buffer_load_dword v87, v91, s[0:3], 0 offen
	buffer_load_dword v88, v91, s[0:3], 0 offen offset:4
	ds_read_b64 v[92:93], v90
	s_waitcnt vmcnt(0) lgkmcnt(0)
	v_mul_f64 v[87:88], v[87:88], v[92:93]
	s_cbranch_execz .LBB106_260
	s_branch .LBB106_261
.LBB106_259:
                                        ; implicit-def: $vgpr87_vgpr88
.LBB106_260:
	ds_read_b64 v[87:88], v90
.LBB106_261:
	s_and_saveexec_b64 s[12:13], s[6:7]
	s_cbranch_execz .LBB106_265
; %bb.262:
	v_add_u32_e32 v92, -16, v0
	s_movk_i32 s30, 0x1e0
	s_mov_b64 s[6:7], 0
.LBB106_263:                            ; =>This Inner Loop Header: Depth=1
	v_mov_b32_e32 v95, s29
	buffer_load_dword v93, v95, s[0:3], 0 offen
	buffer_load_dword v94, v95, s[0:3], 0 offen offset:4
	v_mov_b32_e32 v95, s30
	ds_read_b64 v[95:96], v95
	v_add_u32_e32 v92, -1, v92
	s_add_i32 s30, s30, 8
	s_add_i32 s29, s29, 8
	v_cmp_eq_u32_e32 vcc, 0, v92
	s_or_b64 s[6:7], vcc, s[6:7]
	s_waitcnt vmcnt(0) lgkmcnt(0)
	v_fma_f64 v[87:88], v[93:94], v[95:96], v[87:88]
	s_andn2_b64 exec, exec, s[6:7]
	s_cbranch_execnz .LBB106_263
; %bb.264:
	s_or_b64 exec, exec, s[6:7]
.LBB106_265:
	s_or_b64 exec, exec, s[12:13]
	v_mov_b32_e32 v92, 0
	ds_read_b64 v[92:93], v92 offset:120
	s_waitcnt lgkmcnt(0)
	v_mul_f64 v[87:88], v[87:88], v[92:93]
	buffer_store_dword v88, off, s[0:3], 0 offset:124
	buffer_store_dword v87, off, s[0:3], 0 offset:120
.LBB106_266:
	s_or_b64 exec, exec, s[8:9]
	buffer_load_dword v87, off, s[0:3], 0 offset:112
	buffer_load_dword v88, off, s[0:3], 0 offset:116
	v_cmp_lt_u32_e64 s[6:7], 14, v0
	s_waitcnt vmcnt(0)
	ds_write_b64 v90, v[87:88]
	s_waitcnt lgkmcnt(0)
	; wave barrier
	s_and_saveexec_b64 s[8:9], s[6:7]
	s_cbranch_execz .LBB106_276
; %bb.267:
	s_andn2_b64 vcc, exec, s[10:11]
	s_cbranch_vccnz .LBB106_269
; %bb.268:
	buffer_load_dword v87, v91, s[0:3], 0 offen
	buffer_load_dword v88, v91, s[0:3], 0 offen offset:4
	ds_read_b64 v[92:93], v90
	s_waitcnt vmcnt(0) lgkmcnt(0)
	v_mul_f64 v[87:88], v[87:88], v[92:93]
	s_cbranch_execz .LBB106_270
	s_branch .LBB106_271
.LBB106_269:
                                        ; implicit-def: $vgpr87_vgpr88
.LBB106_270:
	ds_read_b64 v[87:88], v90
.LBB106_271:
	s_and_saveexec_b64 s[12:13], s[4:5]
	s_cbranch_execz .LBB106_275
; %bb.272:
	v_add_u32_e32 v92, -15, v0
	s_movk_i32 s29, 0x1d8
	s_mov_b64 s[4:5], 0
.LBB106_273:                            ; =>This Inner Loop Header: Depth=1
	v_mov_b32_e32 v95, s28
	buffer_load_dword v93, v95, s[0:3], 0 offen
	buffer_load_dword v94, v95, s[0:3], 0 offen offset:4
	v_mov_b32_e32 v95, s29
	ds_read_b64 v[95:96], v95
	v_add_u32_e32 v92, -1, v92
	s_add_i32 s29, s29, 8
	s_add_i32 s28, s28, 8
	v_cmp_eq_u32_e32 vcc, 0, v92
	s_or_b64 s[4:5], vcc, s[4:5]
	s_waitcnt vmcnt(0) lgkmcnt(0)
	v_fma_f64 v[87:88], v[93:94], v[95:96], v[87:88]
	s_andn2_b64 exec, exec, s[4:5]
	s_cbranch_execnz .LBB106_273
; %bb.274:
	s_or_b64 exec, exec, s[4:5]
.LBB106_275:
	s_or_b64 exec, exec, s[12:13]
	v_mov_b32_e32 v92, 0
	ds_read_b64 v[92:93], v92 offset:112
	s_waitcnt lgkmcnt(0)
	v_mul_f64 v[87:88], v[87:88], v[92:93]
	buffer_store_dword v88, off, s[0:3], 0 offset:116
	buffer_store_dword v87, off, s[0:3], 0 offset:112
.LBB106_276:
	;; [unrolled: 58-line block ×15, first 2 shown]
	s_or_b64 exec, exec, s[8:9]
	buffer_load_dword v87, off, s[0:3], 0
	buffer_load_dword v88, off, s[0:3], 0 offset:4
	v_cmp_ne_u32_e32 vcc, 0, v0
	s_waitcnt vmcnt(0)
	ds_write_b64 v90, v[87:88]
	s_waitcnt lgkmcnt(0)
	; wave barrier
	s_and_saveexec_b64 s[6:7], vcc
	s_cbranch_execz .LBB106_416
; %bb.407:
	s_andn2_b64 vcc, exec, s[10:11]
	s_cbranch_vccnz .LBB106_409
; %bb.408:
	buffer_load_dword v87, v91, s[0:3], 0 offen
	buffer_load_dword v88, v91, s[0:3], 0 offen offset:4
	ds_read_b64 v[92:93], v90
	s_waitcnt vmcnt(0) lgkmcnt(0)
	v_mul_f64 v[87:88], v[87:88], v[92:93]
	s_cbranch_execz .LBB106_410
	s_branch .LBB106_411
.LBB106_409:
                                        ; implicit-def: $vgpr87_vgpr88
.LBB106_410:
	ds_read_b64 v[87:88], v90
.LBB106_411:
	s_and_saveexec_b64 s[8:9], s[4:5]
	s_cbranch_execz .LBB106_415
; %bb.412:
	v_add_u32_e32 v92, -1, v0
	s_movk_i32 s12, 0x168
	s_mov_b64 s[4:5], 0
.LBB106_413:                            ; =>This Inner Loop Header: Depth=1
	v_mov_b32_e32 v95, s14
	buffer_load_dword v93, v95, s[0:3], 0 offen
	buffer_load_dword v94, v95, s[0:3], 0 offen offset:4
	v_mov_b32_e32 v95, s12
	ds_read_b64 v[95:96], v95
	v_add_u32_e32 v92, -1, v92
	s_add_i32 s12, s12, 8
	s_add_i32 s14, s14, 8
	v_cmp_eq_u32_e32 vcc, 0, v92
	s_or_b64 s[4:5], vcc, s[4:5]
	s_waitcnt vmcnt(0) lgkmcnt(0)
	v_fma_f64 v[87:88], v[93:94], v[95:96], v[87:88]
	s_andn2_b64 exec, exec, s[4:5]
	s_cbranch_execnz .LBB106_413
; %bb.414:
	s_or_b64 exec, exec, s[4:5]
.LBB106_415:
	s_or_b64 exec, exec, s[8:9]
	v_mov_b32_e32 v92, 0
	ds_read_b64 v[92:93], v92
	s_waitcnt lgkmcnt(0)
	v_mul_f64 v[87:88], v[87:88], v[92:93]
	buffer_store_dword v88, off, s[0:3], 0 offset:4
	buffer_store_dword v87, off, s[0:3], 0
.LBB106_416:
	s_or_b64 exec, exec, s[6:7]
	s_mov_b64 s[4:5], 0
.LBB106_417:
	s_and_b64 vcc, exec, s[4:5]
	s_cbranch_vccz .LBB106_829
; %bb.418:
	buffer_load_dword v87, off, s[0:3], 0 offset:8
	buffer_load_dword v88, off, s[0:3], 0 offset:12
	v_cmp_eq_u32_e64 s[6:7], 0, v0
	s_waitcnt vmcnt(0)
	ds_write_b64 v90, v[87:88]
	s_waitcnt lgkmcnt(0)
	; wave barrier
	s_and_saveexec_b64 s[4:5], s[6:7]
	s_cbranch_execz .LBB106_424
; %bb.419:
	s_and_b64 vcc, exec, s[10:11]
	s_cbranch_vccz .LBB106_421
; %bb.420:
	buffer_load_dword v87, v91, s[0:3], 0 offen
	buffer_load_dword v88, v91, s[0:3], 0 offen offset:4
	ds_read_b64 v[92:93], v90
	s_waitcnt vmcnt(0) lgkmcnt(0)
	v_mul_f64 v[87:88], v[87:88], v[92:93]
	s_cbranch_execz .LBB106_422
	s_branch .LBB106_423
.LBB106_421:
                                        ; implicit-def: $vgpr87_vgpr88
.LBB106_422:
	ds_read_b64 v[87:88], v90
.LBB106_423:
	v_mov_b32_e32 v92, 0
	ds_read_b64 v[92:93], v92 offset:8
	s_waitcnt lgkmcnt(0)
	v_mul_f64 v[87:88], v[87:88], v[92:93]
	buffer_store_dword v88, off, s[0:3], 0 offset:12
	buffer_store_dword v87, off, s[0:3], 0 offset:8
.LBB106_424:
	s_or_b64 exec, exec, s[4:5]
	buffer_load_dword v87, off, s[0:3], 0 offset:16
	buffer_load_dword v88, off, s[0:3], 0 offset:20
	v_cndmask_b32_e64 v92, 0, 1, s[10:11]
	v_cmp_gt_u32_e32 vcc, 2, v0
	v_cmp_ne_u32_e64 s[4:5], 1, v92
	s_waitcnt vmcnt(0)
	ds_write_b64 v90, v[87:88]
	s_waitcnt lgkmcnt(0)
	; wave barrier
	s_and_saveexec_b64 s[8:9], vcc
	s_cbranch_execz .LBB106_430
; %bb.425:
	s_and_b64 vcc, exec, s[4:5]
	s_cbranch_vccnz .LBB106_427
; %bb.426:
	buffer_load_dword v87, v91, s[0:3], 0 offen
	buffer_load_dword v88, v91, s[0:3], 0 offen offset:4
	ds_read_b64 v[92:93], v90
	s_waitcnt vmcnt(0) lgkmcnt(0)
	v_mul_f64 v[87:88], v[87:88], v[92:93]
	s_cbranch_execz .LBB106_428
	s_branch .LBB106_429
.LBB106_427:
                                        ; implicit-def: $vgpr87_vgpr88
.LBB106_428:
	ds_read_b64 v[87:88], v90
.LBB106_429:
	buffer_load_dword v96, off, s[0:3], 0 offset:8
	buffer_load_dword v97, off, s[0:3], 0 offset:12
	v_mov_b32_e32 v92, 0
	ds_read2_b64 v[92:95], v92 offset0:2 offset1:45
	s_waitcnt vmcnt(0) lgkmcnt(0)
	v_fma_f64 v[94:95], v[96:97], v[94:95], v[87:88]
	v_cndmask_b32_e64 v88, v88, v95, s[6:7]
	v_cndmask_b32_e64 v87, v87, v94, s[6:7]
	v_mul_f64 v[87:88], v[87:88], v[92:93]
	buffer_store_dword v88, off, s[0:3], 0 offset:20
	buffer_store_dword v87, off, s[0:3], 0 offset:16
.LBB106_430:
	s_or_b64 exec, exec, s[8:9]
	buffer_load_dword v87, off, s[0:3], 0 offset:24
	buffer_load_dword v88, off, s[0:3], 0 offset:28
	v_cmp_gt_u32_e32 vcc, 3, v0
	s_waitcnt vmcnt(0)
	ds_write_b64 v90, v[87:88]
	s_waitcnt lgkmcnt(0)
	; wave barrier
	s_and_saveexec_b64 s[8:9], vcc
	s_cbranch_execz .LBB106_438
; %bb.431:
	s_and_b64 vcc, exec, s[4:5]
	s_cbranch_vccnz .LBB106_433
; %bb.432:
	buffer_load_dword v87, v91, s[0:3], 0 offen
	buffer_load_dword v88, v91, s[0:3], 0 offen offset:4
	ds_read_b64 v[92:93], v90
	s_waitcnt vmcnt(0) lgkmcnt(0)
	v_mul_f64 v[87:88], v[87:88], v[92:93]
	s_cbranch_execz .LBB106_434
	s_branch .LBB106_435
.LBB106_433:
                                        ; implicit-def: $vgpr87_vgpr88
.LBB106_434:
	ds_read_b64 v[87:88], v90
.LBB106_435:
	v_cmp_ne_u32_e32 vcc, 2, v0
	s_and_saveexec_b64 s[10:11], vcc
	s_cbranch_execz .LBB106_437
; %bb.436:
	buffer_load_dword v92, v91, s[0:3], 0 offen offset:8
	buffer_load_dword v93, v91, s[0:3], 0 offen offset:12
	buffer_load_dword v94, off, s[0:3], 0 offset:16
	buffer_load_dword v95, off, s[0:3], 0 offset:20
	ds_read_b64 v[96:97], v90 offset:8
	v_mov_b32_e32 v98, 0
	ds_read_b64 v[98:99], v98 offset:368
	s_waitcnt vmcnt(2) lgkmcnt(1)
	v_fma_f64 v[87:88], v[92:93], v[96:97], v[87:88]
	s_waitcnt vmcnt(0) lgkmcnt(0)
	v_fma_f64 v[92:93], v[94:95], v[98:99], v[87:88]
	v_cndmask_b32_e64 v88, v88, v93, s[6:7]
	v_cndmask_b32_e64 v87, v87, v92, s[6:7]
.LBB106_437:
	s_or_b64 exec, exec, s[10:11]
	v_mov_b32_e32 v92, 0
	ds_read_b64 v[92:93], v92 offset:24
	s_waitcnt lgkmcnt(0)
	v_mul_f64 v[87:88], v[87:88], v[92:93]
	buffer_store_dword v88, off, s[0:3], 0 offset:28
	buffer_store_dword v87, off, s[0:3], 0 offset:24
.LBB106_438:
	s_or_b64 exec, exec, s[8:9]
	buffer_load_dword v87, off, s[0:3], 0 offset:32
	buffer_load_dword v88, off, s[0:3], 0 offset:36
	v_cmp_gt_u32_e32 vcc, 4, v0
	s_waitcnt vmcnt(0)
	ds_write_b64 v90, v[87:88]
	s_waitcnt lgkmcnt(0)
	; wave barrier
	s_and_saveexec_b64 s[6:7], vcc
	s_cbranch_execz .LBB106_448
; %bb.439:
	s_and_b64 vcc, exec, s[4:5]
	s_cbranch_vccnz .LBB106_441
; %bb.440:
	buffer_load_dword v87, v91, s[0:3], 0 offen
	buffer_load_dword v88, v91, s[0:3], 0 offen offset:4
	ds_read_b64 v[92:93], v90
	s_waitcnt vmcnt(0) lgkmcnt(0)
	v_mul_f64 v[87:88], v[87:88], v[92:93]
	s_cbranch_execz .LBB106_442
	s_branch .LBB106_443
.LBB106_441:
                                        ; implicit-def: $vgpr87_vgpr88
.LBB106_442:
	ds_read_b64 v[87:88], v90
.LBB106_443:
	v_cmp_ne_u32_e32 vcc, 3, v0
	s_and_saveexec_b64 s[8:9], vcc
	s_cbranch_execz .LBB106_447
; %bb.444:
	s_mov_b32 s10, 0
	v_add_u32_e32 v92, 0x168, v89
	v_add3_u32 v93, v89, s10, 8
	s_mov_b64 s[10:11], 0
	v_mov_b32_e32 v94, v0
.LBB106_445:                            ; =>This Inner Loop Header: Depth=1
	buffer_load_dword v95, v93, s[0:3], 0 offen
	buffer_load_dword v96, v93, s[0:3], 0 offen offset:4
	ds_read_b64 v[97:98], v92
	v_add_u32_e32 v94, 1, v94
	v_cmp_lt_u32_e32 vcc, 2, v94
	v_add_u32_e32 v92, 8, v92
	s_or_b64 s[10:11], vcc, s[10:11]
	v_add_u32_e32 v93, 8, v93
	s_waitcnt vmcnt(0) lgkmcnt(0)
	v_fma_f64 v[87:88], v[95:96], v[97:98], v[87:88]
	s_andn2_b64 exec, exec, s[10:11]
	s_cbranch_execnz .LBB106_445
; %bb.446:
	s_or_b64 exec, exec, s[10:11]
.LBB106_447:
	s_or_b64 exec, exec, s[8:9]
	v_mov_b32_e32 v92, 0
	ds_read_b64 v[92:93], v92 offset:32
	s_waitcnt lgkmcnt(0)
	v_mul_f64 v[87:88], v[87:88], v[92:93]
	buffer_store_dword v88, off, s[0:3], 0 offset:36
	buffer_store_dword v87, off, s[0:3], 0 offset:32
.LBB106_448:
	s_or_b64 exec, exec, s[6:7]
	buffer_load_dword v87, off, s[0:3], 0 offset:40
	buffer_load_dword v88, off, s[0:3], 0 offset:44
	v_cmp_gt_u32_e32 vcc, 5, v0
	s_waitcnt vmcnt(0)
	ds_write_b64 v90, v[87:88]
	s_waitcnt lgkmcnt(0)
	; wave barrier
	s_and_saveexec_b64 s[6:7], vcc
	s_cbranch_execz .LBB106_458
; %bb.449:
	s_and_b64 vcc, exec, s[4:5]
	s_cbranch_vccnz .LBB106_451
; %bb.450:
	buffer_load_dword v87, v91, s[0:3], 0 offen
	buffer_load_dword v88, v91, s[0:3], 0 offen offset:4
	ds_read_b64 v[92:93], v90
	s_waitcnt vmcnt(0) lgkmcnt(0)
	v_mul_f64 v[87:88], v[87:88], v[92:93]
	s_cbranch_execz .LBB106_452
	s_branch .LBB106_453
.LBB106_451:
                                        ; implicit-def: $vgpr87_vgpr88
.LBB106_452:
	ds_read_b64 v[87:88], v90
.LBB106_453:
	v_cmp_ne_u32_e32 vcc, 4, v0
	s_and_saveexec_b64 s[8:9], vcc
	s_cbranch_execz .LBB106_457
; %bb.454:
	s_mov_b32 s10, 0
	v_add_u32_e32 v92, 0x168, v89
	v_add3_u32 v93, v89, s10, 8
	s_mov_b64 s[10:11], 0
	v_mov_b32_e32 v94, v0
.LBB106_455:                            ; =>This Inner Loop Header: Depth=1
	buffer_load_dword v95, v93, s[0:3], 0 offen
	buffer_load_dword v96, v93, s[0:3], 0 offen offset:4
	ds_read_b64 v[97:98], v92
	v_add_u32_e32 v94, 1, v94
	v_cmp_lt_u32_e32 vcc, 3, v94
	v_add_u32_e32 v92, 8, v92
	s_or_b64 s[10:11], vcc, s[10:11]
	v_add_u32_e32 v93, 8, v93
	s_waitcnt vmcnt(0) lgkmcnt(0)
	v_fma_f64 v[87:88], v[95:96], v[97:98], v[87:88]
	s_andn2_b64 exec, exec, s[10:11]
	s_cbranch_execnz .LBB106_455
; %bb.456:
	s_or_b64 exec, exec, s[10:11]
.LBB106_457:
	s_or_b64 exec, exec, s[8:9]
	v_mov_b32_e32 v92, 0
	ds_read_b64 v[92:93], v92 offset:40
	s_waitcnt lgkmcnt(0)
	v_mul_f64 v[87:88], v[87:88], v[92:93]
	buffer_store_dword v88, off, s[0:3], 0 offset:44
	buffer_store_dword v87, off, s[0:3], 0 offset:40
.LBB106_458:
	;; [unrolled: 59-line block ×37, first 2 shown]
	s_or_b64 exec, exec, s[6:7]
	buffer_load_dword v87, off, s[0:3], 0 offset:328
	buffer_load_dword v88, off, s[0:3], 0 offset:332
	v_cmp_gt_u32_e64 s[6:7], 41, v0
	s_waitcnt vmcnt(0)
	ds_write_b64 v90, v[87:88]
	s_waitcnt lgkmcnt(0)
	; wave barrier
	s_and_saveexec_b64 s[8:9], s[6:7]
	s_cbranch_execz .LBB106_818
; %bb.809:
	s_and_b64 vcc, exec, s[4:5]
	s_cbranch_vccnz .LBB106_811
; %bb.810:
	buffer_load_dword v87, v91, s[0:3], 0 offen
	buffer_load_dword v88, v91, s[0:3], 0 offen offset:4
	ds_read_b64 v[92:93], v90
	s_waitcnt vmcnt(0) lgkmcnt(0)
	v_mul_f64 v[87:88], v[87:88], v[92:93]
	s_cbranch_execz .LBB106_812
	s_branch .LBB106_813
.LBB106_811:
                                        ; implicit-def: $vgpr87_vgpr88
.LBB106_812:
	ds_read_b64 v[87:88], v90
.LBB106_813:
	v_cmp_ne_u32_e32 vcc, 40, v0
	s_and_saveexec_b64 s[10:11], vcc
	s_cbranch_execz .LBB106_817
; %bb.814:
	s_mov_b32 s12, 0
	v_add_u32_e32 v92, 0x168, v89
	v_add3_u32 v93, v89, s12, 8
	s_mov_b64 s[12:13], 0
	v_mov_b32_e32 v94, v0
.LBB106_815:                            ; =>This Inner Loop Header: Depth=1
	buffer_load_dword v95, v93, s[0:3], 0 offen
	buffer_load_dword v96, v93, s[0:3], 0 offen offset:4
	ds_read_b64 v[97:98], v92
	v_add_u32_e32 v94, 1, v94
	v_cmp_lt_u32_e32 vcc, 39, v94
	v_add_u32_e32 v92, 8, v92
	s_or_b64 s[12:13], vcc, s[12:13]
	v_add_u32_e32 v93, 8, v93
	s_waitcnt vmcnt(0) lgkmcnt(0)
	v_fma_f64 v[87:88], v[95:96], v[97:98], v[87:88]
	s_andn2_b64 exec, exec, s[12:13]
	s_cbranch_execnz .LBB106_815
; %bb.816:
	s_or_b64 exec, exec, s[12:13]
.LBB106_817:
	s_or_b64 exec, exec, s[10:11]
	v_mov_b32_e32 v92, 0
	ds_read_b64 v[92:93], v92 offset:328
	s_waitcnt lgkmcnt(0)
	v_mul_f64 v[87:88], v[87:88], v[92:93]
	buffer_store_dword v88, off, s[0:3], 0 offset:332
	buffer_store_dword v87, off, s[0:3], 0 offset:328
.LBB106_818:
	s_or_b64 exec, exec, s[8:9]
	buffer_load_dword v87, off, s[0:3], 0 offset:336
	buffer_load_dword v88, off, s[0:3], 0 offset:340
	v_cmp_ne_u32_e32 vcc, 42, v0
	s_waitcnt vmcnt(0)
	ds_write_b64 v90, v[87:88]
	s_waitcnt lgkmcnt(0)
	; wave barrier
	s_and_saveexec_b64 s[8:9], vcc
	s_cbranch_execz .LBB106_828
; %bb.819:
	s_and_b64 vcc, exec, s[4:5]
	s_cbranch_vccnz .LBB106_821
; %bb.820:
	buffer_load_dword v87, v91, s[0:3], 0 offen
	buffer_load_dword v88, v91, s[0:3], 0 offen offset:4
	ds_read_b64 v[91:92], v90
	s_waitcnt vmcnt(0) lgkmcnt(0)
	v_mul_f64 v[87:88], v[87:88], v[91:92]
	s_cbranch_execz .LBB106_822
	s_branch .LBB106_823
.LBB106_821:
                                        ; implicit-def: $vgpr87_vgpr88
.LBB106_822:
	ds_read_b64 v[87:88], v90
.LBB106_823:
	s_and_saveexec_b64 s[4:5], s[6:7]
	s_cbranch_execz .LBB106_827
; %bb.824:
	s_mov_b32 s6, 0
	v_add_u32_e32 v90, 0x168, v89
	v_add3_u32 v89, v89, s6, 8
	s_mov_b64 s[6:7], 0
.LBB106_825:                            ; =>This Inner Loop Header: Depth=1
	buffer_load_dword v91, v89, s[0:3], 0 offen
	buffer_load_dword v92, v89, s[0:3], 0 offen offset:4
	ds_read_b64 v[93:94], v90
	v_add_u32_e32 v0, 1, v0
	v_cmp_lt_u32_e32 vcc, 40, v0
	v_add_u32_e32 v90, 8, v90
	s_or_b64 s[6:7], vcc, s[6:7]
	v_add_u32_e32 v89, 8, v89
	s_waitcnt vmcnt(0) lgkmcnt(0)
	v_fma_f64 v[87:88], v[91:92], v[93:94], v[87:88]
	s_andn2_b64 exec, exec, s[6:7]
	s_cbranch_execnz .LBB106_825
; %bb.826:
	s_or_b64 exec, exec, s[6:7]
.LBB106_827:
	s_or_b64 exec, exec, s[4:5]
	v_mov_b32_e32 v0, 0
	ds_read_b64 v[89:90], v0 offset:336
	s_waitcnt lgkmcnt(0)
	v_mul_f64 v[87:88], v[87:88], v[89:90]
	buffer_store_dword v88, off, s[0:3], 0 offset:340
	buffer_store_dword v87, off, s[0:3], 0 offset:336
.LBB106_828:
	s_or_b64 exec, exec, s[8:9]
.LBB106_829:
	buffer_load_dword v87, off, s[0:3], 0
	buffer_load_dword v88, off, s[0:3], 0 offset:4
	s_waitcnt vmcnt(0)
	flat_store_dwordx2 v[1:2], v[87:88]
	buffer_load_dword v0, off, s[0:3], 0 offset:8
	s_nop 0
	buffer_load_dword v1, off, s[0:3], 0 offset:12
	s_waitcnt vmcnt(0)
	flat_store_dwordx2 v[3:4], v[0:1]
	buffer_load_dword v0, off, s[0:3], 0 offset:16
	s_nop 0
	;; [unrolled: 5-line block ×42, first 2 shown]
	buffer_load_dword v1, off, s[0:3], 0 offset:340
	s_waitcnt vmcnt(0)
	flat_store_dwordx2 v[85:86], v[0:1]
.LBB106_830:
	s_endpgm
	.section	.rodata,"a",@progbits
	.p2align	6, 0x0
	.amdhsa_kernel _ZN9rocsolver6v33100L18trti2_kernel_smallILi43EdPKPdEEv13rocblas_fill_17rocblas_diagonal_T1_iil
		.amdhsa_group_segment_fixed_size 696
		.amdhsa_private_segment_fixed_size 352
		.amdhsa_kernarg_size 32
		.amdhsa_user_sgpr_count 6
		.amdhsa_user_sgpr_private_segment_buffer 1
		.amdhsa_user_sgpr_dispatch_ptr 0
		.amdhsa_user_sgpr_queue_ptr 0
		.amdhsa_user_sgpr_kernarg_segment_ptr 1
		.amdhsa_user_sgpr_dispatch_id 0
		.amdhsa_user_sgpr_flat_scratch_init 0
		.amdhsa_user_sgpr_private_segment_size 0
		.amdhsa_uses_dynamic_stack 0
		.amdhsa_system_sgpr_private_segment_wavefront_offset 1
		.amdhsa_system_sgpr_workgroup_id_x 1
		.amdhsa_system_sgpr_workgroup_id_y 0
		.amdhsa_system_sgpr_workgroup_id_z 0
		.amdhsa_system_sgpr_workgroup_info 0
		.amdhsa_system_vgpr_workitem_id 0
		.amdhsa_next_free_vgpr 100
		.amdhsa_next_free_sgpr 56
		.amdhsa_reserve_vcc 1
		.amdhsa_reserve_flat_scratch 0
		.amdhsa_float_round_mode_32 0
		.amdhsa_float_round_mode_16_64 0
		.amdhsa_float_denorm_mode_32 3
		.amdhsa_float_denorm_mode_16_64 3
		.amdhsa_dx10_clamp 1
		.amdhsa_ieee_mode 1
		.amdhsa_fp16_overflow 0
		.amdhsa_exception_fp_ieee_invalid_op 0
		.amdhsa_exception_fp_denorm_src 0
		.amdhsa_exception_fp_ieee_div_zero 0
		.amdhsa_exception_fp_ieee_overflow 0
		.amdhsa_exception_fp_ieee_underflow 0
		.amdhsa_exception_fp_ieee_inexact 0
		.amdhsa_exception_int_div_zero 0
	.end_amdhsa_kernel
	.section	.text._ZN9rocsolver6v33100L18trti2_kernel_smallILi43EdPKPdEEv13rocblas_fill_17rocblas_diagonal_T1_iil,"axG",@progbits,_ZN9rocsolver6v33100L18trti2_kernel_smallILi43EdPKPdEEv13rocblas_fill_17rocblas_diagonal_T1_iil,comdat
.Lfunc_end106:
	.size	_ZN9rocsolver6v33100L18trti2_kernel_smallILi43EdPKPdEEv13rocblas_fill_17rocblas_diagonal_T1_iil, .Lfunc_end106-_ZN9rocsolver6v33100L18trti2_kernel_smallILi43EdPKPdEEv13rocblas_fill_17rocblas_diagonal_T1_iil
                                        ; -- End function
	.set _ZN9rocsolver6v33100L18trti2_kernel_smallILi43EdPKPdEEv13rocblas_fill_17rocblas_diagonal_T1_iil.num_vgpr, 100
	.set _ZN9rocsolver6v33100L18trti2_kernel_smallILi43EdPKPdEEv13rocblas_fill_17rocblas_diagonal_T1_iil.num_agpr, 0
	.set _ZN9rocsolver6v33100L18trti2_kernel_smallILi43EdPKPdEEv13rocblas_fill_17rocblas_diagonal_T1_iil.numbered_sgpr, 56
	.set _ZN9rocsolver6v33100L18trti2_kernel_smallILi43EdPKPdEEv13rocblas_fill_17rocblas_diagonal_T1_iil.num_named_barrier, 0
	.set _ZN9rocsolver6v33100L18trti2_kernel_smallILi43EdPKPdEEv13rocblas_fill_17rocblas_diagonal_T1_iil.private_seg_size, 352
	.set _ZN9rocsolver6v33100L18trti2_kernel_smallILi43EdPKPdEEv13rocblas_fill_17rocblas_diagonal_T1_iil.uses_vcc, 1
	.set _ZN9rocsolver6v33100L18trti2_kernel_smallILi43EdPKPdEEv13rocblas_fill_17rocblas_diagonal_T1_iil.uses_flat_scratch, 0
	.set _ZN9rocsolver6v33100L18trti2_kernel_smallILi43EdPKPdEEv13rocblas_fill_17rocblas_diagonal_T1_iil.has_dyn_sized_stack, 0
	.set _ZN9rocsolver6v33100L18trti2_kernel_smallILi43EdPKPdEEv13rocblas_fill_17rocblas_diagonal_T1_iil.has_recursion, 0
	.set _ZN9rocsolver6v33100L18trti2_kernel_smallILi43EdPKPdEEv13rocblas_fill_17rocblas_diagonal_T1_iil.has_indirect_call, 0
	.section	.AMDGPU.csdata,"",@progbits
; Kernel info:
; codeLenInByte = 25424
; TotalNumSgprs: 60
; NumVgprs: 100
; ScratchSize: 352
; MemoryBound: 0
; FloatMode: 240
; IeeeMode: 1
; LDSByteSize: 696 bytes/workgroup (compile time only)
; SGPRBlocks: 7
; VGPRBlocks: 24
; NumSGPRsForWavesPerEU: 60
; NumVGPRsForWavesPerEU: 100
; Occupancy: 2
; WaveLimiterHint : 1
; COMPUTE_PGM_RSRC2:SCRATCH_EN: 1
; COMPUTE_PGM_RSRC2:USER_SGPR: 6
; COMPUTE_PGM_RSRC2:TRAP_HANDLER: 0
; COMPUTE_PGM_RSRC2:TGID_X_EN: 1
; COMPUTE_PGM_RSRC2:TGID_Y_EN: 0
; COMPUTE_PGM_RSRC2:TGID_Z_EN: 0
; COMPUTE_PGM_RSRC2:TIDIG_COMP_CNT: 0
	.section	.text._ZN9rocsolver6v33100L18trti2_kernel_smallILi44EdPKPdEEv13rocblas_fill_17rocblas_diagonal_T1_iil,"axG",@progbits,_ZN9rocsolver6v33100L18trti2_kernel_smallILi44EdPKPdEEv13rocblas_fill_17rocblas_diagonal_T1_iil,comdat
	.globl	_ZN9rocsolver6v33100L18trti2_kernel_smallILi44EdPKPdEEv13rocblas_fill_17rocblas_diagonal_T1_iil ; -- Begin function _ZN9rocsolver6v33100L18trti2_kernel_smallILi44EdPKPdEEv13rocblas_fill_17rocblas_diagonal_T1_iil
	.p2align	8
	.type	_ZN9rocsolver6v33100L18trti2_kernel_smallILi44EdPKPdEEv13rocblas_fill_17rocblas_diagonal_T1_iil,@function
_ZN9rocsolver6v33100L18trti2_kernel_smallILi44EdPKPdEEv13rocblas_fill_17rocblas_diagonal_T1_iil: ; @_ZN9rocsolver6v33100L18trti2_kernel_smallILi44EdPKPdEEv13rocblas_fill_17rocblas_diagonal_T1_iil
; %bb.0:
	s_add_u32 s0, s0, s7
	s_addc_u32 s1, s1, 0
	v_cmp_gt_u32_e32 vcc, 44, v0
	s_and_saveexec_b64 s[8:9], vcc
	s_cbranch_execz .LBB107_850
; %bb.1:
	s_load_dwordx2 s[12:13], s[4:5], 0x10
	s_load_dwordx4 s[8:11], s[4:5], 0x0
	s_ashr_i32 s7, s6, 31
	s_lshl_b64 s[6:7], s[6:7], 3
	v_lshlrev_b32_e32 v91, 3, v0
	s_waitcnt lgkmcnt(0)
	s_ashr_i32 s5, s12, 31
	s_add_u32 s6, s10, s6
	s_addc_u32 s7, s11, s7
	s_load_dwordx2 s[6:7], s[6:7], 0x0
	s_mov_b32 s4, s12
	s_lshl_b64 s[4:5], s[4:5], 3
	s_waitcnt lgkmcnt(0)
	s_add_u32 s4, s6, s4
	s_addc_u32 s5, s7, s5
	v_mov_b32_e32 v2, s5
	v_add_co_u32_e32 v1, vcc, s4, v91
	v_addc_co_u32_e32 v2, vcc, 0, v2, vcc
	flat_load_dwordx2 v[5:6], v[1:2]
	s_mov_b32 s6, s13
	s_ashr_i32 s7, s13, 31
	s_lshl_b64 s[6:7], s[6:7], 3
	v_mov_b32_e32 v4, s7
	v_add_co_u32_e32 v3, vcc, s6, v1
	v_addc_co_u32_e32 v4, vcc, v2, v4, vcc
	s_add_i32 s6, s13, s13
	v_add_u32_e32 v9, s6, v0
	v_ashrrev_i32_e32 v10, 31, v9
	v_mov_b32_e32 v11, s5
	v_add_u32_e32 v12, s13, v9
	v_ashrrev_i32_e32 v13, 31, v12
	v_mov_b32_e32 v14, s5
	v_mov_b32_e32 v15, s5
	;; [unrolled: 1-line block ×40, first 2 shown]
	s_cmpk_lg_i32 s9, 0x84
	s_cselect_b64 s[10:11], -1, 0
	s_cmpk_eq_i32 s9, 0x84
	s_waitcnt vmcnt(0) lgkmcnt(0)
	buffer_store_dword v6, off, s[0:3], 0 offset:4
	buffer_store_dword v5, off, s[0:3], 0
	flat_load_dwordx2 v[7:8], v[3:4]
	v_lshlrev_b64 v[5:6], 3, v[9:10]
	s_waitcnt vmcnt(0) lgkmcnt(0)
	buffer_store_dword v8, off, s[0:3], 0 offset:12
	buffer_store_dword v7, off, s[0:3], 0 offset:8
	v_add_co_u32_e32 v5, vcc, s4, v5
	v_addc_co_u32_e32 v6, vcc, v11, v6, vcc
	flat_load_dwordx2 v[10:11], v[5:6]
	v_lshlrev_b64 v[7:8], 3, v[12:13]
	s_waitcnt vmcnt(0) lgkmcnt(0)
	buffer_store_dword v11, off, s[0:3], 0 offset:20
	buffer_store_dword v10, off, s[0:3], 0 offset:16
	v_add_co_u32_e32 v7, vcc, s4, v7
	v_addc_co_u32_e32 v8, vcc, v14, v8, vcc
	flat_load_dwordx2 v[13:14], v[7:8]
	v_add_u32_e32 v11, s13, v12
	v_ashrrev_i32_e32 v12, 31, v11
	v_lshlrev_b64 v[9:10], 3, v[11:12]
	s_waitcnt vmcnt(0) lgkmcnt(0)
	buffer_store_dword v14, off, s[0:3], 0 offset:28
	buffer_store_dword v13, off, s[0:3], 0 offset:24
	v_add_co_u32_e32 v9, vcc, s4, v9
	v_addc_co_u32_e32 v10, vcc, v15, v10, vcc
	flat_load_dwordx2 v[13:14], v[9:10]
	v_add_u32_e32 v15, s13, v11
	v_ashrrev_i32_e32 v16, 31, v15
	v_lshlrev_b64 v[11:12], 3, v[15:16]
	v_add_u32_e32 v18, s13, v15
	v_add_co_u32_e32 v11, vcc, s4, v11
	v_addc_co_u32_e32 v12, vcc, v17, v12, vcc
	v_ashrrev_i32_e32 v19, 31, v18
	s_waitcnt vmcnt(0) lgkmcnt(0)
	buffer_store_dword v14, off, s[0:3], 0 offset:36
	buffer_store_dword v13, off, s[0:3], 0 offset:32
	flat_load_dwordx2 v[16:17], v[11:12]
	v_lshlrev_b64 v[13:14], 3, v[18:19]
	s_waitcnt vmcnt(0) lgkmcnt(0)
	buffer_store_dword v17, off, s[0:3], 0 offset:44
	buffer_store_dword v16, off, s[0:3], 0 offset:40
	v_add_co_u32_e32 v13, vcc, s4, v13
	v_addc_co_u32_e32 v14, vcc, v20, v14, vcc
	flat_load_dwordx2 v[19:20], v[13:14]
	v_add_u32_e32 v17, s13, v18
	v_ashrrev_i32_e32 v18, 31, v17
	v_lshlrev_b64 v[15:16], 3, v[17:18]
	s_waitcnt vmcnt(0) lgkmcnt(0)
	buffer_store_dword v20, off, s[0:3], 0 offset:52
	buffer_store_dword v19, off, s[0:3], 0 offset:48
	v_add_co_u32_e32 v15, vcc, s4, v15
	v_addc_co_u32_e32 v16, vcc, v21, v16, vcc
	flat_load_dwordx2 v[19:20], v[15:16]
	v_add_u32_e32 v21, s13, v17
	v_ashrrev_i32_e32 v22, 31, v21
	v_lshlrev_b64 v[17:18], 3, v[21:22]
	v_add_u32_e32 v24, s13, v21
	v_add_co_u32_e32 v17, vcc, s4, v17
	v_addc_co_u32_e32 v18, vcc, v23, v18, vcc
	v_ashrrev_i32_e32 v25, 31, v24
	s_waitcnt vmcnt(0) lgkmcnt(0)
	buffer_store_dword v20, off, s[0:3], 0 offset:60
	buffer_store_dword v19, off, s[0:3], 0 offset:56
	;; [unrolled: 27-line block ×7, first 2 shown]
	flat_load_dwordx2 v[52:53], v[47:48]
	v_lshlrev_b64 v[49:50], 3, v[54:55]
	s_waitcnt vmcnt(0) lgkmcnt(0)
	buffer_store_dword v53, off, s[0:3], 0 offset:188
	buffer_store_dword v52, off, s[0:3], 0 offset:184
	v_add_co_u32_e32 v49, vcc, s4, v49
	v_addc_co_u32_e32 v50, vcc, v56, v50, vcc
	flat_load_dwordx2 v[55:56], v[49:50]
	v_add_u32_e32 v53, s13, v54
	v_ashrrev_i32_e32 v54, 31, v53
	v_lshlrev_b64 v[51:52], 3, v[53:54]
	s_waitcnt vmcnt(0) lgkmcnt(0)
	buffer_store_dword v56, off, s[0:3], 0 offset:196
	buffer_store_dword v55, off, s[0:3], 0 offset:192
	v_add_co_u32_e32 v51, vcc, s4, v51
	v_addc_co_u32_e32 v52, vcc, v57, v52, vcc
	flat_load_dwordx2 v[55:56], v[51:52]
	v_add_u32_e32 v57, s13, v53
	v_ashrrev_i32_e32 v58, 31, v57
	v_lshlrev_b64 v[53:54], 3, v[57:58]
	v_add_u32_e32 v60, s13, v57
	v_add_co_u32_e32 v53, vcc, s4, v53
	v_addc_co_u32_e32 v54, vcc, v59, v54, vcc
	s_waitcnt vmcnt(0) lgkmcnt(0)
	buffer_store_dword v56, off, s[0:3], 0 offset:204
	buffer_store_dword v55, off, s[0:3], 0 offset:200
	flat_load_dwordx2 v[58:59], v[53:54]
	v_ashrrev_i32_e32 v61, 31, v60
	v_lshlrev_b64 v[55:56], 3, v[60:61]
	s_waitcnt vmcnt(0) lgkmcnt(0)
	buffer_store_dword v59, off, s[0:3], 0 offset:212
	buffer_store_dword v58, off, s[0:3], 0 offset:208
	v_add_co_u32_e32 v55, vcc, s4, v55
	v_addc_co_u32_e32 v56, vcc, v62, v56, vcc
	flat_load_dwordx2 v[61:62], v[55:56]
	v_add_u32_e32 v59, s13, v60
	v_ashrrev_i32_e32 v60, 31, v59
	v_lshlrev_b64 v[57:58], 3, v[59:60]
	s_waitcnt vmcnt(0) lgkmcnt(0)
	buffer_store_dword v62, off, s[0:3], 0 offset:220
	buffer_store_dword v61, off, s[0:3], 0 offset:216
	v_add_co_u32_e32 v57, vcc, s4, v57
	v_addc_co_u32_e32 v58, vcc, v63, v58, vcc
	flat_load_dwordx2 v[61:62], v[57:58]
	v_add_u32_e32 v63, s13, v59
	;; [unrolled: 9-line block ×16, first 2 shown]
	v_ashrrev_i32_e32 v88, 31, v87
	v_lshlrev_b64 v[87:88], 3, v[87:88]
	v_mov_b32_e32 v93, s5
	v_add_co_u32_e32 v87, vcc, s4, v87
	v_addc_co_u32_e32 v88, vcc, v93, v88, vcc
	s_waitcnt vmcnt(0) lgkmcnt(0)
	buffer_store_dword v90, off, s[0:3], 0 offset:340
	buffer_store_dword v89, off, s[0:3], 0 offset:336
	flat_load_dwordx2 v[92:93], v[87:88]
	v_mov_b32_e32 v89, 0
	v_mov_b32_e32 v90, 0xbff00000
	s_waitcnt vmcnt(0) lgkmcnt(0)
	buffer_store_dword v93, off, s[0:3], 0 offset:348
	buffer_store_dword v92, off, s[0:3], 0 offset:344
	s_cbranch_scc1 .LBB107_3
; %bb.2:
	v_mov_b32_e32 v89, 0
	v_lshl_add_u32 v100, v0, 3, v89
	buffer_load_dword v89, v100, s[0:3], 0 offen
	buffer_load_dword v90, v100, s[0:3], 0 offen offset:4
	s_waitcnt vmcnt(0)
	v_div_scale_f64 v[92:93], s[4:5], v[89:90], v[89:90], 1.0
	v_rcp_f64_e32 v[94:95], v[92:93]
	v_fma_f64 v[96:97], -v[92:93], v[94:95], 1.0
	v_fma_f64 v[94:95], v[94:95], v[96:97], v[94:95]
	v_div_scale_f64 v[96:97], vcc, 1.0, v[89:90], 1.0
	v_fma_f64 v[98:99], -v[92:93], v[94:95], 1.0
	v_fma_f64 v[94:95], v[94:95], v[98:99], v[94:95]
	v_mul_f64 v[98:99], v[96:97], v[94:95]
	v_fma_f64 v[92:93], -v[92:93], v[98:99], v[96:97]
	v_div_fmas_f64 v[92:93], v[92:93], v[94:95], v[98:99]
	v_div_fixup_f64 v[89:90], v[92:93], v[89:90], 1.0
	buffer_store_dword v89, v100, s[0:3], 0 offen
	buffer_store_dword v90, v100, s[0:3], 0 offen offset:4
	v_xor_b32_e32 v90, 0x80000000, v90
.LBB107_3:
	s_cmpk_eq_i32 s8, 0x79
	v_add_u32_e32 v92, 0x160, v91
	v_mov_b32_e32 v93, v91
	s_mov_b64 s[4:5], -1
	ds_write_b64 v91, v[89:90]
	s_cbranch_scc1 .LBB107_427
; %bb.4:
	buffer_load_dword v89, off, s[0:3], 0 offset:336
	buffer_load_dword v90, off, s[0:3], 0 offset:340
	s_movk_i32 s12, 0x48
	s_movk_i32 s13, 0x50
	;; [unrolled: 1-line block ×33, first 2 shown]
	v_cmp_eq_u32_e64 s[4:5], 43, v0
	s_waitcnt vmcnt(0)
	ds_write_b64 v92, v[89:90]
	s_waitcnt lgkmcnt(0)
	; wave barrier
	s_and_saveexec_b64 s[6:7], s[4:5]
	s_cbranch_execz .LBB107_10
; %bb.5:
	s_and_b64 vcc, exec, s[10:11]
	s_cbranch_vccz .LBB107_7
; %bb.6:
	buffer_load_dword v89, v93, s[0:3], 0 offen
	buffer_load_dword v90, v93, s[0:3], 0 offen offset:4
	ds_read_b64 v[94:95], v92
	s_waitcnt vmcnt(0) lgkmcnt(0)
	v_mul_f64 v[89:90], v[89:90], v[94:95]
	s_cbranch_execz .LBB107_8
	s_branch .LBB107_9
.LBB107_7:
                                        ; implicit-def: $vgpr89_vgpr90
.LBB107_8:
	ds_read_b64 v[89:90], v92
.LBB107_9:
	v_mov_b32_e32 v94, 0
	ds_read_b64 v[94:95], v94 offset:336
	s_waitcnt lgkmcnt(0)
	v_mul_f64 v[89:90], v[89:90], v[94:95]
	buffer_store_dword v90, off, s[0:3], 0 offset:340
	buffer_store_dword v89, off, s[0:3], 0 offset:336
.LBB107_10:
	s_or_b64 exec, exec, s[6:7]
	buffer_load_dword v89, off, s[0:3], 0 offset:328
	buffer_load_dword v90, off, s[0:3], 0 offset:332
	s_or_b32 s14, 0, 8
	s_mov_b32 s15, 16
	s_mov_b32 s16, 24
	;; [unrolled: 1-line block ×9, first 2 shown]
	v_cmp_lt_u32_e64 s[6:7], 41, v0
	s_waitcnt vmcnt(0)
	ds_write_b64 v92, v[89:90]
	s_waitcnt lgkmcnt(0)
	; wave barrier
	s_and_saveexec_b64 s[8:9], s[6:7]
	s_cbranch_execz .LBB107_16
; %bb.11:
	s_andn2_b64 vcc, exec, s[10:11]
	s_cbranch_vccnz .LBB107_13
; %bb.12:
	buffer_load_dword v89, v93, s[0:3], 0 offen
	buffer_load_dword v90, v93, s[0:3], 0 offen offset:4
	ds_read_b64 v[94:95], v92
	s_waitcnt vmcnt(0) lgkmcnt(0)
	v_mul_f64 v[89:90], v[89:90], v[94:95]
	s_cbranch_execz .LBB107_14
	s_branch .LBB107_15
.LBB107_13:
                                        ; implicit-def: $vgpr89_vgpr90
.LBB107_14:
	ds_read_b64 v[89:90], v92
.LBB107_15:
	buffer_load_dword v98, off, s[0:3], 0 offset:336
	buffer_load_dword v99, off, s[0:3], 0 offset:340
	v_mov_b32_e32 v94, 0
	ds_read2_b64 v[94:97], v94 offset0:41 offset1:86
	s_waitcnt vmcnt(0) lgkmcnt(0)
	v_fma_f64 v[96:97], v[98:99], v[96:97], v[89:90]
	v_cndmask_b32_e64 v90, v90, v97, s[4:5]
	v_cndmask_b32_e64 v89, v89, v96, s[4:5]
	v_mul_f64 v[89:90], v[89:90], v[94:95]
	buffer_store_dword v90, off, s[0:3], 0 offset:332
	buffer_store_dword v89, off, s[0:3], 0 offset:328
.LBB107_16:
	s_or_b64 exec, exec, s[8:9]
	buffer_load_dword v89, off, s[0:3], 0 offset:320
	buffer_load_dword v90, off, s[0:3], 0 offset:324
	v_cmp_lt_u32_e64 s[4:5], 40, v0
	s_waitcnt vmcnt(0)
	ds_write_b64 v92, v[89:90]
	s_waitcnt lgkmcnt(0)
	; wave barrier
	s_and_saveexec_b64 s[8:9], s[4:5]
	s_cbranch_execz .LBB107_26
; %bb.17:
	s_andn2_b64 vcc, exec, s[10:11]
	s_cbranch_vccnz .LBB107_19
; %bb.18:
	buffer_load_dword v89, v93, s[0:3], 0 offen
	buffer_load_dword v90, v93, s[0:3], 0 offen offset:4
	ds_read_b64 v[94:95], v92
	s_waitcnt vmcnt(0) lgkmcnt(0)
	v_mul_f64 v[89:90], v[89:90], v[94:95]
	s_cbranch_execz .LBB107_20
	s_branch .LBB107_21
.LBB107_19:
                                        ; implicit-def: $vgpr89_vgpr90
.LBB107_20:
	ds_read_b64 v[89:90], v92
.LBB107_21:
	s_and_saveexec_b64 s[12:13], s[6:7]
	s_cbranch_execz .LBB107_25
; %bb.22:
	v_subrev_u32_e32 v94, 41, v0
	s_movk_i32 s56, 0x2a8
	s_mov_b64 s[6:7], 0
.LBB107_23:                             ; =>This Inner Loop Header: Depth=1
	v_mov_b32_e32 v96, s55
	buffer_load_dword v95, v96, s[0:3], 0 offen
	s_nop 0
	buffer_load_dword v96, v96, s[0:3], 0 offen offset:4
	v_mov_b32_e32 v97, s56
	ds_read_b64 v[97:98], v97
	v_add_u32_e32 v94, -1, v94
	s_add_i32 s56, s56, 8
	s_add_i32 s55, s55, 8
	v_cmp_eq_u32_e32 vcc, 0, v94
	s_or_b64 s[6:7], vcc, s[6:7]
	s_waitcnt vmcnt(0) lgkmcnt(0)
	v_fma_f64 v[89:90], v[95:96], v[97:98], v[89:90]
	s_andn2_b64 exec, exec, s[6:7]
	s_cbranch_execnz .LBB107_23
; %bb.24:
	s_or_b64 exec, exec, s[6:7]
.LBB107_25:
	s_or_b64 exec, exec, s[12:13]
	v_mov_b32_e32 v94, 0
	ds_read_b64 v[94:95], v94 offset:320
	s_waitcnt lgkmcnt(0)
	v_mul_f64 v[89:90], v[89:90], v[94:95]
	buffer_store_dword v90, off, s[0:3], 0 offset:324
	buffer_store_dword v89, off, s[0:3], 0 offset:320
.LBB107_26:
	s_or_b64 exec, exec, s[8:9]
	buffer_load_dword v89, off, s[0:3], 0 offset:312
	buffer_load_dword v90, off, s[0:3], 0 offset:316
	v_cmp_lt_u32_e64 s[6:7], 39, v0
	s_waitcnt vmcnt(0)
	ds_write_b64 v92, v[89:90]
	s_waitcnt lgkmcnt(0)
	; wave barrier
	s_and_saveexec_b64 s[8:9], s[6:7]
	s_cbranch_execz .LBB107_36
; %bb.27:
	s_andn2_b64 vcc, exec, s[10:11]
	s_cbranch_vccnz .LBB107_29
; %bb.28:
	buffer_load_dword v89, v93, s[0:3], 0 offen
	buffer_load_dword v90, v93, s[0:3], 0 offen offset:4
	ds_read_b64 v[94:95], v92
	s_waitcnt vmcnt(0) lgkmcnt(0)
	v_mul_f64 v[89:90], v[89:90], v[94:95]
	s_cbranch_execz .LBB107_30
	s_branch .LBB107_31
.LBB107_29:
                                        ; implicit-def: $vgpr89_vgpr90
.LBB107_30:
	ds_read_b64 v[89:90], v92
.LBB107_31:
	s_and_saveexec_b64 s[12:13], s[4:5]
	s_cbranch_execz .LBB107_35
; %bb.32:
	v_subrev_u32_e32 v94, 40, v0
	s_movk_i32 s55, 0x2a0
	s_mov_b64 s[4:5], 0
.LBB107_33:                             ; =>This Inner Loop Header: Depth=1
	v_mov_b32_e32 v96, s54
	buffer_load_dword v95, v96, s[0:3], 0 offen
	s_nop 0
	buffer_load_dword v96, v96, s[0:3], 0 offen offset:4
	v_mov_b32_e32 v97, s55
	ds_read_b64 v[97:98], v97
	v_add_u32_e32 v94, -1, v94
	s_add_i32 s55, s55, 8
	s_add_i32 s54, s54, 8
	v_cmp_eq_u32_e32 vcc, 0, v94
	s_or_b64 s[4:5], vcc, s[4:5]
	s_waitcnt vmcnt(0) lgkmcnt(0)
	v_fma_f64 v[89:90], v[95:96], v[97:98], v[89:90]
	s_andn2_b64 exec, exec, s[4:5]
	s_cbranch_execnz .LBB107_33
; %bb.34:
	s_or_b64 exec, exec, s[4:5]
.LBB107_35:
	s_or_b64 exec, exec, s[12:13]
	v_mov_b32_e32 v94, 0
	ds_read_b64 v[94:95], v94 offset:312
	s_waitcnt lgkmcnt(0)
	v_mul_f64 v[89:90], v[89:90], v[94:95]
	buffer_store_dword v90, off, s[0:3], 0 offset:316
	buffer_store_dword v89, off, s[0:3], 0 offset:312
.LBB107_36:
	;; [unrolled: 59-line block ×5, first 2 shown]
	s_or_b64 exec, exec, s[4:5]
	buffer_load_dword v89, off, s[0:3], 0 offset:280
	buffer_load_dword v90, off, s[0:3], 0 offset:284
	v_cmp_lt_u32_e64 s[4:5], 35, v0
	s_waitcnt vmcnt(0)
	ds_write_b64 v92, v[89:90]
	s_waitcnt lgkmcnt(0)
	; wave barrier
	s_and_saveexec_b64 s[6:7], s[4:5]
	s_cbranch_execz .LBB107_76
; %bb.67:
	s_andn2_b64 vcc, exec, s[10:11]
	s_cbranch_vccnz .LBB107_69
; %bb.68:
	buffer_load_dword v89, v93, s[0:3], 0 offen
	buffer_load_dword v90, v93, s[0:3], 0 offen offset:4
	ds_read_b64 v[94:95], v92
	s_waitcnt vmcnt(0) lgkmcnt(0)
	v_mul_f64 v[89:90], v[89:90], v[94:95]
	s_cbranch_execz .LBB107_70
	s_branch .LBB107_71
.LBB107_69:
                                        ; implicit-def: $vgpr89_vgpr90
.LBB107_70:
	ds_read_b64 v[89:90], v92
.LBB107_71:
	s_and_saveexec_b64 s[12:13], s[8:9]
	s_cbranch_execz .LBB107_75
; %bb.72:
	v_subrev_u32_e32 v94, 36, v0
	s_movk_i32 s51, 0x280
	s_mov_b64 s[8:9], 0
.LBB107_73:                             ; =>This Inner Loop Header: Depth=1
	v_mov_b32_e32 v97, s50
	buffer_load_dword v95, v97, s[0:3], 0 offen
	buffer_load_dword v96, v97, s[0:3], 0 offen offset:4
	v_mov_b32_e32 v97, s51
	ds_read_b64 v[97:98], v97
	v_add_u32_e32 v94, -1, v94
	s_add_i32 s51, s51, 8
	s_add_i32 s50, s50, 8
	v_cmp_eq_u32_e32 vcc, 0, v94
	s_or_b64 s[8:9], vcc, s[8:9]
	s_waitcnt vmcnt(0) lgkmcnt(0)
	v_fma_f64 v[89:90], v[95:96], v[97:98], v[89:90]
	s_andn2_b64 exec, exec, s[8:9]
	s_cbranch_execnz .LBB107_73
; %bb.74:
	s_or_b64 exec, exec, s[8:9]
.LBB107_75:
	s_or_b64 exec, exec, s[12:13]
	v_mov_b32_e32 v94, 0
	ds_read_b64 v[94:95], v94 offset:280
	s_waitcnt lgkmcnt(0)
	v_mul_f64 v[89:90], v[89:90], v[94:95]
	buffer_store_dword v90, off, s[0:3], 0 offset:284
	buffer_store_dword v89, off, s[0:3], 0 offset:280
.LBB107_76:
	s_or_b64 exec, exec, s[6:7]
	buffer_load_dword v89, off, s[0:3], 0 offset:272
	buffer_load_dword v90, off, s[0:3], 0 offset:276
	v_cmp_lt_u32_e64 s[6:7], 34, v0
	s_waitcnt vmcnt(0)
	ds_write_b64 v92, v[89:90]
	s_waitcnt lgkmcnt(0)
	; wave barrier
	s_and_saveexec_b64 s[8:9], s[6:7]
	s_cbranch_execz .LBB107_86
; %bb.77:
	s_andn2_b64 vcc, exec, s[10:11]
	s_cbranch_vccnz .LBB107_79
; %bb.78:
	buffer_load_dword v89, v93, s[0:3], 0 offen
	buffer_load_dword v90, v93, s[0:3], 0 offen offset:4
	ds_read_b64 v[94:95], v92
	s_waitcnt vmcnt(0) lgkmcnt(0)
	v_mul_f64 v[89:90], v[89:90], v[94:95]
	s_cbranch_execz .LBB107_80
	s_branch .LBB107_81
.LBB107_79:
                                        ; implicit-def: $vgpr89_vgpr90
.LBB107_80:
	ds_read_b64 v[89:90], v92
.LBB107_81:
	s_and_saveexec_b64 s[12:13], s[4:5]
	s_cbranch_execz .LBB107_85
; %bb.82:
	v_subrev_u32_e32 v94, 35, v0
	s_movk_i32 s50, 0x278
	s_mov_b64 s[4:5], 0
.LBB107_83:                             ; =>This Inner Loop Header: Depth=1
	v_mov_b32_e32 v97, s49
	buffer_load_dword v95, v97, s[0:3], 0 offen
	buffer_load_dword v96, v97, s[0:3], 0 offen offset:4
	v_mov_b32_e32 v97, s50
	ds_read_b64 v[97:98], v97
	v_add_u32_e32 v94, -1, v94
	s_add_i32 s50, s50, 8
	s_add_i32 s49, s49, 8
	v_cmp_eq_u32_e32 vcc, 0, v94
	s_or_b64 s[4:5], vcc, s[4:5]
	s_waitcnt vmcnt(0) lgkmcnt(0)
	v_fma_f64 v[89:90], v[95:96], v[97:98], v[89:90]
	s_andn2_b64 exec, exec, s[4:5]
	s_cbranch_execnz .LBB107_83
; %bb.84:
	s_or_b64 exec, exec, s[4:5]
.LBB107_85:
	s_or_b64 exec, exec, s[12:13]
	v_mov_b32_e32 v94, 0
	ds_read_b64 v[94:95], v94 offset:272
	s_waitcnt lgkmcnt(0)
	v_mul_f64 v[89:90], v[89:90], v[94:95]
	buffer_store_dword v90, off, s[0:3], 0 offset:276
	buffer_store_dword v89, off, s[0:3], 0 offset:272
.LBB107_86:
	;; [unrolled: 58-line block ×3, first 2 shown]
	s_or_b64 exec, exec, s[8:9]
	buffer_load_dword v89, off, s[0:3], 0 offset:256
	buffer_load_dword v90, off, s[0:3], 0 offset:260
	v_cmp_lt_u32_e64 s[6:7], 32, v0
	s_waitcnt vmcnt(0)
	ds_write_b64 v92, v[89:90]
	s_waitcnt lgkmcnt(0)
	; wave barrier
	s_and_saveexec_b64 s[8:9], s[6:7]
	s_cbranch_execz .LBB107_106
; %bb.97:
	s_andn2_b64 vcc, exec, s[10:11]
	s_cbranch_vccnz .LBB107_99
; %bb.98:
	buffer_load_dword v89, v93, s[0:3], 0 offen
	buffer_load_dword v90, v93, s[0:3], 0 offen offset:4
	ds_read_b64 v[94:95], v92
	s_waitcnt vmcnt(0) lgkmcnt(0)
	v_mul_f64 v[89:90], v[89:90], v[94:95]
	s_cbranch_execz .LBB107_100
	s_branch .LBB107_101
.LBB107_99:
                                        ; implicit-def: $vgpr89_vgpr90
.LBB107_100:
	ds_read_b64 v[89:90], v92
.LBB107_101:
	s_and_saveexec_b64 s[12:13], s[4:5]
	s_cbranch_execz .LBB107_105
; %bb.102:
	v_subrev_u32_e32 v94, 33, v0
	s_movk_i32 s48, 0x268
	s_mov_b64 s[4:5], 0
.LBB107_103:                            ; =>This Inner Loop Header: Depth=1
	v_mov_b32_e32 v97, s47
	buffer_load_dword v95, v97, s[0:3], 0 offen
	buffer_load_dword v96, v97, s[0:3], 0 offen offset:4
	v_mov_b32_e32 v97, s48
	ds_read_b64 v[97:98], v97
	v_add_u32_e32 v94, -1, v94
	s_add_i32 s48, s48, 8
	s_add_i32 s47, s47, 8
	v_cmp_eq_u32_e32 vcc, 0, v94
	s_or_b64 s[4:5], vcc, s[4:5]
	s_waitcnt vmcnt(0) lgkmcnt(0)
	v_fma_f64 v[89:90], v[95:96], v[97:98], v[89:90]
	s_andn2_b64 exec, exec, s[4:5]
	s_cbranch_execnz .LBB107_103
; %bb.104:
	s_or_b64 exec, exec, s[4:5]
.LBB107_105:
	s_or_b64 exec, exec, s[12:13]
	v_mov_b32_e32 v94, 0
	ds_read_b64 v[94:95], v94 offset:256
	s_waitcnt lgkmcnt(0)
	v_mul_f64 v[89:90], v[89:90], v[94:95]
	buffer_store_dword v90, off, s[0:3], 0 offset:260
	buffer_store_dword v89, off, s[0:3], 0 offset:256
.LBB107_106:
	s_or_b64 exec, exec, s[8:9]
	buffer_load_dword v89, off, s[0:3], 0 offset:248
	buffer_load_dword v90, off, s[0:3], 0 offset:252
	v_cmp_lt_u32_e64 s[4:5], 31, v0
	s_waitcnt vmcnt(0)
	ds_write_b64 v92, v[89:90]
	s_waitcnt lgkmcnt(0)
	; wave barrier
	s_and_saveexec_b64 s[8:9], s[4:5]
	s_cbranch_execz .LBB107_116
; %bb.107:
	s_andn2_b64 vcc, exec, s[10:11]
	s_cbranch_vccnz .LBB107_109
; %bb.108:
	buffer_load_dword v89, v93, s[0:3], 0 offen
	buffer_load_dword v90, v93, s[0:3], 0 offen offset:4
	ds_read_b64 v[94:95], v92
	s_waitcnt vmcnt(0) lgkmcnt(0)
	v_mul_f64 v[89:90], v[89:90], v[94:95]
	s_cbranch_execz .LBB107_110
	s_branch .LBB107_111
.LBB107_109:
                                        ; implicit-def: $vgpr89_vgpr90
.LBB107_110:
	ds_read_b64 v[89:90], v92
.LBB107_111:
	s_and_saveexec_b64 s[12:13], s[6:7]
	s_cbranch_execz .LBB107_115
; %bb.112:
	v_subrev_u32_e32 v94, 32, v0
	s_movk_i32 s47, 0x260
	s_mov_b64 s[6:7], 0
.LBB107_113:                            ; =>This Inner Loop Header: Depth=1
	v_mov_b32_e32 v97, s46
	buffer_load_dword v95, v97, s[0:3], 0 offen
	buffer_load_dword v96, v97, s[0:3], 0 offen offset:4
	v_mov_b32_e32 v97, s47
	ds_read_b64 v[97:98], v97
	v_add_u32_e32 v94, -1, v94
	s_add_i32 s47, s47, 8
	s_add_i32 s46, s46, 8
	v_cmp_eq_u32_e32 vcc, 0, v94
	s_or_b64 s[6:7], vcc, s[6:7]
	s_waitcnt vmcnt(0) lgkmcnt(0)
	v_fma_f64 v[89:90], v[95:96], v[97:98], v[89:90]
	s_andn2_b64 exec, exec, s[6:7]
	s_cbranch_execnz .LBB107_113
; %bb.114:
	s_or_b64 exec, exec, s[6:7]
.LBB107_115:
	s_or_b64 exec, exec, s[12:13]
	v_mov_b32_e32 v94, 0
	ds_read_b64 v[94:95], v94 offset:248
	s_waitcnt lgkmcnt(0)
	v_mul_f64 v[89:90], v[89:90], v[94:95]
	buffer_store_dword v90, off, s[0:3], 0 offset:252
	buffer_store_dword v89, off, s[0:3], 0 offset:248
.LBB107_116:
	;; [unrolled: 58-line block ×17, first 2 shown]
	s_or_b64 exec, exec, s[8:9]
	buffer_load_dword v89, off, s[0:3], 0 offset:120
	buffer_load_dword v90, off, s[0:3], 0 offset:124
	v_cmp_lt_u32_e64 s[4:5], 15, v0
	s_waitcnt vmcnt(0)
	ds_write_b64 v92, v[89:90]
	s_waitcnt lgkmcnt(0)
	; wave barrier
	s_and_saveexec_b64 s[8:9], s[4:5]
	s_cbranch_execz .LBB107_276
; %bb.267:
	s_andn2_b64 vcc, exec, s[10:11]
	s_cbranch_vccnz .LBB107_269
; %bb.268:
	buffer_load_dword v89, v93, s[0:3], 0 offen
	buffer_load_dword v90, v93, s[0:3], 0 offen offset:4
	ds_read_b64 v[94:95], v92
	s_waitcnt vmcnt(0) lgkmcnt(0)
	v_mul_f64 v[89:90], v[89:90], v[94:95]
	s_cbranch_execz .LBB107_270
	s_branch .LBB107_271
.LBB107_269:
                                        ; implicit-def: $vgpr89_vgpr90
.LBB107_270:
	ds_read_b64 v[89:90], v92
.LBB107_271:
	s_and_saveexec_b64 s[12:13], s[6:7]
	s_cbranch_execz .LBB107_275
; %bb.272:
	v_add_u32_e32 v94, -16, v0
	s_movk_i32 s30, 0x1e0
	s_mov_b64 s[6:7], 0
.LBB107_273:                            ; =>This Inner Loop Header: Depth=1
	v_mov_b32_e32 v97, s29
	buffer_load_dword v95, v97, s[0:3], 0 offen
	buffer_load_dword v96, v97, s[0:3], 0 offen offset:4
	v_mov_b32_e32 v97, s30
	ds_read_b64 v[97:98], v97
	v_add_u32_e32 v94, -1, v94
	s_add_i32 s30, s30, 8
	s_add_i32 s29, s29, 8
	v_cmp_eq_u32_e32 vcc, 0, v94
	s_or_b64 s[6:7], vcc, s[6:7]
	s_waitcnt vmcnt(0) lgkmcnt(0)
	v_fma_f64 v[89:90], v[95:96], v[97:98], v[89:90]
	s_andn2_b64 exec, exec, s[6:7]
	s_cbranch_execnz .LBB107_273
; %bb.274:
	s_or_b64 exec, exec, s[6:7]
.LBB107_275:
	s_or_b64 exec, exec, s[12:13]
	v_mov_b32_e32 v94, 0
	ds_read_b64 v[94:95], v94 offset:120
	s_waitcnt lgkmcnt(0)
	v_mul_f64 v[89:90], v[89:90], v[94:95]
	buffer_store_dword v90, off, s[0:3], 0 offset:124
	buffer_store_dword v89, off, s[0:3], 0 offset:120
.LBB107_276:
	s_or_b64 exec, exec, s[8:9]
	buffer_load_dword v89, off, s[0:3], 0 offset:112
	buffer_load_dword v90, off, s[0:3], 0 offset:116
	v_cmp_lt_u32_e64 s[6:7], 14, v0
	s_waitcnt vmcnt(0)
	ds_write_b64 v92, v[89:90]
	s_waitcnt lgkmcnt(0)
	; wave barrier
	s_and_saveexec_b64 s[8:9], s[6:7]
	s_cbranch_execz .LBB107_286
; %bb.277:
	s_andn2_b64 vcc, exec, s[10:11]
	s_cbranch_vccnz .LBB107_279
; %bb.278:
	buffer_load_dword v89, v93, s[0:3], 0 offen
	buffer_load_dword v90, v93, s[0:3], 0 offen offset:4
	ds_read_b64 v[94:95], v92
	s_waitcnt vmcnt(0) lgkmcnt(0)
	v_mul_f64 v[89:90], v[89:90], v[94:95]
	s_cbranch_execz .LBB107_280
	s_branch .LBB107_281
.LBB107_279:
                                        ; implicit-def: $vgpr89_vgpr90
.LBB107_280:
	ds_read_b64 v[89:90], v92
.LBB107_281:
	s_and_saveexec_b64 s[12:13], s[4:5]
	s_cbranch_execz .LBB107_285
; %bb.282:
	v_add_u32_e32 v94, -15, v0
	s_movk_i32 s29, 0x1d8
	s_mov_b64 s[4:5], 0
.LBB107_283:                            ; =>This Inner Loop Header: Depth=1
	v_mov_b32_e32 v97, s28
	buffer_load_dword v95, v97, s[0:3], 0 offen
	buffer_load_dword v96, v97, s[0:3], 0 offen offset:4
	v_mov_b32_e32 v97, s29
	ds_read_b64 v[97:98], v97
	v_add_u32_e32 v94, -1, v94
	s_add_i32 s29, s29, 8
	s_add_i32 s28, s28, 8
	v_cmp_eq_u32_e32 vcc, 0, v94
	s_or_b64 s[4:5], vcc, s[4:5]
	s_waitcnt vmcnt(0) lgkmcnt(0)
	v_fma_f64 v[89:90], v[95:96], v[97:98], v[89:90]
	s_andn2_b64 exec, exec, s[4:5]
	s_cbranch_execnz .LBB107_283
; %bb.284:
	s_or_b64 exec, exec, s[4:5]
.LBB107_285:
	s_or_b64 exec, exec, s[12:13]
	v_mov_b32_e32 v94, 0
	ds_read_b64 v[94:95], v94 offset:112
	s_waitcnt lgkmcnt(0)
	v_mul_f64 v[89:90], v[89:90], v[94:95]
	buffer_store_dword v90, off, s[0:3], 0 offset:116
	buffer_store_dword v89, off, s[0:3], 0 offset:112
.LBB107_286:
	;; [unrolled: 58-line block ×15, first 2 shown]
	s_or_b64 exec, exec, s[8:9]
	buffer_load_dword v89, off, s[0:3], 0
	buffer_load_dword v90, off, s[0:3], 0 offset:4
	v_cmp_ne_u32_e32 vcc, 0, v0
	s_waitcnt vmcnt(0)
	ds_write_b64 v92, v[89:90]
	s_waitcnt lgkmcnt(0)
	; wave barrier
	s_and_saveexec_b64 s[6:7], vcc
	s_cbranch_execz .LBB107_426
; %bb.417:
	s_andn2_b64 vcc, exec, s[10:11]
	s_cbranch_vccnz .LBB107_419
; %bb.418:
	buffer_load_dword v89, v93, s[0:3], 0 offen
	buffer_load_dword v90, v93, s[0:3], 0 offen offset:4
	ds_read_b64 v[94:95], v92
	s_waitcnt vmcnt(0) lgkmcnt(0)
	v_mul_f64 v[89:90], v[89:90], v[94:95]
	s_cbranch_execz .LBB107_420
	s_branch .LBB107_421
.LBB107_419:
                                        ; implicit-def: $vgpr89_vgpr90
.LBB107_420:
	ds_read_b64 v[89:90], v92
.LBB107_421:
	s_and_saveexec_b64 s[8:9], s[4:5]
	s_cbranch_execz .LBB107_425
; %bb.422:
	v_add_u32_e32 v94, -1, v0
	s_movk_i32 s12, 0x168
	s_mov_b64 s[4:5], 0
.LBB107_423:                            ; =>This Inner Loop Header: Depth=1
	v_mov_b32_e32 v97, s14
	buffer_load_dword v95, v97, s[0:3], 0 offen
	buffer_load_dword v96, v97, s[0:3], 0 offen offset:4
	v_mov_b32_e32 v97, s12
	ds_read_b64 v[97:98], v97
	v_add_u32_e32 v94, -1, v94
	s_add_i32 s12, s12, 8
	s_add_i32 s14, s14, 8
	v_cmp_eq_u32_e32 vcc, 0, v94
	s_or_b64 s[4:5], vcc, s[4:5]
	s_waitcnt vmcnt(0) lgkmcnt(0)
	v_fma_f64 v[89:90], v[95:96], v[97:98], v[89:90]
	s_andn2_b64 exec, exec, s[4:5]
	s_cbranch_execnz .LBB107_423
; %bb.424:
	s_or_b64 exec, exec, s[4:5]
.LBB107_425:
	s_or_b64 exec, exec, s[8:9]
	v_mov_b32_e32 v94, 0
	ds_read_b64 v[94:95], v94
	s_waitcnt lgkmcnt(0)
	v_mul_f64 v[89:90], v[89:90], v[94:95]
	buffer_store_dword v90, off, s[0:3], 0 offset:4
	buffer_store_dword v89, off, s[0:3], 0
.LBB107_426:
	s_or_b64 exec, exec, s[6:7]
	s_mov_b64 s[4:5], 0
.LBB107_427:
	s_and_b64 vcc, exec, s[4:5]
	s_cbranch_vccz .LBB107_849
; %bb.428:
	buffer_load_dword v89, off, s[0:3], 0 offset:8
	buffer_load_dword v90, off, s[0:3], 0 offset:12
	v_cmp_eq_u32_e64 s[6:7], 0, v0
	s_waitcnt vmcnt(0)
	ds_write_b64 v92, v[89:90]
	s_waitcnt lgkmcnt(0)
	; wave barrier
	s_and_saveexec_b64 s[4:5], s[6:7]
	s_cbranch_execz .LBB107_434
; %bb.429:
	s_and_b64 vcc, exec, s[10:11]
	s_cbranch_vccz .LBB107_431
; %bb.430:
	buffer_load_dword v89, v93, s[0:3], 0 offen
	buffer_load_dword v90, v93, s[0:3], 0 offen offset:4
	ds_read_b64 v[94:95], v92
	s_waitcnt vmcnt(0) lgkmcnt(0)
	v_mul_f64 v[89:90], v[89:90], v[94:95]
	s_cbranch_execz .LBB107_432
	s_branch .LBB107_433
.LBB107_431:
                                        ; implicit-def: $vgpr89_vgpr90
.LBB107_432:
	ds_read_b64 v[89:90], v92
.LBB107_433:
	v_mov_b32_e32 v94, 0
	ds_read_b64 v[94:95], v94 offset:8
	s_waitcnt lgkmcnt(0)
	v_mul_f64 v[89:90], v[89:90], v[94:95]
	buffer_store_dword v90, off, s[0:3], 0 offset:12
	buffer_store_dword v89, off, s[0:3], 0 offset:8
.LBB107_434:
	s_or_b64 exec, exec, s[4:5]
	buffer_load_dword v89, off, s[0:3], 0 offset:16
	buffer_load_dword v90, off, s[0:3], 0 offset:20
	v_cndmask_b32_e64 v94, 0, 1, s[10:11]
	v_cmp_gt_u32_e32 vcc, 2, v0
	v_cmp_ne_u32_e64 s[4:5], 1, v94
	s_waitcnt vmcnt(0)
	ds_write_b64 v92, v[89:90]
	s_waitcnt lgkmcnt(0)
	; wave barrier
	s_and_saveexec_b64 s[8:9], vcc
	s_cbranch_execz .LBB107_440
; %bb.435:
	s_and_b64 vcc, exec, s[4:5]
	s_cbranch_vccnz .LBB107_437
; %bb.436:
	buffer_load_dword v89, v93, s[0:3], 0 offen
	buffer_load_dword v90, v93, s[0:3], 0 offen offset:4
	ds_read_b64 v[94:95], v92
	s_waitcnt vmcnt(0) lgkmcnt(0)
	v_mul_f64 v[89:90], v[89:90], v[94:95]
	s_cbranch_execz .LBB107_438
	s_branch .LBB107_439
.LBB107_437:
                                        ; implicit-def: $vgpr89_vgpr90
.LBB107_438:
	ds_read_b64 v[89:90], v92
.LBB107_439:
	buffer_load_dword v98, off, s[0:3], 0 offset:8
	buffer_load_dword v99, off, s[0:3], 0 offset:12
	v_mov_b32_e32 v94, 0
	ds_read2_b64 v[94:97], v94 offset0:2 offset1:45
	s_waitcnt vmcnt(0) lgkmcnt(0)
	v_fma_f64 v[96:97], v[98:99], v[96:97], v[89:90]
	v_cndmask_b32_e64 v90, v90, v97, s[6:7]
	v_cndmask_b32_e64 v89, v89, v96, s[6:7]
	v_mul_f64 v[89:90], v[89:90], v[94:95]
	buffer_store_dword v90, off, s[0:3], 0 offset:20
	buffer_store_dword v89, off, s[0:3], 0 offset:16
.LBB107_440:
	s_or_b64 exec, exec, s[8:9]
	buffer_load_dword v89, off, s[0:3], 0 offset:24
	buffer_load_dword v90, off, s[0:3], 0 offset:28
	v_cmp_gt_u32_e32 vcc, 3, v0
	s_waitcnt vmcnt(0)
	ds_write_b64 v92, v[89:90]
	s_waitcnt lgkmcnt(0)
	; wave barrier
	s_and_saveexec_b64 s[8:9], vcc
	s_cbranch_execz .LBB107_448
; %bb.441:
	s_and_b64 vcc, exec, s[4:5]
	s_cbranch_vccnz .LBB107_443
; %bb.442:
	buffer_load_dword v89, v93, s[0:3], 0 offen
	buffer_load_dword v90, v93, s[0:3], 0 offen offset:4
	ds_read_b64 v[94:95], v92
	s_waitcnt vmcnt(0) lgkmcnt(0)
	v_mul_f64 v[89:90], v[89:90], v[94:95]
	s_cbranch_execz .LBB107_444
	s_branch .LBB107_445
.LBB107_443:
                                        ; implicit-def: $vgpr89_vgpr90
.LBB107_444:
	ds_read_b64 v[89:90], v92
.LBB107_445:
	v_cmp_ne_u32_e32 vcc, 2, v0
	s_and_saveexec_b64 s[10:11], vcc
	s_cbranch_execz .LBB107_447
; %bb.446:
	buffer_load_dword v94, v93, s[0:3], 0 offen offset:8
	buffer_load_dword v95, v93, s[0:3], 0 offen offset:12
	buffer_load_dword v96, off, s[0:3], 0 offset:16
	buffer_load_dword v97, off, s[0:3], 0 offset:20
	ds_read_b64 v[98:99], v92 offset:8
	v_mov_b32_e32 v100, 0
	ds_read_b64 v[100:101], v100 offset:368
	s_waitcnt vmcnt(2) lgkmcnt(1)
	v_fma_f64 v[89:90], v[94:95], v[98:99], v[89:90]
	s_waitcnt vmcnt(0) lgkmcnt(0)
	v_fma_f64 v[94:95], v[96:97], v[100:101], v[89:90]
	v_cndmask_b32_e64 v90, v90, v95, s[6:7]
	v_cndmask_b32_e64 v89, v89, v94, s[6:7]
.LBB107_447:
	s_or_b64 exec, exec, s[10:11]
	v_mov_b32_e32 v94, 0
	ds_read_b64 v[94:95], v94 offset:24
	s_waitcnt lgkmcnt(0)
	v_mul_f64 v[89:90], v[89:90], v[94:95]
	buffer_store_dword v90, off, s[0:3], 0 offset:28
	buffer_store_dword v89, off, s[0:3], 0 offset:24
.LBB107_448:
	s_or_b64 exec, exec, s[8:9]
	buffer_load_dword v89, off, s[0:3], 0 offset:32
	buffer_load_dword v90, off, s[0:3], 0 offset:36
	v_cmp_gt_u32_e32 vcc, 4, v0
	s_waitcnt vmcnt(0)
	ds_write_b64 v92, v[89:90]
	s_waitcnt lgkmcnt(0)
	; wave barrier
	s_and_saveexec_b64 s[6:7], vcc
	s_cbranch_execz .LBB107_458
; %bb.449:
	s_and_b64 vcc, exec, s[4:5]
	s_cbranch_vccnz .LBB107_451
; %bb.450:
	buffer_load_dword v89, v93, s[0:3], 0 offen
	buffer_load_dword v90, v93, s[0:3], 0 offen offset:4
	ds_read_b64 v[94:95], v92
	s_waitcnt vmcnt(0) lgkmcnt(0)
	v_mul_f64 v[89:90], v[89:90], v[94:95]
	s_cbranch_execz .LBB107_452
	s_branch .LBB107_453
.LBB107_451:
                                        ; implicit-def: $vgpr89_vgpr90
.LBB107_452:
	ds_read_b64 v[89:90], v92
.LBB107_453:
	v_cmp_ne_u32_e32 vcc, 3, v0
	s_and_saveexec_b64 s[8:9], vcc
	s_cbranch_execz .LBB107_457
; %bb.454:
	s_mov_b32 s10, 0
	v_add_u32_e32 v94, 0x168, v91
	v_add3_u32 v95, v91, s10, 8
	s_mov_b64 s[10:11], 0
	v_mov_b32_e32 v96, v0
.LBB107_455:                            ; =>This Inner Loop Header: Depth=1
	buffer_load_dword v97, v95, s[0:3], 0 offen
	buffer_load_dword v98, v95, s[0:3], 0 offen offset:4
	ds_read_b64 v[99:100], v94
	v_add_u32_e32 v96, 1, v96
	v_cmp_lt_u32_e32 vcc, 2, v96
	v_add_u32_e32 v94, 8, v94
	s_or_b64 s[10:11], vcc, s[10:11]
	v_add_u32_e32 v95, 8, v95
	s_waitcnt vmcnt(0) lgkmcnt(0)
	v_fma_f64 v[89:90], v[97:98], v[99:100], v[89:90]
	s_andn2_b64 exec, exec, s[10:11]
	s_cbranch_execnz .LBB107_455
; %bb.456:
	s_or_b64 exec, exec, s[10:11]
.LBB107_457:
	s_or_b64 exec, exec, s[8:9]
	v_mov_b32_e32 v94, 0
	ds_read_b64 v[94:95], v94 offset:32
	s_waitcnt lgkmcnt(0)
	v_mul_f64 v[89:90], v[89:90], v[94:95]
	buffer_store_dword v90, off, s[0:3], 0 offset:36
	buffer_store_dword v89, off, s[0:3], 0 offset:32
.LBB107_458:
	s_or_b64 exec, exec, s[6:7]
	buffer_load_dword v89, off, s[0:3], 0 offset:40
	buffer_load_dword v90, off, s[0:3], 0 offset:44
	v_cmp_gt_u32_e32 vcc, 5, v0
	s_waitcnt vmcnt(0)
	ds_write_b64 v92, v[89:90]
	s_waitcnt lgkmcnt(0)
	; wave barrier
	s_and_saveexec_b64 s[6:7], vcc
	s_cbranch_execz .LBB107_468
; %bb.459:
	s_and_b64 vcc, exec, s[4:5]
	s_cbranch_vccnz .LBB107_461
; %bb.460:
	buffer_load_dword v89, v93, s[0:3], 0 offen
	buffer_load_dword v90, v93, s[0:3], 0 offen offset:4
	ds_read_b64 v[94:95], v92
	s_waitcnt vmcnt(0) lgkmcnt(0)
	v_mul_f64 v[89:90], v[89:90], v[94:95]
	s_cbranch_execz .LBB107_462
	s_branch .LBB107_463
.LBB107_461:
                                        ; implicit-def: $vgpr89_vgpr90
.LBB107_462:
	ds_read_b64 v[89:90], v92
.LBB107_463:
	v_cmp_ne_u32_e32 vcc, 4, v0
	s_and_saveexec_b64 s[8:9], vcc
	s_cbranch_execz .LBB107_467
; %bb.464:
	s_mov_b32 s10, 0
	v_add_u32_e32 v94, 0x168, v91
	v_add3_u32 v95, v91, s10, 8
	s_mov_b64 s[10:11], 0
	v_mov_b32_e32 v96, v0
.LBB107_465:                            ; =>This Inner Loop Header: Depth=1
	buffer_load_dword v97, v95, s[0:3], 0 offen
	buffer_load_dword v98, v95, s[0:3], 0 offen offset:4
	ds_read_b64 v[99:100], v94
	v_add_u32_e32 v96, 1, v96
	v_cmp_lt_u32_e32 vcc, 3, v96
	v_add_u32_e32 v94, 8, v94
	s_or_b64 s[10:11], vcc, s[10:11]
	v_add_u32_e32 v95, 8, v95
	s_waitcnt vmcnt(0) lgkmcnt(0)
	v_fma_f64 v[89:90], v[97:98], v[99:100], v[89:90]
	s_andn2_b64 exec, exec, s[10:11]
	s_cbranch_execnz .LBB107_465
; %bb.466:
	s_or_b64 exec, exec, s[10:11]
.LBB107_467:
	s_or_b64 exec, exec, s[8:9]
	v_mov_b32_e32 v94, 0
	ds_read_b64 v[94:95], v94 offset:40
	s_waitcnt lgkmcnt(0)
	v_mul_f64 v[89:90], v[89:90], v[94:95]
	buffer_store_dword v90, off, s[0:3], 0 offset:44
	buffer_store_dword v89, off, s[0:3], 0 offset:40
.LBB107_468:
	;; [unrolled: 59-line block ×38, first 2 shown]
	s_or_b64 exec, exec, s[6:7]
	buffer_load_dword v89, off, s[0:3], 0 offset:336
	buffer_load_dword v90, off, s[0:3], 0 offset:340
	v_cmp_gt_u32_e64 s[6:7], 42, v0
	s_waitcnt vmcnt(0)
	ds_write_b64 v92, v[89:90]
	s_waitcnt lgkmcnt(0)
	; wave barrier
	s_and_saveexec_b64 s[8:9], s[6:7]
	s_cbranch_execz .LBB107_838
; %bb.829:
	s_and_b64 vcc, exec, s[4:5]
	s_cbranch_vccnz .LBB107_831
; %bb.830:
	buffer_load_dword v89, v93, s[0:3], 0 offen
	buffer_load_dword v90, v93, s[0:3], 0 offen offset:4
	ds_read_b64 v[94:95], v92
	s_waitcnt vmcnt(0) lgkmcnt(0)
	v_mul_f64 v[89:90], v[89:90], v[94:95]
	s_cbranch_execz .LBB107_832
	s_branch .LBB107_833
.LBB107_831:
                                        ; implicit-def: $vgpr89_vgpr90
.LBB107_832:
	ds_read_b64 v[89:90], v92
.LBB107_833:
	v_cmp_ne_u32_e32 vcc, 41, v0
	s_and_saveexec_b64 s[10:11], vcc
	s_cbranch_execz .LBB107_837
; %bb.834:
	s_mov_b32 s12, 0
	v_add_u32_e32 v94, 0x168, v91
	v_add3_u32 v95, v91, s12, 8
	s_mov_b64 s[12:13], 0
	v_mov_b32_e32 v96, v0
.LBB107_835:                            ; =>This Inner Loop Header: Depth=1
	buffer_load_dword v97, v95, s[0:3], 0 offen
	buffer_load_dword v98, v95, s[0:3], 0 offen offset:4
	ds_read_b64 v[99:100], v94
	v_add_u32_e32 v96, 1, v96
	v_cmp_lt_u32_e32 vcc, 40, v96
	v_add_u32_e32 v94, 8, v94
	s_or_b64 s[12:13], vcc, s[12:13]
	v_add_u32_e32 v95, 8, v95
	s_waitcnt vmcnt(0) lgkmcnt(0)
	v_fma_f64 v[89:90], v[97:98], v[99:100], v[89:90]
	s_andn2_b64 exec, exec, s[12:13]
	s_cbranch_execnz .LBB107_835
; %bb.836:
	s_or_b64 exec, exec, s[12:13]
.LBB107_837:
	s_or_b64 exec, exec, s[10:11]
	v_mov_b32_e32 v94, 0
	ds_read_b64 v[94:95], v94 offset:336
	s_waitcnt lgkmcnt(0)
	v_mul_f64 v[89:90], v[89:90], v[94:95]
	buffer_store_dword v90, off, s[0:3], 0 offset:340
	buffer_store_dword v89, off, s[0:3], 0 offset:336
.LBB107_838:
	s_or_b64 exec, exec, s[8:9]
	buffer_load_dword v89, off, s[0:3], 0 offset:344
	buffer_load_dword v90, off, s[0:3], 0 offset:348
	v_cmp_ne_u32_e32 vcc, 43, v0
	s_waitcnt vmcnt(0)
	ds_write_b64 v92, v[89:90]
	s_waitcnt lgkmcnt(0)
	; wave barrier
	s_and_saveexec_b64 s[8:9], vcc
	s_cbranch_execz .LBB107_848
; %bb.839:
	s_and_b64 vcc, exec, s[4:5]
	s_cbranch_vccnz .LBB107_841
; %bb.840:
	buffer_load_dword v89, v93, s[0:3], 0 offen
	buffer_load_dword v90, v93, s[0:3], 0 offen offset:4
	ds_read_b64 v[93:94], v92
	s_waitcnt vmcnt(0) lgkmcnt(0)
	v_mul_f64 v[89:90], v[89:90], v[93:94]
	s_cbranch_execz .LBB107_842
	s_branch .LBB107_843
.LBB107_841:
                                        ; implicit-def: $vgpr89_vgpr90
.LBB107_842:
	ds_read_b64 v[89:90], v92
.LBB107_843:
	s_and_saveexec_b64 s[4:5], s[6:7]
	s_cbranch_execz .LBB107_847
; %bb.844:
	s_mov_b32 s6, 0
	v_add_u32_e32 v92, 0x168, v91
	v_add3_u32 v91, v91, s6, 8
	s_mov_b64 s[6:7], 0
.LBB107_845:                            ; =>This Inner Loop Header: Depth=1
	buffer_load_dword v93, v91, s[0:3], 0 offen
	buffer_load_dword v94, v91, s[0:3], 0 offen offset:4
	ds_read_b64 v[95:96], v92
	v_add_u32_e32 v0, 1, v0
	v_cmp_lt_u32_e32 vcc, 41, v0
	v_add_u32_e32 v92, 8, v92
	s_or_b64 s[6:7], vcc, s[6:7]
	v_add_u32_e32 v91, 8, v91
	s_waitcnt vmcnt(0) lgkmcnt(0)
	v_fma_f64 v[89:90], v[93:94], v[95:96], v[89:90]
	s_andn2_b64 exec, exec, s[6:7]
	s_cbranch_execnz .LBB107_845
; %bb.846:
	s_or_b64 exec, exec, s[6:7]
.LBB107_847:
	s_or_b64 exec, exec, s[4:5]
	v_mov_b32_e32 v0, 0
	ds_read_b64 v[91:92], v0 offset:344
	s_waitcnt lgkmcnt(0)
	v_mul_f64 v[89:90], v[89:90], v[91:92]
	buffer_store_dword v90, off, s[0:3], 0 offset:348
	buffer_store_dword v89, off, s[0:3], 0 offset:344
.LBB107_848:
	s_or_b64 exec, exec, s[8:9]
.LBB107_849:
	buffer_load_dword v89, off, s[0:3], 0
	buffer_load_dword v90, off, s[0:3], 0 offset:4
	s_waitcnt vmcnt(0)
	flat_store_dwordx2 v[1:2], v[89:90]
	buffer_load_dword v0, off, s[0:3], 0 offset:8
	s_nop 0
	buffer_load_dword v1, off, s[0:3], 0 offset:12
	s_waitcnt vmcnt(0)
	flat_store_dwordx2 v[3:4], v[0:1]
	buffer_load_dword v0, off, s[0:3], 0 offset:16
	s_nop 0
	;; [unrolled: 5-line block ×43, first 2 shown]
	buffer_load_dword v1, off, s[0:3], 0 offset:348
	s_waitcnt vmcnt(0)
	flat_store_dwordx2 v[87:88], v[0:1]
.LBB107_850:
	s_endpgm
	.section	.rodata,"a",@progbits
	.p2align	6, 0x0
	.amdhsa_kernel _ZN9rocsolver6v33100L18trti2_kernel_smallILi44EdPKPdEEv13rocblas_fill_17rocblas_diagonal_T1_iil
		.amdhsa_group_segment_fixed_size 704
		.amdhsa_private_segment_fixed_size 368
		.amdhsa_kernarg_size 32
		.amdhsa_user_sgpr_count 6
		.amdhsa_user_sgpr_private_segment_buffer 1
		.amdhsa_user_sgpr_dispatch_ptr 0
		.amdhsa_user_sgpr_queue_ptr 0
		.amdhsa_user_sgpr_kernarg_segment_ptr 1
		.amdhsa_user_sgpr_dispatch_id 0
		.amdhsa_user_sgpr_flat_scratch_init 0
		.amdhsa_user_sgpr_private_segment_size 0
		.amdhsa_uses_dynamic_stack 0
		.amdhsa_system_sgpr_private_segment_wavefront_offset 1
		.amdhsa_system_sgpr_workgroup_id_x 1
		.amdhsa_system_sgpr_workgroup_id_y 0
		.amdhsa_system_sgpr_workgroup_id_z 0
		.amdhsa_system_sgpr_workgroup_info 0
		.amdhsa_system_vgpr_workitem_id 0
		.amdhsa_next_free_vgpr 102
		.amdhsa_next_free_sgpr 57
		.amdhsa_reserve_vcc 1
		.amdhsa_reserve_flat_scratch 0
		.amdhsa_float_round_mode_32 0
		.amdhsa_float_round_mode_16_64 0
		.amdhsa_float_denorm_mode_32 3
		.amdhsa_float_denorm_mode_16_64 3
		.amdhsa_dx10_clamp 1
		.amdhsa_ieee_mode 1
		.amdhsa_fp16_overflow 0
		.amdhsa_exception_fp_ieee_invalid_op 0
		.amdhsa_exception_fp_denorm_src 0
		.amdhsa_exception_fp_ieee_div_zero 0
		.amdhsa_exception_fp_ieee_overflow 0
		.amdhsa_exception_fp_ieee_underflow 0
		.amdhsa_exception_fp_ieee_inexact 0
		.amdhsa_exception_int_div_zero 0
	.end_amdhsa_kernel
	.section	.text._ZN9rocsolver6v33100L18trti2_kernel_smallILi44EdPKPdEEv13rocblas_fill_17rocblas_diagonal_T1_iil,"axG",@progbits,_ZN9rocsolver6v33100L18trti2_kernel_smallILi44EdPKPdEEv13rocblas_fill_17rocblas_diagonal_T1_iil,comdat
.Lfunc_end107:
	.size	_ZN9rocsolver6v33100L18trti2_kernel_smallILi44EdPKPdEEv13rocblas_fill_17rocblas_diagonal_T1_iil, .Lfunc_end107-_ZN9rocsolver6v33100L18trti2_kernel_smallILi44EdPKPdEEv13rocblas_fill_17rocblas_diagonal_T1_iil
                                        ; -- End function
	.set _ZN9rocsolver6v33100L18trti2_kernel_smallILi44EdPKPdEEv13rocblas_fill_17rocblas_diagonal_T1_iil.num_vgpr, 102
	.set _ZN9rocsolver6v33100L18trti2_kernel_smallILi44EdPKPdEEv13rocblas_fill_17rocblas_diagonal_T1_iil.num_agpr, 0
	.set _ZN9rocsolver6v33100L18trti2_kernel_smallILi44EdPKPdEEv13rocblas_fill_17rocblas_diagonal_T1_iil.numbered_sgpr, 57
	.set _ZN9rocsolver6v33100L18trti2_kernel_smallILi44EdPKPdEEv13rocblas_fill_17rocblas_diagonal_T1_iil.num_named_barrier, 0
	.set _ZN9rocsolver6v33100L18trti2_kernel_smallILi44EdPKPdEEv13rocblas_fill_17rocblas_diagonal_T1_iil.private_seg_size, 368
	.set _ZN9rocsolver6v33100L18trti2_kernel_smallILi44EdPKPdEEv13rocblas_fill_17rocblas_diagonal_T1_iil.uses_vcc, 1
	.set _ZN9rocsolver6v33100L18trti2_kernel_smallILi44EdPKPdEEv13rocblas_fill_17rocblas_diagonal_T1_iil.uses_flat_scratch, 0
	.set _ZN9rocsolver6v33100L18trti2_kernel_smallILi44EdPKPdEEv13rocblas_fill_17rocblas_diagonal_T1_iil.has_dyn_sized_stack, 0
	.set _ZN9rocsolver6v33100L18trti2_kernel_smallILi44EdPKPdEEv13rocblas_fill_17rocblas_diagonal_T1_iil.has_recursion, 0
	.set _ZN9rocsolver6v33100L18trti2_kernel_smallILi44EdPKPdEEv13rocblas_fill_17rocblas_diagonal_T1_iil.has_indirect_call, 0
	.section	.AMDGPU.csdata,"",@progbits
; Kernel info:
; codeLenInByte = 26032
; TotalNumSgprs: 61
; NumVgprs: 102
; ScratchSize: 368
; MemoryBound: 0
; FloatMode: 240
; IeeeMode: 1
; LDSByteSize: 704 bytes/workgroup (compile time only)
; SGPRBlocks: 7
; VGPRBlocks: 25
; NumSGPRsForWavesPerEU: 61
; NumVGPRsForWavesPerEU: 102
; Occupancy: 2
; WaveLimiterHint : 1
; COMPUTE_PGM_RSRC2:SCRATCH_EN: 1
; COMPUTE_PGM_RSRC2:USER_SGPR: 6
; COMPUTE_PGM_RSRC2:TRAP_HANDLER: 0
; COMPUTE_PGM_RSRC2:TGID_X_EN: 1
; COMPUTE_PGM_RSRC2:TGID_Y_EN: 0
; COMPUTE_PGM_RSRC2:TGID_Z_EN: 0
; COMPUTE_PGM_RSRC2:TIDIG_COMP_CNT: 0
	.section	.text._ZN9rocsolver6v33100L18trti2_kernel_smallILi45EdPKPdEEv13rocblas_fill_17rocblas_diagonal_T1_iil,"axG",@progbits,_ZN9rocsolver6v33100L18trti2_kernel_smallILi45EdPKPdEEv13rocblas_fill_17rocblas_diagonal_T1_iil,comdat
	.globl	_ZN9rocsolver6v33100L18trti2_kernel_smallILi45EdPKPdEEv13rocblas_fill_17rocblas_diagonal_T1_iil ; -- Begin function _ZN9rocsolver6v33100L18trti2_kernel_smallILi45EdPKPdEEv13rocblas_fill_17rocblas_diagonal_T1_iil
	.p2align	8
	.type	_ZN9rocsolver6v33100L18trti2_kernel_smallILi45EdPKPdEEv13rocblas_fill_17rocblas_diagonal_T1_iil,@function
_ZN9rocsolver6v33100L18trti2_kernel_smallILi45EdPKPdEEv13rocblas_fill_17rocblas_diagonal_T1_iil: ; @_ZN9rocsolver6v33100L18trti2_kernel_smallILi45EdPKPdEEv13rocblas_fill_17rocblas_diagonal_T1_iil
; %bb.0:
	s_add_u32 s0, s0, s7
	s_addc_u32 s1, s1, 0
	v_cmp_gt_u32_e32 vcc, 45, v0
	s_and_saveexec_b64 s[8:9], vcc
	s_cbranch_execz .LBB108_870
; %bb.1:
	s_load_dwordx2 s[12:13], s[4:5], 0x10
	s_load_dwordx4 s[8:11], s[4:5], 0x0
	s_ashr_i32 s7, s6, 31
	s_lshl_b64 s[6:7], s[6:7], 3
	v_lshlrev_b32_e32 v93, 3, v0
	s_waitcnt lgkmcnt(0)
	s_ashr_i32 s5, s12, 31
	s_add_u32 s6, s10, s6
	s_addc_u32 s7, s11, s7
	s_load_dwordx2 s[6:7], s[6:7], 0x0
	s_mov_b32 s4, s12
	s_lshl_b64 s[4:5], s[4:5], 3
	s_waitcnt lgkmcnt(0)
	s_add_u32 s4, s6, s4
	s_addc_u32 s5, s7, s5
	v_mov_b32_e32 v2, s5
	v_add_co_u32_e32 v1, vcc, s4, v93
	v_addc_co_u32_e32 v2, vcc, 0, v2, vcc
	flat_load_dwordx2 v[5:6], v[1:2]
	s_mov_b32 s6, s13
	s_ashr_i32 s7, s13, 31
	s_lshl_b64 s[6:7], s[6:7], 3
	v_mov_b32_e32 v4, s7
	v_add_co_u32_e32 v3, vcc, s6, v1
	v_addc_co_u32_e32 v4, vcc, v2, v4, vcc
	s_add_i32 s6, s13, s13
	v_add_u32_e32 v9, s6, v0
	v_ashrrev_i32_e32 v10, 31, v9
	v_mov_b32_e32 v11, s5
	v_add_u32_e32 v12, s13, v9
	v_ashrrev_i32_e32 v13, 31, v12
	v_mov_b32_e32 v14, s5
	v_mov_b32_e32 v15, s5
	;; [unrolled: 1-line block ×41, first 2 shown]
	s_cmpk_lg_i32 s9, 0x84
	s_cselect_b64 s[10:11], -1, 0
	s_cmpk_eq_i32 s9, 0x84
	s_waitcnt vmcnt(0) lgkmcnt(0)
	buffer_store_dword v6, off, s[0:3], 0 offset:4
	buffer_store_dword v5, off, s[0:3], 0
	flat_load_dwordx2 v[7:8], v[3:4]
	v_lshlrev_b64 v[5:6], 3, v[9:10]
	s_waitcnt vmcnt(0) lgkmcnt(0)
	buffer_store_dword v8, off, s[0:3], 0 offset:12
	buffer_store_dword v7, off, s[0:3], 0 offset:8
	v_add_co_u32_e32 v5, vcc, s4, v5
	v_addc_co_u32_e32 v6, vcc, v11, v6, vcc
	flat_load_dwordx2 v[10:11], v[5:6]
	v_lshlrev_b64 v[7:8], 3, v[12:13]
	s_waitcnt vmcnt(0) lgkmcnt(0)
	buffer_store_dword v11, off, s[0:3], 0 offset:20
	buffer_store_dword v10, off, s[0:3], 0 offset:16
	v_add_co_u32_e32 v7, vcc, s4, v7
	v_addc_co_u32_e32 v8, vcc, v14, v8, vcc
	flat_load_dwordx2 v[13:14], v[7:8]
	v_add_u32_e32 v11, s13, v12
	v_ashrrev_i32_e32 v12, 31, v11
	v_lshlrev_b64 v[9:10], 3, v[11:12]
	s_waitcnt vmcnt(0) lgkmcnt(0)
	buffer_store_dword v14, off, s[0:3], 0 offset:28
	buffer_store_dword v13, off, s[0:3], 0 offset:24
	v_add_co_u32_e32 v9, vcc, s4, v9
	v_addc_co_u32_e32 v10, vcc, v15, v10, vcc
	flat_load_dwordx2 v[13:14], v[9:10]
	v_add_u32_e32 v15, s13, v11
	v_ashrrev_i32_e32 v16, 31, v15
	v_lshlrev_b64 v[11:12], 3, v[15:16]
	v_add_u32_e32 v18, s13, v15
	v_add_co_u32_e32 v11, vcc, s4, v11
	v_addc_co_u32_e32 v12, vcc, v17, v12, vcc
	v_ashrrev_i32_e32 v19, 31, v18
	s_waitcnt vmcnt(0) lgkmcnt(0)
	buffer_store_dword v14, off, s[0:3], 0 offset:36
	buffer_store_dword v13, off, s[0:3], 0 offset:32
	flat_load_dwordx2 v[16:17], v[11:12]
	v_lshlrev_b64 v[13:14], 3, v[18:19]
	s_waitcnt vmcnt(0) lgkmcnt(0)
	buffer_store_dword v17, off, s[0:3], 0 offset:44
	buffer_store_dword v16, off, s[0:3], 0 offset:40
	v_add_co_u32_e32 v13, vcc, s4, v13
	v_addc_co_u32_e32 v14, vcc, v20, v14, vcc
	flat_load_dwordx2 v[19:20], v[13:14]
	v_add_u32_e32 v17, s13, v18
	v_ashrrev_i32_e32 v18, 31, v17
	v_lshlrev_b64 v[15:16], 3, v[17:18]
	s_waitcnt vmcnt(0) lgkmcnt(0)
	buffer_store_dword v20, off, s[0:3], 0 offset:52
	buffer_store_dword v19, off, s[0:3], 0 offset:48
	v_add_co_u32_e32 v15, vcc, s4, v15
	v_addc_co_u32_e32 v16, vcc, v21, v16, vcc
	flat_load_dwordx2 v[19:20], v[15:16]
	v_add_u32_e32 v21, s13, v17
	v_ashrrev_i32_e32 v22, 31, v21
	v_lshlrev_b64 v[17:18], 3, v[21:22]
	v_add_u32_e32 v24, s13, v21
	v_add_co_u32_e32 v17, vcc, s4, v17
	v_addc_co_u32_e32 v18, vcc, v23, v18, vcc
	v_ashrrev_i32_e32 v25, 31, v24
	s_waitcnt vmcnt(0) lgkmcnt(0)
	buffer_store_dword v20, off, s[0:3], 0 offset:60
	buffer_store_dword v19, off, s[0:3], 0 offset:56
	;; [unrolled: 27-line block ×7, first 2 shown]
	flat_load_dwordx2 v[52:53], v[47:48]
	v_lshlrev_b64 v[49:50], 3, v[54:55]
	s_waitcnt vmcnt(0) lgkmcnt(0)
	buffer_store_dword v53, off, s[0:3], 0 offset:188
	buffer_store_dword v52, off, s[0:3], 0 offset:184
	v_add_co_u32_e32 v49, vcc, s4, v49
	v_addc_co_u32_e32 v50, vcc, v56, v50, vcc
	flat_load_dwordx2 v[55:56], v[49:50]
	v_add_u32_e32 v53, s13, v54
	v_ashrrev_i32_e32 v54, 31, v53
	v_lshlrev_b64 v[51:52], 3, v[53:54]
	s_waitcnt vmcnt(0) lgkmcnt(0)
	buffer_store_dword v56, off, s[0:3], 0 offset:196
	buffer_store_dword v55, off, s[0:3], 0 offset:192
	v_add_co_u32_e32 v51, vcc, s4, v51
	v_addc_co_u32_e32 v52, vcc, v57, v52, vcc
	flat_load_dwordx2 v[55:56], v[51:52]
	v_add_u32_e32 v57, s13, v53
	v_ashrrev_i32_e32 v58, 31, v57
	v_lshlrev_b64 v[53:54], 3, v[57:58]
	v_add_u32_e32 v60, s13, v57
	v_add_co_u32_e32 v53, vcc, s4, v53
	v_addc_co_u32_e32 v54, vcc, v59, v54, vcc
	s_waitcnt vmcnt(0) lgkmcnt(0)
	buffer_store_dword v56, off, s[0:3], 0 offset:204
	buffer_store_dword v55, off, s[0:3], 0 offset:200
	flat_load_dwordx2 v[58:59], v[53:54]
	v_ashrrev_i32_e32 v61, 31, v60
	v_lshlrev_b64 v[55:56], 3, v[60:61]
	s_waitcnt vmcnt(0) lgkmcnt(0)
	buffer_store_dword v59, off, s[0:3], 0 offset:212
	buffer_store_dword v58, off, s[0:3], 0 offset:208
	v_add_co_u32_e32 v55, vcc, s4, v55
	v_addc_co_u32_e32 v56, vcc, v62, v56, vcc
	flat_load_dwordx2 v[61:62], v[55:56]
	v_add_u32_e32 v59, s13, v60
	v_ashrrev_i32_e32 v60, 31, v59
	v_lshlrev_b64 v[57:58], 3, v[59:60]
	s_waitcnt vmcnt(0) lgkmcnt(0)
	buffer_store_dword v62, off, s[0:3], 0 offset:220
	buffer_store_dword v61, off, s[0:3], 0 offset:216
	v_add_co_u32_e32 v57, vcc, s4, v57
	v_addc_co_u32_e32 v58, vcc, v63, v58, vcc
	flat_load_dwordx2 v[61:62], v[57:58]
	v_add_u32_e32 v63, s13, v59
	;; [unrolled: 9-line block ×17, first 2 shown]
	v_ashrrev_i32_e32 v90, 31, v89
	v_lshlrev_b64 v[89:90], 3, v[89:90]
	s_waitcnt vmcnt(0) lgkmcnt(0)
	buffer_store_dword v92, off, s[0:3], 0 offset:348
	buffer_store_dword v91, off, s[0:3], 0 offset:344
	v_add_co_u32_e32 v89, vcc, s4, v89
	v_addc_co_u32_e32 v90, vcc, v94, v90, vcc
	flat_load_dwordx2 v[94:95], v[89:90]
	v_mov_b32_e32 v91, 0
	v_mov_b32_e32 v92, 0xbff00000
	s_waitcnt vmcnt(0) lgkmcnt(0)
	buffer_store_dword v95, off, s[0:3], 0 offset:356
	buffer_store_dword v94, off, s[0:3], 0 offset:352
	s_cbranch_scc1 .LBB108_3
; %bb.2:
	v_mov_b32_e32 v91, 0
	v_lshl_add_u32 v102, v0, 3, v91
	buffer_load_dword v91, v102, s[0:3], 0 offen
	buffer_load_dword v92, v102, s[0:3], 0 offen offset:4
	s_waitcnt vmcnt(0)
	v_div_scale_f64 v[94:95], s[4:5], v[91:92], v[91:92], 1.0
	v_rcp_f64_e32 v[96:97], v[94:95]
	v_fma_f64 v[98:99], -v[94:95], v[96:97], 1.0
	v_fma_f64 v[96:97], v[96:97], v[98:99], v[96:97]
	v_div_scale_f64 v[98:99], vcc, 1.0, v[91:92], 1.0
	v_fma_f64 v[100:101], -v[94:95], v[96:97], 1.0
	v_fma_f64 v[96:97], v[96:97], v[100:101], v[96:97]
	v_mul_f64 v[100:101], v[98:99], v[96:97]
	v_fma_f64 v[94:95], -v[94:95], v[100:101], v[98:99]
	v_div_fmas_f64 v[94:95], v[94:95], v[96:97], v[100:101]
	v_div_fixup_f64 v[91:92], v[94:95], v[91:92], 1.0
	buffer_store_dword v91, v102, s[0:3], 0 offen
	buffer_store_dword v92, v102, s[0:3], 0 offen offset:4
	v_xor_b32_e32 v92, 0x80000000, v92
.LBB108_3:
	s_cmpk_eq_i32 s8, 0x79
	v_add_u32_e32 v94, 0x170, v93
	v_mov_b32_e32 v95, v93
	s_mov_b64 s[4:5], -1
	ds_write_b64 v93, v[91:92]
	s_cbranch_scc1 .LBB108_437
; %bb.4:
	buffer_load_dword v91, off, s[0:3], 0 offset:344
	buffer_load_dword v92, off, s[0:3], 0 offset:348
	s_movk_i32 s12, 0x48
	s_movk_i32 s13, 0x50
	;; [unrolled: 1-line block ×34, first 2 shown]
	v_cmp_eq_u32_e64 s[4:5], 44, v0
	s_waitcnt vmcnt(0)
	ds_write_b64 v94, v[91:92]
	s_waitcnt lgkmcnt(0)
	; wave barrier
	s_and_saveexec_b64 s[6:7], s[4:5]
	s_cbranch_execz .LBB108_10
; %bb.5:
	s_and_b64 vcc, exec, s[10:11]
	s_cbranch_vccz .LBB108_7
; %bb.6:
	buffer_load_dword v91, v95, s[0:3], 0 offen
	buffer_load_dword v92, v95, s[0:3], 0 offen offset:4
	ds_read_b64 v[96:97], v94
	s_waitcnt vmcnt(0) lgkmcnt(0)
	v_mul_f64 v[91:92], v[91:92], v[96:97]
	s_cbranch_execz .LBB108_8
	s_branch .LBB108_9
.LBB108_7:
                                        ; implicit-def: $vgpr91_vgpr92
.LBB108_8:
	ds_read_b64 v[91:92], v94
.LBB108_9:
	v_mov_b32_e32 v96, 0
	ds_read_b64 v[96:97], v96 offset:344
	s_waitcnt lgkmcnt(0)
	v_mul_f64 v[91:92], v[91:92], v[96:97]
	buffer_store_dword v92, off, s[0:3], 0 offset:348
	buffer_store_dword v91, off, s[0:3], 0 offset:344
.LBB108_10:
	s_or_b64 exec, exec, s[6:7]
	buffer_load_dword v91, off, s[0:3], 0 offset:336
	buffer_load_dword v92, off, s[0:3], 0 offset:340
	s_or_b32 s14, 0, 8
	s_mov_b32 s15, 16
	s_mov_b32 s16, 24
	;; [unrolled: 1-line block ×9, first 2 shown]
	v_cmp_lt_u32_e64 s[6:7], 42, v0
	s_waitcnt vmcnt(0)
	ds_write_b64 v94, v[91:92]
	s_waitcnt lgkmcnt(0)
	; wave barrier
	s_and_saveexec_b64 s[8:9], s[6:7]
	s_cbranch_execz .LBB108_16
; %bb.11:
	s_andn2_b64 vcc, exec, s[10:11]
	s_cbranch_vccnz .LBB108_13
; %bb.12:
	buffer_load_dword v91, v95, s[0:3], 0 offen
	buffer_load_dword v92, v95, s[0:3], 0 offen offset:4
	ds_read_b64 v[96:97], v94
	s_waitcnt vmcnt(0) lgkmcnt(0)
	v_mul_f64 v[91:92], v[91:92], v[96:97]
	s_cbranch_execz .LBB108_14
	s_branch .LBB108_15
.LBB108_13:
                                        ; implicit-def: $vgpr91_vgpr92
.LBB108_14:
	ds_read_b64 v[91:92], v94
.LBB108_15:
	buffer_load_dword v100, off, s[0:3], 0 offset:344
	buffer_load_dword v101, off, s[0:3], 0 offset:348
	v_mov_b32_e32 v96, 0
	ds_read2_b64 v[96:99], v96 offset0:42 offset1:89
	s_waitcnt vmcnt(0) lgkmcnt(0)
	v_fma_f64 v[98:99], v[100:101], v[98:99], v[91:92]
	v_cndmask_b32_e64 v92, v92, v99, s[4:5]
	v_cndmask_b32_e64 v91, v91, v98, s[4:5]
	v_mul_f64 v[91:92], v[91:92], v[96:97]
	buffer_store_dword v92, off, s[0:3], 0 offset:340
	buffer_store_dword v91, off, s[0:3], 0 offset:336
.LBB108_16:
	s_or_b64 exec, exec, s[8:9]
	buffer_load_dword v91, off, s[0:3], 0 offset:328
	buffer_load_dword v92, off, s[0:3], 0 offset:332
	v_cmp_lt_u32_e64 s[4:5], 41, v0
	s_waitcnt vmcnt(0)
	ds_write_b64 v94, v[91:92]
	s_waitcnt lgkmcnt(0)
	; wave barrier
	s_and_saveexec_b64 s[8:9], s[4:5]
	s_cbranch_execz .LBB108_26
; %bb.17:
	s_andn2_b64 vcc, exec, s[10:11]
	s_cbranch_vccnz .LBB108_19
; %bb.18:
	buffer_load_dword v91, v95, s[0:3], 0 offen
	buffer_load_dword v92, v95, s[0:3], 0 offen offset:4
	ds_read_b64 v[96:97], v94
	s_waitcnt vmcnt(0) lgkmcnt(0)
	v_mul_f64 v[91:92], v[91:92], v[96:97]
	s_cbranch_execz .LBB108_20
	s_branch .LBB108_21
.LBB108_19:
                                        ; implicit-def: $vgpr91_vgpr92
.LBB108_20:
	ds_read_b64 v[91:92], v94
.LBB108_21:
	s_and_saveexec_b64 s[12:13], s[6:7]
	s_cbranch_execz .LBB108_25
; %bb.22:
	v_subrev_u32_e32 v96, 42, v0
	s_movk_i32 s57, 0x2c0
	s_mov_b64 s[6:7], 0
.LBB108_23:                             ; =>This Inner Loop Header: Depth=1
	v_mov_b32_e32 v98, s56
	buffer_load_dword v97, v98, s[0:3], 0 offen
	s_nop 0
	buffer_load_dword v98, v98, s[0:3], 0 offen offset:4
	v_mov_b32_e32 v99, s57
	ds_read_b64 v[99:100], v99
	v_add_u32_e32 v96, -1, v96
	s_add_i32 s57, s57, 8
	s_add_i32 s56, s56, 8
	v_cmp_eq_u32_e32 vcc, 0, v96
	s_or_b64 s[6:7], vcc, s[6:7]
	s_waitcnt vmcnt(0) lgkmcnt(0)
	v_fma_f64 v[91:92], v[97:98], v[99:100], v[91:92]
	s_andn2_b64 exec, exec, s[6:7]
	s_cbranch_execnz .LBB108_23
; %bb.24:
	s_or_b64 exec, exec, s[6:7]
.LBB108_25:
	s_or_b64 exec, exec, s[12:13]
	v_mov_b32_e32 v96, 0
	ds_read_b64 v[96:97], v96 offset:328
	s_waitcnt lgkmcnt(0)
	v_mul_f64 v[91:92], v[91:92], v[96:97]
	buffer_store_dword v92, off, s[0:3], 0 offset:332
	buffer_store_dword v91, off, s[0:3], 0 offset:328
.LBB108_26:
	s_or_b64 exec, exec, s[8:9]
	buffer_load_dword v91, off, s[0:3], 0 offset:320
	buffer_load_dword v92, off, s[0:3], 0 offset:324
	v_cmp_lt_u32_e64 s[6:7], 40, v0
	s_waitcnt vmcnt(0)
	ds_write_b64 v94, v[91:92]
	s_waitcnt lgkmcnt(0)
	; wave barrier
	s_and_saveexec_b64 s[8:9], s[6:7]
	s_cbranch_execz .LBB108_36
; %bb.27:
	s_andn2_b64 vcc, exec, s[10:11]
	s_cbranch_vccnz .LBB108_29
; %bb.28:
	buffer_load_dword v91, v95, s[0:3], 0 offen
	buffer_load_dword v92, v95, s[0:3], 0 offen offset:4
	ds_read_b64 v[96:97], v94
	s_waitcnt vmcnt(0) lgkmcnt(0)
	v_mul_f64 v[91:92], v[91:92], v[96:97]
	s_cbranch_execz .LBB108_30
	s_branch .LBB108_31
.LBB108_29:
                                        ; implicit-def: $vgpr91_vgpr92
.LBB108_30:
	ds_read_b64 v[91:92], v94
.LBB108_31:
	s_and_saveexec_b64 s[12:13], s[4:5]
	s_cbranch_execz .LBB108_35
; %bb.32:
	v_subrev_u32_e32 v96, 41, v0
	s_movk_i32 s56, 0x2b8
	s_mov_b64 s[4:5], 0
.LBB108_33:                             ; =>This Inner Loop Header: Depth=1
	v_mov_b32_e32 v98, s55
	buffer_load_dword v97, v98, s[0:3], 0 offen
	s_nop 0
	buffer_load_dword v98, v98, s[0:3], 0 offen offset:4
	v_mov_b32_e32 v99, s56
	ds_read_b64 v[99:100], v99
	v_add_u32_e32 v96, -1, v96
	s_add_i32 s56, s56, 8
	s_add_i32 s55, s55, 8
	v_cmp_eq_u32_e32 vcc, 0, v96
	s_or_b64 s[4:5], vcc, s[4:5]
	s_waitcnt vmcnt(0) lgkmcnt(0)
	v_fma_f64 v[91:92], v[97:98], v[99:100], v[91:92]
	s_andn2_b64 exec, exec, s[4:5]
	s_cbranch_execnz .LBB108_33
; %bb.34:
	s_or_b64 exec, exec, s[4:5]
.LBB108_35:
	s_or_b64 exec, exec, s[12:13]
	v_mov_b32_e32 v96, 0
	ds_read_b64 v[96:97], v96 offset:320
	s_waitcnt lgkmcnt(0)
	v_mul_f64 v[91:92], v[91:92], v[96:97]
	buffer_store_dword v92, off, s[0:3], 0 offset:324
	buffer_store_dword v91, off, s[0:3], 0 offset:320
.LBB108_36:
	;; [unrolled: 59-line block ×6, first 2 shown]
	s_or_b64 exec, exec, s[8:9]
	buffer_load_dword v91, off, s[0:3], 0 offset:280
	buffer_load_dword v92, off, s[0:3], 0 offset:284
	v_cmp_lt_u32_e64 s[4:5], 35, v0
	s_waitcnt vmcnt(0)
	ds_write_b64 v94, v[91:92]
	s_waitcnt lgkmcnt(0)
	; wave barrier
	s_and_saveexec_b64 s[8:9], s[4:5]
	s_cbranch_execz .LBB108_86
; %bb.77:
	s_andn2_b64 vcc, exec, s[10:11]
	s_cbranch_vccnz .LBB108_79
; %bb.78:
	buffer_load_dword v91, v95, s[0:3], 0 offen
	buffer_load_dword v92, v95, s[0:3], 0 offen offset:4
	ds_read_b64 v[96:97], v94
	s_waitcnt vmcnt(0) lgkmcnt(0)
	v_mul_f64 v[91:92], v[91:92], v[96:97]
	s_cbranch_execz .LBB108_80
	s_branch .LBB108_81
.LBB108_79:
                                        ; implicit-def: $vgpr91_vgpr92
.LBB108_80:
	ds_read_b64 v[91:92], v94
.LBB108_81:
	s_and_saveexec_b64 s[12:13], s[6:7]
	s_cbranch_execz .LBB108_85
; %bb.82:
	v_subrev_u32_e32 v96, 36, v0
	s_movk_i32 s51, 0x290
	s_mov_b64 s[6:7], 0
.LBB108_83:                             ; =>This Inner Loop Header: Depth=1
	v_mov_b32_e32 v99, s50
	buffer_load_dword v97, v99, s[0:3], 0 offen
	buffer_load_dword v98, v99, s[0:3], 0 offen offset:4
	v_mov_b32_e32 v99, s51
	ds_read_b64 v[99:100], v99
	v_add_u32_e32 v96, -1, v96
	s_add_i32 s51, s51, 8
	s_add_i32 s50, s50, 8
	v_cmp_eq_u32_e32 vcc, 0, v96
	s_or_b64 s[6:7], vcc, s[6:7]
	s_waitcnt vmcnt(0) lgkmcnt(0)
	v_fma_f64 v[91:92], v[97:98], v[99:100], v[91:92]
	s_andn2_b64 exec, exec, s[6:7]
	s_cbranch_execnz .LBB108_83
; %bb.84:
	s_or_b64 exec, exec, s[6:7]
.LBB108_85:
	s_or_b64 exec, exec, s[12:13]
	v_mov_b32_e32 v96, 0
	ds_read_b64 v[96:97], v96 offset:280
	s_waitcnt lgkmcnt(0)
	v_mul_f64 v[91:92], v[91:92], v[96:97]
	buffer_store_dword v92, off, s[0:3], 0 offset:284
	buffer_store_dword v91, off, s[0:3], 0 offset:280
.LBB108_86:
	s_or_b64 exec, exec, s[8:9]
	buffer_load_dword v91, off, s[0:3], 0 offset:272
	buffer_load_dword v92, off, s[0:3], 0 offset:276
	v_cmp_lt_u32_e64 s[6:7], 34, v0
	s_waitcnt vmcnt(0)
	ds_write_b64 v94, v[91:92]
	s_waitcnt lgkmcnt(0)
	; wave barrier
	s_and_saveexec_b64 s[8:9], s[6:7]
	s_cbranch_execz .LBB108_96
; %bb.87:
	s_andn2_b64 vcc, exec, s[10:11]
	s_cbranch_vccnz .LBB108_89
; %bb.88:
	buffer_load_dword v91, v95, s[0:3], 0 offen
	buffer_load_dword v92, v95, s[0:3], 0 offen offset:4
	ds_read_b64 v[96:97], v94
	s_waitcnt vmcnt(0) lgkmcnt(0)
	v_mul_f64 v[91:92], v[91:92], v[96:97]
	s_cbranch_execz .LBB108_90
	s_branch .LBB108_91
.LBB108_89:
                                        ; implicit-def: $vgpr91_vgpr92
.LBB108_90:
	ds_read_b64 v[91:92], v94
.LBB108_91:
	s_and_saveexec_b64 s[12:13], s[4:5]
	s_cbranch_execz .LBB108_95
; %bb.92:
	v_subrev_u32_e32 v96, 35, v0
	s_movk_i32 s50, 0x288
	s_mov_b64 s[4:5], 0
.LBB108_93:                             ; =>This Inner Loop Header: Depth=1
	v_mov_b32_e32 v99, s49
	buffer_load_dword v97, v99, s[0:3], 0 offen
	buffer_load_dword v98, v99, s[0:3], 0 offen offset:4
	v_mov_b32_e32 v99, s50
	ds_read_b64 v[99:100], v99
	v_add_u32_e32 v96, -1, v96
	s_add_i32 s50, s50, 8
	s_add_i32 s49, s49, 8
	v_cmp_eq_u32_e32 vcc, 0, v96
	s_or_b64 s[4:5], vcc, s[4:5]
	s_waitcnt vmcnt(0) lgkmcnt(0)
	v_fma_f64 v[91:92], v[97:98], v[99:100], v[91:92]
	s_andn2_b64 exec, exec, s[4:5]
	s_cbranch_execnz .LBB108_93
; %bb.94:
	s_or_b64 exec, exec, s[4:5]
.LBB108_95:
	s_or_b64 exec, exec, s[12:13]
	v_mov_b32_e32 v96, 0
	ds_read_b64 v[96:97], v96 offset:272
	s_waitcnt lgkmcnt(0)
	v_mul_f64 v[91:92], v[91:92], v[96:97]
	buffer_store_dword v92, off, s[0:3], 0 offset:276
	buffer_store_dword v91, off, s[0:3], 0 offset:272
.LBB108_96:
	s_or_b64 exec, exec, s[8:9]
	buffer_load_dword v91, off, s[0:3], 0 offset:264
	buffer_load_dword v92, off, s[0:3], 0 offset:268
	v_cmp_lt_u32_e64 s[4:5], 33, v0
	s_waitcnt vmcnt(0)
	ds_write_b64 v94, v[91:92]
	s_waitcnt lgkmcnt(0)
	; wave barrier
	s_and_saveexec_b64 s[8:9], s[4:5]
	s_cbranch_execz .LBB108_106
; %bb.97:
	s_andn2_b64 vcc, exec, s[10:11]
	s_cbranch_vccnz .LBB108_99
; %bb.98:
	buffer_load_dword v91, v95, s[0:3], 0 offen
	buffer_load_dword v92, v95, s[0:3], 0 offen offset:4
	ds_read_b64 v[96:97], v94
	s_waitcnt vmcnt(0) lgkmcnt(0)
	v_mul_f64 v[91:92], v[91:92], v[96:97]
	s_cbranch_execz .LBB108_100
	s_branch .LBB108_101
.LBB108_99:
                                        ; implicit-def: $vgpr91_vgpr92
.LBB108_100:
	ds_read_b64 v[91:92], v94
.LBB108_101:
	s_and_saveexec_b64 s[12:13], s[6:7]
	s_cbranch_execz .LBB108_105
; %bb.102:
	v_subrev_u32_e32 v96, 34, v0
	s_movk_i32 s49, 0x280
	s_mov_b64 s[6:7], 0
.LBB108_103:                            ; =>This Inner Loop Header: Depth=1
	v_mov_b32_e32 v99, s48
	buffer_load_dword v97, v99, s[0:3], 0 offen
	buffer_load_dword v98, v99, s[0:3], 0 offen offset:4
	v_mov_b32_e32 v99, s49
	ds_read_b64 v[99:100], v99
	v_add_u32_e32 v96, -1, v96
	s_add_i32 s49, s49, 8
	s_add_i32 s48, s48, 8
	v_cmp_eq_u32_e32 vcc, 0, v96
	s_or_b64 s[6:7], vcc, s[6:7]
	s_waitcnt vmcnt(0) lgkmcnt(0)
	v_fma_f64 v[91:92], v[97:98], v[99:100], v[91:92]
	s_andn2_b64 exec, exec, s[6:7]
	s_cbranch_execnz .LBB108_103
; %bb.104:
	s_or_b64 exec, exec, s[6:7]
.LBB108_105:
	s_or_b64 exec, exec, s[12:13]
	v_mov_b32_e32 v96, 0
	ds_read_b64 v[96:97], v96 offset:264
	s_waitcnt lgkmcnt(0)
	v_mul_f64 v[91:92], v[91:92], v[96:97]
	buffer_store_dword v92, off, s[0:3], 0 offset:268
	buffer_store_dword v91, off, s[0:3], 0 offset:264
.LBB108_106:
	s_or_b64 exec, exec, s[8:9]
	buffer_load_dword v91, off, s[0:3], 0 offset:256
	buffer_load_dword v92, off, s[0:3], 0 offset:260
	v_cmp_lt_u32_e64 s[6:7], 32, v0
	s_waitcnt vmcnt(0)
	ds_write_b64 v94, v[91:92]
	s_waitcnt lgkmcnt(0)
	; wave barrier
	s_and_saveexec_b64 s[8:9], s[6:7]
	s_cbranch_execz .LBB108_116
; %bb.107:
	s_andn2_b64 vcc, exec, s[10:11]
	s_cbranch_vccnz .LBB108_109
; %bb.108:
	buffer_load_dword v91, v95, s[0:3], 0 offen
	buffer_load_dword v92, v95, s[0:3], 0 offen offset:4
	ds_read_b64 v[96:97], v94
	s_waitcnt vmcnt(0) lgkmcnt(0)
	v_mul_f64 v[91:92], v[91:92], v[96:97]
	s_cbranch_execz .LBB108_110
	s_branch .LBB108_111
.LBB108_109:
                                        ; implicit-def: $vgpr91_vgpr92
.LBB108_110:
	ds_read_b64 v[91:92], v94
.LBB108_111:
	s_and_saveexec_b64 s[12:13], s[4:5]
	s_cbranch_execz .LBB108_115
; %bb.112:
	v_subrev_u32_e32 v96, 33, v0
	s_movk_i32 s48, 0x278
	s_mov_b64 s[4:5], 0
.LBB108_113:                            ; =>This Inner Loop Header: Depth=1
	v_mov_b32_e32 v99, s47
	buffer_load_dword v97, v99, s[0:3], 0 offen
	buffer_load_dword v98, v99, s[0:3], 0 offen offset:4
	v_mov_b32_e32 v99, s48
	ds_read_b64 v[99:100], v99
	v_add_u32_e32 v96, -1, v96
	s_add_i32 s48, s48, 8
	s_add_i32 s47, s47, 8
	v_cmp_eq_u32_e32 vcc, 0, v96
	s_or_b64 s[4:5], vcc, s[4:5]
	s_waitcnt vmcnt(0) lgkmcnt(0)
	v_fma_f64 v[91:92], v[97:98], v[99:100], v[91:92]
	s_andn2_b64 exec, exec, s[4:5]
	s_cbranch_execnz .LBB108_113
; %bb.114:
	s_or_b64 exec, exec, s[4:5]
.LBB108_115:
	s_or_b64 exec, exec, s[12:13]
	v_mov_b32_e32 v96, 0
	ds_read_b64 v[96:97], v96 offset:256
	s_waitcnt lgkmcnt(0)
	v_mul_f64 v[91:92], v[91:92], v[96:97]
	buffer_store_dword v92, off, s[0:3], 0 offset:260
	buffer_store_dword v91, off, s[0:3], 0 offset:256
.LBB108_116:
	;; [unrolled: 58-line block ×18, first 2 shown]
	s_or_b64 exec, exec, s[8:9]
	buffer_load_dword v91, off, s[0:3], 0 offset:120
	buffer_load_dword v92, off, s[0:3], 0 offset:124
	v_cmp_lt_u32_e64 s[4:5], 15, v0
	s_waitcnt vmcnt(0)
	ds_write_b64 v94, v[91:92]
	s_waitcnt lgkmcnt(0)
	; wave barrier
	s_and_saveexec_b64 s[8:9], s[4:5]
	s_cbranch_execz .LBB108_286
; %bb.277:
	s_andn2_b64 vcc, exec, s[10:11]
	s_cbranch_vccnz .LBB108_279
; %bb.278:
	buffer_load_dword v91, v95, s[0:3], 0 offen
	buffer_load_dword v92, v95, s[0:3], 0 offen offset:4
	ds_read_b64 v[96:97], v94
	s_waitcnt vmcnt(0) lgkmcnt(0)
	v_mul_f64 v[91:92], v[91:92], v[96:97]
	s_cbranch_execz .LBB108_280
	s_branch .LBB108_281
.LBB108_279:
                                        ; implicit-def: $vgpr91_vgpr92
.LBB108_280:
	ds_read_b64 v[91:92], v94
.LBB108_281:
	s_and_saveexec_b64 s[12:13], s[6:7]
	s_cbranch_execz .LBB108_285
; %bb.282:
	v_add_u32_e32 v96, -16, v0
	s_movk_i32 s30, 0x1f0
	s_mov_b64 s[6:7], 0
.LBB108_283:                            ; =>This Inner Loop Header: Depth=1
	v_mov_b32_e32 v99, s29
	buffer_load_dword v97, v99, s[0:3], 0 offen
	buffer_load_dword v98, v99, s[0:3], 0 offen offset:4
	v_mov_b32_e32 v99, s30
	ds_read_b64 v[99:100], v99
	v_add_u32_e32 v96, -1, v96
	s_add_i32 s30, s30, 8
	s_add_i32 s29, s29, 8
	v_cmp_eq_u32_e32 vcc, 0, v96
	s_or_b64 s[6:7], vcc, s[6:7]
	s_waitcnt vmcnt(0) lgkmcnt(0)
	v_fma_f64 v[91:92], v[97:98], v[99:100], v[91:92]
	s_andn2_b64 exec, exec, s[6:7]
	s_cbranch_execnz .LBB108_283
; %bb.284:
	s_or_b64 exec, exec, s[6:7]
.LBB108_285:
	s_or_b64 exec, exec, s[12:13]
	v_mov_b32_e32 v96, 0
	ds_read_b64 v[96:97], v96 offset:120
	s_waitcnt lgkmcnt(0)
	v_mul_f64 v[91:92], v[91:92], v[96:97]
	buffer_store_dword v92, off, s[0:3], 0 offset:124
	buffer_store_dword v91, off, s[0:3], 0 offset:120
.LBB108_286:
	s_or_b64 exec, exec, s[8:9]
	buffer_load_dword v91, off, s[0:3], 0 offset:112
	buffer_load_dword v92, off, s[0:3], 0 offset:116
	v_cmp_lt_u32_e64 s[6:7], 14, v0
	s_waitcnt vmcnt(0)
	ds_write_b64 v94, v[91:92]
	s_waitcnt lgkmcnt(0)
	; wave barrier
	s_and_saveexec_b64 s[8:9], s[6:7]
	s_cbranch_execz .LBB108_296
; %bb.287:
	s_andn2_b64 vcc, exec, s[10:11]
	s_cbranch_vccnz .LBB108_289
; %bb.288:
	buffer_load_dword v91, v95, s[0:3], 0 offen
	buffer_load_dword v92, v95, s[0:3], 0 offen offset:4
	ds_read_b64 v[96:97], v94
	s_waitcnt vmcnt(0) lgkmcnt(0)
	v_mul_f64 v[91:92], v[91:92], v[96:97]
	s_cbranch_execz .LBB108_290
	s_branch .LBB108_291
.LBB108_289:
                                        ; implicit-def: $vgpr91_vgpr92
.LBB108_290:
	ds_read_b64 v[91:92], v94
.LBB108_291:
	s_and_saveexec_b64 s[12:13], s[4:5]
	s_cbranch_execz .LBB108_295
; %bb.292:
	v_add_u32_e32 v96, -15, v0
	s_movk_i32 s29, 0x1e8
	s_mov_b64 s[4:5], 0
.LBB108_293:                            ; =>This Inner Loop Header: Depth=1
	v_mov_b32_e32 v99, s28
	buffer_load_dword v97, v99, s[0:3], 0 offen
	buffer_load_dword v98, v99, s[0:3], 0 offen offset:4
	v_mov_b32_e32 v99, s29
	ds_read_b64 v[99:100], v99
	v_add_u32_e32 v96, -1, v96
	s_add_i32 s29, s29, 8
	s_add_i32 s28, s28, 8
	v_cmp_eq_u32_e32 vcc, 0, v96
	s_or_b64 s[4:5], vcc, s[4:5]
	s_waitcnt vmcnt(0) lgkmcnt(0)
	v_fma_f64 v[91:92], v[97:98], v[99:100], v[91:92]
	s_andn2_b64 exec, exec, s[4:5]
	s_cbranch_execnz .LBB108_293
; %bb.294:
	s_or_b64 exec, exec, s[4:5]
.LBB108_295:
	s_or_b64 exec, exec, s[12:13]
	v_mov_b32_e32 v96, 0
	ds_read_b64 v[96:97], v96 offset:112
	s_waitcnt lgkmcnt(0)
	v_mul_f64 v[91:92], v[91:92], v[96:97]
	buffer_store_dword v92, off, s[0:3], 0 offset:116
	buffer_store_dword v91, off, s[0:3], 0 offset:112
.LBB108_296:
	;; [unrolled: 58-line block ×15, first 2 shown]
	s_or_b64 exec, exec, s[8:9]
	buffer_load_dword v91, off, s[0:3], 0
	buffer_load_dword v92, off, s[0:3], 0 offset:4
	v_cmp_ne_u32_e32 vcc, 0, v0
	s_waitcnt vmcnt(0)
	ds_write_b64 v94, v[91:92]
	s_waitcnt lgkmcnt(0)
	; wave barrier
	s_and_saveexec_b64 s[6:7], vcc
	s_cbranch_execz .LBB108_436
; %bb.427:
	s_andn2_b64 vcc, exec, s[10:11]
	s_cbranch_vccnz .LBB108_429
; %bb.428:
	buffer_load_dword v91, v95, s[0:3], 0 offen
	buffer_load_dword v92, v95, s[0:3], 0 offen offset:4
	ds_read_b64 v[96:97], v94
	s_waitcnt vmcnt(0) lgkmcnt(0)
	v_mul_f64 v[91:92], v[91:92], v[96:97]
	s_cbranch_execz .LBB108_430
	s_branch .LBB108_431
.LBB108_429:
                                        ; implicit-def: $vgpr91_vgpr92
.LBB108_430:
	ds_read_b64 v[91:92], v94
.LBB108_431:
	s_and_saveexec_b64 s[8:9], s[4:5]
	s_cbranch_execz .LBB108_435
; %bb.432:
	v_add_u32_e32 v96, -1, v0
	s_movk_i32 s12, 0x178
	s_mov_b64 s[4:5], 0
.LBB108_433:                            ; =>This Inner Loop Header: Depth=1
	v_mov_b32_e32 v99, s14
	buffer_load_dword v97, v99, s[0:3], 0 offen
	buffer_load_dword v98, v99, s[0:3], 0 offen offset:4
	v_mov_b32_e32 v99, s12
	ds_read_b64 v[99:100], v99
	v_add_u32_e32 v96, -1, v96
	s_add_i32 s12, s12, 8
	s_add_i32 s14, s14, 8
	v_cmp_eq_u32_e32 vcc, 0, v96
	s_or_b64 s[4:5], vcc, s[4:5]
	s_waitcnt vmcnt(0) lgkmcnt(0)
	v_fma_f64 v[91:92], v[97:98], v[99:100], v[91:92]
	s_andn2_b64 exec, exec, s[4:5]
	s_cbranch_execnz .LBB108_433
; %bb.434:
	s_or_b64 exec, exec, s[4:5]
.LBB108_435:
	s_or_b64 exec, exec, s[8:9]
	v_mov_b32_e32 v96, 0
	ds_read_b64 v[96:97], v96
	s_waitcnt lgkmcnt(0)
	v_mul_f64 v[91:92], v[91:92], v[96:97]
	buffer_store_dword v92, off, s[0:3], 0 offset:4
	buffer_store_dword v91, off, s[0:3], 0
.LBB108_436:
	s_or_b64 exec, exec, s[6:7]
	s_mov_b64 s[4:5], 0
.LBB108_437:
	s_and_b64 vcc, exec, s[4:5]
	s_cbranch_vccz .LBB108_869
; %bb.438:
	buffer_load_dword v91, off, s[0:3], 0 offset:8
	buffer_load_dword v92, off, s[0:3], 0 offset:12
	v_cmp_eq_u32_e64 s[6:7], 0, v0
	s_waitcnt vmcnt(0)
	ds_write_b64 v94, v[91:92]
	s_waitcnt lgkmcnt(0)
	; wave barrier
	s_and_saveexec_b64 s[4:5], s[6:7]
	s_cbranch_execz .LBB108_444
; %bb.439:
	s_and_b64 vcc, exec, s[10:11]
	s_cbranch_vccz .LBB108_441
; %bb.440:
	buffer_load_dword v91, v95, s[0:3], 0 offen
	buffer_load_dword v92, v95, s[0:3], 0 offen offset:4
	ds_read_b64 v[96:97], v94
	s_waitcnt vmcnt(0) lgkmcnt(0)
	v_mul_f64 v[91:92], v[91:92], v[96:97]
	s_cbranch_execz .LBB108_442
	s_branch .LBB108_443
.LBB108_441:
                                        ; implicit-def: $vgpr91_vgpr92
.LBB108_442:
	ds_read_b64 v[91:92], v94
.LBB108_443:
	v_mov_b32_e32 v96, 0
	ds_read_b64 v[96:97], v96 offset:8
	s_waitcnt lgkmcnt(0)
	v_mul_f64 v[91:92], v[91:92], v[96:97]
	buffer_store_dword v92, off, s[0:3], 0 offset:12
	buffer_store_dword v91, off, s[0:3], 0 offset:8
.LBB108_444:
	s_or_b64 exec, exec, s[4:5]
	buffer_load_dword v91, off, s[0:3], 0 offset:16
	buffer_load_dword v92, off, s[0:3], 0 offset:20
	v_cndmask_b32_e64 v96, 0, 1, s[10:11]
	v_cmp_gt_u32_e32 vcc, 2, v0
	v_cmp_ne_u32_e64 s[4:5], 1, v96
	s_waitcnt vmcnt(0)
	ds_write_b64 v94, v[91:92]
	s_waitcnt lgkmcnt(0)
	; wave barrier
	s_and_saveexec_b64 s[8:9], vcc
	s_cbranch_execz .LBB108_450
; %bb.445:
	s_and_b64 vcc, exec, s[4:5]
	s_cbranch_vccnz .LBB108_447
; %bb.446:
	buffer_load_dword v91, v95, s[0:3], 0 offen
	buffer_load_dword v92, v95, s[0:3], 0 offen offset:4
	ds_read_b64 v[96:97], v94
	s_waitcnt vmcnt(0) lgkmcnt(0)
	v_mul_f64 v[91:92], v[91:92], v[96:97]
	s_cbranch_execz .LBB108_448
	s_branch .LBB108_449
.LBB108_447:
                                        ; implicit-def: $vgpr91_vgpr92
.LBB108_448:
	ds_read_b64 v[91:92], v94
.LBB108_449:
	buffer_load_dword v100, off, s[0:3], 0 offset:8
	buffer_load_dword v101, off, s[0:3], 0 offset:12
	v_mov_b32_e32 v96, 0
	ds_read2_b64 v[96:99], v96 offset0:2 offset1:47
	s_waitcnt vmcnt(0) lgkmcnt(0)
	v_fma_f64 v[98:99], v[100:101], v[98:99], v[91:92]
	v_cndmask_b32_e64 v92, v92, v99, s[6:7]
	v_cndmask_b32_e64 v91, v91, v98, s[6:7]
	v_mul_f64 v[91:92], v[91:92], v[96:97]
	buffer_store_dword v92, off, s[0:3], 0 offset:20
	buffer_store_dword v91, off, s[0:3], 0 offset:16
.LBB108_450:
	s_or_b64 exec, exec, s[8:9]
	buffer_load_dword v91, off, s[0:3], 0 offset:24
	buffer_load_dword v92, off, s[0:3], 0 offset:28
	v_cmp_gt_u32_e32 vcc, 3, v0
	s_waitcnt vmcnt(0)
	ds_write_b64 v94, v[91:92]
	s_waitcnt lgkmcnt(0)
	; wave barrier
	s_and_saveexec_b64 s[8:9], vcc
	s_cbranch_execz .LBB108_458
; %bb.451:
	s_and_b64 vcc, exec, s[4:5]
	s_cbranch_vccnz .LBB108_453
; %bb.452:
	buffer_load_dword v91, v95, s[0:3], 0 offen
	buffer_load_dword v92, v95, s[0:3], 0 offen offset:4
	ds_read_b64 v[96:97], v94
	s_waitcnt vmcnt(0) lgkmcnt(0)
	v_mul_f64 v[91:92], v[91:92], v[96:97]
	s_cbranch_execz .LBB108_454
	s_branch .LBB108_455
.LBB108_453:
                                        ; implicit-def: $vgpr91_vgpr92
.LBB108_454:
	ds_read_b64 v[91:92], v94
.LBB108_455:
	v_cmp_ne_u32_e32 vcc, 2, v0
	s_and_saveexec_b64 s[10:11], vcc
	s_cbranch_execz .LBB108_457
; %bb.456:
	buffer_load_dword v96, v95, s[0:3], 0 offen offset:8
	buffer_load_dword v97, v95, s[0:3], 0 offen offset:12
	buffer_load_dword v98, off, s[0:3], 0 offset:16
	buffer_load_dword v99, off, s[0:3], 0 offset:20
	ds_read_b64 v[100:101], v94 offset:8
	v_mov_b32_e32 v102, 0
	ds_read_b64 v[102:103], v102 offset:384
	s_waitcnt vmcnt(2) lgkmcnt(1)
	v_fma_f64 v[91:92], v[96:97], v[100:101], v[91:92]
	s_waitcnt vmcnt(0) lgkmcnt(0)
	v_fma_f64 v[96:97], v[98:99], v[102:103], v[91:92]
	v_cndmask_b32_e64 v92, v92, v97, s[6:7]
	v_cndmask_b32_e64 v91, v91, v96, s[6:7]
.LBB108_457:
	s_or_b64 exec, exec, s[10:11]
	v_mov_b32_e32 v96, 0
	ds_read_b64 v[96:97], v96 offset:24
	s_waitcnt lgkmcnt(0)
	v_mul_f64 v[91:92], v[91:92], v[96:97]
	buffer_store_dword v92, off, s[0:3], 0 offset:28
	buffer_store_dword v91, off, s[0:3], 0 offset:24
.LBB108_458:
	s_or_b64 exec, exec, s[8:9]
	buffer_load_dword v91, off, s[0:3], 0 offset:32
	buffer_load_dword v92, off, s[0:3], 0 offset:36
	v_cmp_gt_u32_e32 vcc, 4, v0
	s_waitcnt vmcnt(0)
	ds_write_b64 v94, v[91:92]
	s_waitcnt lgkmcnt(0)
	; wave barrier
	s_and_saveexec_b64 s[6:7], vcc
	s_cbranch_execz .LBB108_468
; %bb.459:
	s_and_b64 vcc, exec, s[4:5]
	s_cbranch_vccnz .LBB108_461
; %bb.460:
	buffer_load_dword v91, v95, s[0:3], 0 offen
	buffer_load_dword v92, v95, s[0:3], 0 offen offset:4
	ds_read_b64 v[96:97], v94
	s_waitcnt vmcnt(0) lgkmcnt(0)
	v_mul_f64 v[91:92], v[91:92], v[96:97]
	s_cbranch_execz .LBB108_462
	s_branch .LBB108_463
.LBB108_461:
                                        ; implicit-def: $vgpr91_vgpr92
.LBB108_462:
	ds_read_b64 v[91:92], v94
.LBB108_463:
	v_cmp_ne_u32_e32 vcc, 3, v0
	s_and_saveexec_b64 s[8:9], vcc
	s_cbranch_execz .LBB108_467
; %bb.464:
	s_mov_b32 s10, 0
	v_add_u32_e32 v96, 0x178, v93
	v_add3_u32 v97, v93, s10, 8
	s_mov_b64 s[10:11], 0
	v_mov_b32_e32 v98, v0
.LBB108_465:                            ; =>This Inner Loop Header: Depth=1
	buffer_load_dword v99, v97, s[0:3], 0 offen
	buffer_load_dword v100, v97, s[0:3], 0 offen offset:4
	ds_read_b64 v[101:102], v96
	v_add_u32_e32 v98, 1, v98
	v_cmp_lt_u32_e32 vcc, 2, v98
	v_add_u32_e32 v96, 8, v96
	s_or_b64 s[10:11], vcc, s[10:11]
	v_add_u32_e32 v97, 8, v97
	s_waitcnt vmcnt(0) lgkmcnt(0)
	v_fma_f64 v[91:92], v[99:100], v[101:102], v[91:92]
	s_andn2_b64 exec, exec, s[10:11]
	s_cbranch_execnz .LBB108_465
; %bb.466:
	s_or_b64 exec, exec, s[10:11]
.LBB108_467:
	s_or_b64 exec, exec, s[8:9]
	v_mov_b32_e32 v96, 0
	ds_read_b64 v[96:97], v96 offset:32
	s_waitcnt lgkmcnt(0)
	v_mul_f64 v[91:92], v[91:92], v[96:97]
	buffer_store_dword v92, off, s[0:3], 0 offset:36
	buffer_store_dword v91, off, s[0:3], 0 offset:32
.LBB108_468:
	s_or_b64 exec, exec, s[6:7]
	buffer_load_dword v91, off, s[0:3], 0 offset:40
	buffer_load_dword v92, off, s[0:3], 0 offset:44
	v_cmp_gt_u32_e32 vcc, 5, v0
	s_waitcnt vmcnt(0)
	ds_write_b64 v94, v[91:92]
	s_waitcnt lgkmcnt(0)
	; wave barrier
	s_and_saveexec_b64 s[6:7], vcc
	s_cbranch_execz .LBB108_478
; %bb.469:
	s_and_b64 vcc, exec, s[4:5]
	s_cbranch_vccnz .LBB108_471
; %bb.470:
	buffer_load_dword v91, v95, s[0:3], 0 offen
	buffer_load_dword v92, v95, s[0:3], 0 offen offset:4
	ds_read_b64 v[96:97], v94
	s_waitcnt vmcnt(0) lgkmcnt(0)
	v_mul_f64 v[91:92], v[91:92], v[96:97]
	s_cbranch_execz .LBB108_472
	s_branch .LBB108_473
.LBB108_471:
                                        ; implicit-def: $vgpr91_vgpr92
.LBB108_472:
	ds_read_b64 v[91:92], v94
.LBB108_473:
	v_cmp_ne_u32_e32 vcc, 4, v0
	s_and_saveexec_b64 s[8:9], vcc
	s_cbranch_execz .LBB108_477
; %bb.474:
	s_mov_b32 s10, 0
	v_add_u32_e32 v96, 0x178, v93
	v_add3_u32 v97, v93, s10, 8
	s_mov_b64 s[10:11], 0
	v_mov_b32_e32 v98, v0
.LBB108_475:                            ; =>This Inner Loop Header: Depth=1
	buffer_load_dword v99, v97, s[0:3], 0 offen
	buffer_load_dword v100, v97, s[0:3], 0 offen offset:4
	ds_read_b64 v[101:102], v96
	v_add_u32_e32 v98, 1, v98
	v_cmp_lt_u32_e32 vcc, 3, v98
	v_add_u32_e32 v96, 8, v96
	s_or_b64 s[10:11], vcc, s[10:11]
	v_add_u32_e32 v97, 8, v97
	s_waitcnt vmcnt(0) lgkmcnt(0)
	v_fma_f64 v[91:92], v[99:100], v[101:102], v[91:92]
	s_andn2_b64 exec, exec, s[10:11]
	s_cbranch_execnz .LBB108_475
; %bb.476:
	s_or_b64 exec, exec, s[10:11]
.LBB108_477:
	s_or_b64 exec, exec, s[8:9]
	v_mov_b32_e32 v96, 0
	ds_read_b64 v[96:97], v96 offset:40
	s_waitcnt lgkmcnt(0)
	v_mul_f64 v[91:92], v[91:92], v[96:97]
	buffer_store_dword v92, off, s[0:3], 0 offset:44
	buffer_store_dword v91, off, s[0:3], 0 offset:40
.LBB108_478:
	;; [unrolled: 59-line block ×39, first 2 shown]
	s_or_b64 exec, exec, s[6:7]
	buffer_load_dword v91, off, s[0:3], 0 offset:344
	buffer_load_dword v92, off, s[0:3], 0 offset:348
	v_cmp_gt_u32_e64 s[6:7], 43, v0
	s_waitcnt vmcnt(0)
	ds_write_b64 v94, v[91:92]
	s_waitcnt lgkmcnt(0)
	; wave barrier
	s_and_saveexec_b64 s[8:9], s[6:7]
	s_cbranch_execz .LBB108_858
; %bb.849:
	s_and_b64 vcc, exec, s[4:5]
	s_cbranch_vccnz .LBB108_851
; %bb.850:
	buffer_load_dword v91, v95, s[0:3], 0 offen
	buffer_load_dword v92, v95, s[0:3], 0 offen offset:4
	ds_read_b64 v[96:97], v94
	s_waitcnt vmcnt(0) lgkmcnt(0)
	v_mul_f64 v[91:92], v[91:92], v[96:97]
	s_cbranch_execz .LBB108_852
	s_branch .LBB108_853
.LBB108_851:
                                        ; implicit-def: $vgpr91_vgpr92
.LBB108_852:
	ds_read_b64 v[91:92], v94
.LBB108_853:
	v_cmp_ne_u32_e32 vcc, 42, v0
	s_and_saveexec_b64 s[10:11], vcc
	s_cbranch_execz .LBB108_857
; %bb.854:
	s_mov_b32 s12, 0
	v_add_u32_e32 v96, 0x178, v93
	v_add3_u32 v97, v93, s12, 8
	s_mov_b64 s[12:13], 0
	v_mov_b32_e32 v98, v0
.LBB108_855:                            ; =>This Inner Loop Header: Depth=1
	buffer_load_dword v99, v97, s[0:3], 0 offen
	buffer_load_dword v100, v97, s[0:3], 0 offen offset:4
	ds_read_b64 v[101:102], v96
	v_add_u32_e32 v98, 1, v98
	v_cmp_lt_u32_e32 vcc, 41, v98
	v_add_u32_e32 v96, 8, v96
	s_or_b64 s[12:13], vcc, s[12:13]
	v_add_u32_e32 v97, 8, v97
	s_waitcnt vmcnt(0) lgkmcnt(0)
	v_fma_f64 v[91:92], v[99:100], v[101:102], v[91:92]
	s_andn2_b64 exec, exec, s[12:13]
	s_cbranch_execnz .LBB108_855
; %bb.856:
	s_or_b64 exec, exec, s[12:13]
.LBB108_857:
	s_or_b64 exec, exec, s[10:11]
	v_mov_b32_e32 v96, 0
	ds_read_b64 v[96:97], v96 offset:344
	s_waitcnt lgkmcnt(0)
	v_mul_f64 v[91:92], v[91:92], v[96:97]
	buffer_store_dword v92, off, s[0:3], 0 offset:348
	buffer_store_dword v91, off, s[0:3], 0 offset:344
.LBB108_858:
	s_or_b64 exec, exec, s[8:9]
	buffer_load_dword v91, off, s[0:3], 0 offset:352
	buffer_load_dword v92, off, s[0:3], 0 offset:356
	v_cmp_ne_u32_e32 vcc, 44, v0
	s_waitcnt vmcnt(0)
	ds_write_b64 v94, v[91:92]
	s_waitcnt lgkmcnt(0)
	; wave barrier
	s_and_saveexec_b64 s[8:9], vcc
	s_cbranch_execz .LBB108_868
; %bb.859:
	s_and_b64 vcc, exec, s[4:5]
	s_cbranch_vccnz .LBB108_861
; %bb.860:
	buffer_load_dword v91, v95, s[0:3], 0 offen
	buffer_load_dword v92, v95, s[0:3], 0 offen offset:4
	ds_read_b64 v[95:96], v94
	s_waitcnt vmcnt(0) lgkmcnt(0)
	v_mul_f64 v[91:92], v[91:92], v[95:96]
	s_cbranch_execz .LBB108_862
	s_branch .LBB108_863
.LBB108_861:
                                        ; implicit-def: $vgpr91_vgpr92
.LBB108_862:
	ds_read_b64 v[91:92], v94
.LBB108_863:
	s_and_saveexec_b64 s[4:5], s[6:7]
	s_cbranch_execz .LBB108_867
; %bb.864:
	s_mov_b32 s6, 0
	v_add_u32_e32 v94, 0x178, v93
	v_add3_u32 v93, v93, s6, 8
	s_mov_b64 s[6:7], 0
.LBB108_865:                            ; =>This Inner Loop Header: Depth=1
	buffer_load_dword v95, v93, s[0:3], 0 offen
	buffer_load_dword v96, v93, s[0:3], 0 offen offset:4
	ds_read_b64 v[97:98], v94
	v_add_u32_e32 v0, 1, v0
	v_cmp_lt_u32_e32 vcc, 42, v0
	v_add_u32_e32 v94, 8, v94
	s_or_b64 s[6:7], vcc, s[6:7]
	v_add_u32_e32 v93, 8, v93
	s_waitcnt vmcnt(0) lgkmcnt(0)
	v_fma_f64 v[91:92], v[95:96], v[97:98], v[91:92]
	s_andn2_b64 exec, exec, s[6:7]
	s_cbranch_execnz .LBB108_865
; %bb.866:
	s_or_b64 exec, exec, s[6:7]
.LBB108_867:
	s_or_b64 exec, exec, s[4:5]
	v_mov_b32_e32 v0, 0
	ds_read_b64 v[93:94], v0 offset:352
	s_waitcnt lgkmcnt(0)
	v_mul_f64 v[91:92], v[91:92], v[93:94]
	buffer_store_dword v92, off, s[0:3], 0 offset:356
	buffer_store_dword v91, off, s[0:3], 0 offset:352
.LBB108_868:
	s_or_b64 exec, exec, s[8:9]
.LBB108_869:
	buffer_load_dword v91, off, s[0:3], 0
	buffer_load_dword v92, off, s[0:3], 0 offset:4
	s_waitcnt vmcnt(0)
	flat_store_dwordx2 v[1:2], v[91:92]
	buffer_load_dword v0, off, s[0:3], 0 offset:8
	s_nop 0
	buffer_load_dword v1, off, s[0:3], 0 offset:12
	s_waitcnt vmcnt(0)
	flat_store_dwordx2 v[3:4], v[0:1]
	buffer_load_dword v0, off, s[0:3], 0 offset:16
	s_nop 0
	;; [unrolled: 5-line block ×44, first 2 shown]
	buffer_load_dword v1, off, s[0:3], 0 offset:356
	s_waitcnt vmcnt(0)
	flat_store_dwordx2 v[89:90], v[0:1]
.LBB108_870:
	s_endpgm
	.section	.rodata,"a",@progbits
	.p2align	6, 0x0
	.amdhsa_kernel _ZN9rocsolver6v33100L18trti2_kernel_smallILi45EdPKPdEEv13rocblas_fill_17rocblas_diagonal_T1_iil
		.amdhsa_group_segment_fixed_size 728
		.amdhsa_private_segment_fixed_size 368
		.amdhsa_kernarg_size 32
		.amdhsa_user_sgpr_count 6
		.amdhsa_user_sgpr_private_segment_buffer 1
		.amdhsa_user_sgpr_dispatch_ptr 0
		.amdhsa_user_sgpr_queue_ptr 0
		.amdhsa_user_sgpr_kernarg_segment_ptr 1
		.amdhsa_user_sgpr_dispatch_id 0
		.amdhsa_user_sgpr_flat_scratch_init 0
		.amdhsa_user_sgpr_private_segment_size 0
		.amdhsa_uses_dynamic_stack 0
		.amdhsa_system_sgpr_private_segment_wavefront_offset 1
		.amdhsa_system_sgpr_workgroup_id_x 1
		.amdhsa_system_sgpr_workgroup_id_y 0
		.amdhsa_system_sgpr_workgroup_id_z 0
		.amdhsa_system_sgpr_workgroup_info 0
		.amdhsa_system_vgpr_workitem_id 0
		.amdhsa_next_free_vgpr 104
		.amdhsa_next_free_sgpr 58
		.amdhsa_reserve_vcc 1
		.amdhsa_reserve_flat_scratch 0
		.amdhsa_float_round_mode_32 0
		.amdhsa_float_round_mode_16_64 0
		.amdhsa_float_denorm_mode_32 3
		.amdhsa_float_denorm_mode_16_64 3
		.amdhsa_dx10_clamp 1
		.amdhsa_ieee_mode 1
		.amdhsa_fp16_overflow 0
		.amdhsa_exception_fp_ieee_invalid_op 0
		.amdhsa_exception_fp_denorm_src 0
		.amdhsa_exception_fp_ieee_div_zero 0
		.amdhsa_exception_fp_ieee_overflow 0
		.amdhsa_exception_fp_ieee_underflow 0
		.amdhsa_exception_fp_ieee_inexact 0
		.amdhsa_exception_int_div_zero 0
	.end_amdhsa_kernel
	.section	.text._ZN9rocsolver6v33100L18trti2_kernel_smallILi45EdPKPdEEv13rocblas_fill_17rocblas_diagonal_T1_iil,"axG",@progbits,_ZN9rocsolver6v33100L18trti2_kernel_smallILi45EdPKPdEEv13rocblas_fill_17rocblas_diagonal_T1_iil,comdat
.Lfunc_end108:
	.size	_ZN9rocsolver6v33100L18trti2_kernel_smallILi45EdPKPdEEv13rocblas_fill_17rocblas_diagonal_T1_iil, .Lfunc_end108-_ZN9rocsolver6v33100L18trti2_kernel_smallILi45EdPKPdEEv13rocblas_fill_17rocblas_diagonal_T1_iil
                                        ; -- End function
	.set _ZN9rocsolver6v33100L18trti2_kernel_smallILi45EdPKPdEEv13rocblas_fill_17rocblas_diagonal_T1_iil.num_vgpr, 104
	.set _ZN9rocsolver6v33100L18trti2_kernel_smallILi45EdPKPdEEv13rocblas_fill_17rocblas_diagonal_T1_iil.num_agpr, 0
	.set _ZN9rocsolver6v33100L18trti2_kernel_smallILi45EdPKPdEEv13rocblas_fill_17rocblas_diagonal_T1_iil.numbered_sgpr, 58
	.set _ZN9rocsolver6v33100L18trti2_kernel_smallILi45EdPKPdEEv13rocblas_fill_17rocblas_diagonal_T1_iil.num_named_barrier, 0
	.set _ZN9rocsolver6v33100L18trti2_kernel_smallILi45EdPKPdEEv13rocblas_fill_17rocblas_diagonal_T1_iil.private_seg_size, 368
	.set _ZN9rocsolver6v33100L18trti2_kernel_smallILi45EdPKPdEEv13rocblas_fill_17rocblas_diagonal_T1_iil.uses_vcc, 1
	.set _ZN9rocsolver6v33100L18trti2_kernel_smallILi45EdPKPdEEv13rocblas_fill_17rocblas_diagonal_T1_iil.uses_flat_scratch, 0
	.set _ZN9rocsolver6v33100L18trti2_kernel_smallILi45EdPKPdEEv13rocblas_fill_17rocblas_diagonal_T1_iil.has_dyn_sized_stack, 0
	.set _ZN9rocsolver6v33100L18trti2_kernel_smallILi45EdPKPdEEv13rocblas_fill_17rocblas_diagonal_T1_iil.has_recursion, 0
	.set _ZN9rocsolver6v33100L18trti2_kernel_smallILi45EdPKPdEEv13rocblas_fill_17rocblas_diagonal_T1_iil.has_indirect_call, 0
	.section	.AMDGPU.csdata,"",@progbits
; Kernel info:
; codeLenInByte = 26636
; TotalNumSgprs: 62
; NumVgprs: 104
; ScratchSize: 368
; MemoryBound: 0
; FloatMode: 240
; IeeeMode: 1
; LDSByteSize: 728 bytes/workgroup (compile time only)
; SGPRBlocks: 7
; VGPRBlocks: 25
; NumSGPRsForWavesPerEU: 62
; NumVGPRsForWavesPerEU: 104
; Occupancy: 2
; WaveLimiterHint : 1
; COMPUTE_PGM_RSRC2:SCRATCH_EN: 1
; COMPUTE_PGM_RSRC2:USER_SGPR: 6
; COMPUTE_PGM_RSRC2:TRAP_HANDLER: 0
; COMPUTE_PGM_RSRC2:TGID_X_EN: 1
; COMPUTE_PGM_RSRC2:TGID_Y_EN: 0
; COMPUTE_PGM_RSRC2:TGID_Z_EN: 0
; COMPUTE_PGM_RSRC2:TIDIG_COMP_CNT: 0
	.section	.text._ZN9rocsolver6v33100L18trti2_kernel_smallILi46EdPKPdEEv13rocblas_fill_17rocblas_diagonal_T1_iil,"axG",@progbits,_ZN9rocsolver6v33100L18trti2_kernel_smallILi46EdPKPdEEv13rocblas_fill_17rocblas_diagonal_T1_iil,comdat
	.globl	_ZN9rocsolver6v33100L18trti2_kernel_smallILi46EdPKPdEEv13rocblas_fill_17rocblas_diagonal_T1_iil ; -- Begin function _ZN9rocsolver6v33100L18trti2_kernel_smallILi46EdPKPdEEv13rocblas_fill_17rocblas_diagonal_T1_iil
	.p2align	8
	.type	_ZN9rocsolver6v33100L18trti2_kernel_smallILi46EdPKPdEEv13rocblas_fill_17rocblas_diagonal_T1_iil,@function
_ZN9rocsolver6v33100L18trti2_kernel_smallILi46EdPKPdEEv13rocblas_fill_17rocblas_diagonal_T1_iil: ; @_ZN9rocsolver6v33100L18trti2_kernel_smallILi46EdPKPdEEv13rocblas_fill_17rocblas_diagonal_T1_iil
; %bb.0:
	s_add_u32 s0, s0, s7
	s_addc_u32 s1, s1, 0
	v_cmp_gt_u32_e32 vcc, 46, v0
	s_and_saveexec_b64 s[8:9], vcc
	s_cbranch_execz .LBB109_890
; %bb.1:
	s_load_dwordx2 s[12:13], s[4:5], 0x10
	s_load_dwordx4 s[8:11], s[4:5], 0x0
	s_ashr_i32 s7, s6, 31
	s_lshl_b64 s[6:7], s[6:7], 3
	v_lshlrev_b32_e32 v95, 3, v0
	s_waitcnt lgkmcnt(0)
	s_ashr_i32 s5, s12, 31
	s_add_u32 s6, s10, s6
	s_addc_u32 s7, s11, s7
	s_load_dwordx2 s[6:7], s[6:7], 0x0
	s_mov_b32 s4, s12
	s_lshl_b64 s[4:5], s[4:5], 3
	s_waitcnt lgkmcnt(0)
	s_add_u32 s4, s6, s4
	s_addc_u32 s5, s7, s5
	v_mov_b32_e32 v2, s5
	v_add_co_u32_e32 v1, vcc, s4, v95
	v_addc_co_u32_e32 v2, vcc, 0, v2, vcc
	flat_load_dwordx2 v[5:6], v[1:2]
	s_mov_b32 s6, s13
	s_ashr_i32 s7, s13, 31
	s_lshl_b64 s[6:7], s[6:7], 3
	v_mov_b32_e32 v4, s7
	v_add_co_u32_e32 v3, vcc, s6, v1
	v_addc_co_u32_e32 v4, vcc, v2, v4, vcc
	s_add_i32 s6, s13, s13
	v_add_u32_e32 v9, s6, v0
	v_ashrrev_i32_e32 v10, 31, v9
	v_mov_b32_e32 v11, s5
	v_add_u32_e32 v12, s13, v9
	v_ashrrev_i32_e32 v13, 31, v12
	v_mov_b32_e32 v14, s5
	v_mov_b32_e32 v15, s5
	;; [unrolled: 1-line block ×42, first 2 shown]
	s_cmpk_lg_i32 s9, 0x84
	s_cselect_b64 s[10:11], -1, 0
	s_cmpk_eq_i32 s9, 0x84
	s_waitcnt vmcnt(0) lgkmcnt(0)
	buffer_store_dword v6, off, s[0:3], 0 offset:4
	buffer_store_dword v5, off, s[0:3], 0
	flat_load_dwordx2 v[7:8], v[3:4]
	v_lshlrev_b64 v[5:6], 3, v[9:10]
	s_waitcnt vmcnt(0) lgkmcnt(0)
	buffer_store_dword v8, off, s[0:3], 0 offset:12
	buffer_store_dword v7, off, s[0:3], 0 offset:8
	v_add_co_u32_e32 v5, vcc, s4, v5
	v_addc_co_u32_e32 v6, vcc, v11, v6, vcc
	flat_load_dwordx2 v[10:11], v[5:6]
	v_lshlrev_b64 v[7:8], 3, v[12:13]
	s_waitcnt vmcnt(0) lgkmcnt(0)
	buffer_store_dword v11, off, s[0:3], 0 offset:20
	buffer_store_dword v10, off, s[0:3], 0 offset:16
	v_add_co_u32_e32 v7, vcc, s4, v7
	v_addc_co_u32_e32 v8, vcc, v14, v8, vcc
	flat_load_dwordx2 v[13:14], v[7:8]
	v_add_u32_e32 v11, s13, v12
	v_ashrrev_i32_e32 v12, 31, v11
	v_lshlrev_b64 v[9:10], 3, v[11:12]
	s_waitcnt vmcnt(0) lgkmcnt(0)
	buffer_store_dword v14, off, s[0:3], 0 offset:28
	buffer_store_dword v13, off, s[0:3], 0 offset:24
	v_add_co_u32_e32 v9, vcc, s4, v9
	v_addc_co_u32_e32 v10, vcc, v15, v10, vcc
	flat_load_dwordx2 v[13:14], v[9:10]
	v_add_u32_e32 v15, s13, v11
	v_ashrrev_i32_e32 v16, 31, v15
	v_lshlrev_b64 v[11:12], 3, v[15:16]
	v_add_u32_e32 v18, s13, v15
	v_add_co_u32_e32 v11, vcc, s4, v11
	v_addc_co_u32_e32 v12, vcc, v17, v12, vcc
	v_ashrrev_i32_e32 v19, 31, v18
	s_waitcnt vmcnt(0) lgkmcnt(0)
	buffer_store_dword v14, off, s[0:3], 0 offset:36
	buffer_store_dword v13, off, s[0:3], 0 offset:32
	flat_load_dwordx2 v[16:17], v[11:12]
	v_lshlrev_b64 v[13:14], 3, v[18:19]
	s_waitcnt vmcnt(0) lgkmcnt(0)
	buffer_store_dword v17, off, s[0:3], 0 offset:44
	buffer_store_dword v16, off, s[0:3], 0 offset:40
	v_add_co_u32_e32 v13, vcc, s4, v13
	v_addc_co_u32_e32 v14, vcc, v20, v14, vcc
	flat_load_dwordx2 v[19:20], v[13:14]
	v_add_u32_e32 v17, s13, v18
	v_ashrrev_i32_e32 v18, 31, v17
	v_lshlrev_b64 v[15:16], 3, v[17:18]
	s_waitcnt vmcnt(0) lgkmcnt(0)
	buffer_store_dword v20, off, s[0:3], 0 offset:52
	buffer_store_dword v19, off, s[0:3], 0 offset:48
	v_add_co_u32_e32 v15, vcc, s4, v15
	v_addc_co_u32_e32 v16, vcc, v21, v16, vcc
	flat_load_dwordx2 v[19:20], v[15:16]
	v_add_u32_e32 v21, s13, v17
	v_ashrrev_i32_e32 v22, 31, v21
	v_lshlrev_b64 v[17:18], 3, v[21:22]
	v_add_u32_e32 v24, s13, v21
	v_add_co_u32_e32 v17, vcc, s4, v17
	v_addc_co_u32_e32 v18, vcc, v23, v18, vcc
	v_ashrrev_i32_e32 v25, 31, v24
	s_waitcnt vmcnt(0) lgkmcnt(0)
	buffer_store_dword v20, off, s[0:3], 0 offset:60
	buffer_store_dword v19, off, s[0:3], 0 offset:56
	;; [unrolled: 27-line block ×7, first 2 shown]
	flat_load_dwordx2 v[52:53], v[47:48]
	v_lshlrev_b64 v[49:50], 3, v[54:55]
	s_waitcnt vmcnt(0) lgkmcnt(0)
	buffer_store_dword v53, off, s[0:3], 0 offset:188
	buffer_store_dword v52, off, s[0:3], 0 offset:184
	v_add_co_u32_e32 v49, vcc, s4, v49
	v_addc_co_u32_e32 v50, vcc, v56, v50, vcc
	flat_load_dwordx2 v[55:56], v[49:50]
	v_add_u32_e32 v53, s13, v54
	v_ashrrev_i32_e32 v54, 31, v53
	v_lshlrev_b64 v[51:52], 3, v[53:54]
	s_waitcnt vmcnt(0) lgkmcnt(0)
	buffer_store_dword v56, off, s[0:3], 0 offset:196
	buffer_store_dword v55, off, s[0:3], 0 offset:192
	v_add_co_u32_e32 v51, vcc, s4, v51
	v_addc_co_u32_e32 v52, vcc, v57, v52, vcc
	flat_load_dwordx2 v[55:56], v[51:52]
	v_add_u32_e32 v57, s13, v53
	v_ashrrev_i32_e32 v58, 31, v57
	v_lshlrev_b64 v[53:54], 3, v[57:58]
	v_add_u32_e32 v60, s13, v57
	v_add_co_u32_e32 v53, vcc, s4, v53
	v_addc_co_u32_e32 v54, vcc, v59, v54, vcc
	s_waitcnt vmcnt(0) lgkmcnt(0)
	buffer_store_dword v56, off, s[0:3], 0 offset:204
	buffer_store_dword v55, off, s[0:3], 0 offset:200
	flat_load_dwordx2 v[58:59], v[53:54]
	v_ashrrev_i32_e32 v61, 31, v60
	v_lshlrev_b64 v[55:56], 3, v[60:61]
	s_waitcnt vmcnt(0) lgkmcnt(0)
	buffer_store_dword v59, off, s[0:3], 0 offset:212
	buffer_store_dword v58, off, s[0:3], 0 offset:208
	v_add_co_u32_e32 v55, vcc, s4, v55
	v_addc_co_u32_e32 v56, vcc, v62, v56, vcc
	flat_load_dwordx2 v[61:62], v[55:56]
	v_add_u32_e32 v59, s13, v60
	v_ashrrev_i32_e32 v60, 31, v59
	v_lshlrev_b64 v[57:58], 3, v[59:60]
	s_waitcnt vmcnt(0) lgkmcnt(0)
	buffer_store_dword v62, off, s[0:3], 0 offset:220
	buffer_store_dword v61, off, s[0:3], 0 offset:216
	v_add_co_u32_e32 v57, vcc, s4, v57
	v_addc_co_u32_e32 v58, vcc, v63, v58, vcc
	flat_load_dwordx2 v[61:62], v[57:58]
	v_add_u32_e32 v63, s13, v59
	;; [unrolled: 9-line block ×18, first 2 shown]
	v_ashrrev_i32_e32 v92, 31, v91
	v_lshlrev_b64 v[91:92], 3, v[91:92]
	v_mov_b32_e32 v94, s5
	v_add_co_u32_e32 v91, vcc, s4, v91
	v_addc_co_u32_e32 v92, vcc, v94, v92, vcc
	s_waitcnt vmcnt(0) lgkmcnt(0)
	buffer_store_dword v97, off, s[0:3], 0 offset:356
	buffer_store_dword v96, off, s[0:3], 0 offset:352
	flat_load_dwordx2 v[96:97], v[91:92]
	v_mov_b32_e32 v93, 0
	v_mov_b32_e32 v94, 0xbff00000
	s_waitcnt vmcnt(0) lgkmcnt(0)
	buffer_store_dword v97, off, s[0:3], 0 offset:364
	buffer_store_dword v96, off, s[0:3], 0 offset:360
	s_cbranch_scc1 .LBB109_3
; %bb.2:
	v_mov_b32_e32 v93, 0
	v_lshl_add_u32 v104, v0, 3, v93
	buffer_load_dword v93, v104, s[0:3], 0 offen
	buffer_load_dword v94, v104, s[0:3], 0 offen offset:4
	s_waitcnt vmcnt(0)
	v_div_scale_f64 v[96:97], s[4:5], v[93:94], v[93:94], 1.0
	v_rcp_f64_e32 v[98:99], v[96:97]
	v_fma_f64 v[100:101], -v[96:97], v[98:99], 1.0
	v_fma_f64 v[98:99], v[98:99], v[100:101], v[98:99]
	v_div_scale_f64 v[100:101], vcc, 1.0, v[93:94], 1.0
	v_fma_f64 v[102:103], -v[96:97], v[98:99], 1.0
	v_fma_f64 v[98:99], v[98:99], v[102:103], v[98:99]
	v_mul_f64 v[102:103], v[100:101], v[98:99]
	v_fma_f64 v[96:97], -v[96:97], v[102:103], v[100:101]
	v_div_fmas_f64 v[96:97], v[96:97], v[98:99], v[102:103]
	v_div_fixup_f64 v[93:94], v[96:97], v[93:94], 1.0
	buffer_store_dword v93, v104, s[0:3], 0 offen
	buffer_store_dword v94, v104, s[0:3], 0 offen offset:4
	v_xor_b32_e32 v94, 0x80000000, v94
.LBB109_3:
	s_cmpk_eq_i32 s8, 0x79
	v_add_u32_e32 v96, 0x170, v95
	v_mov_b32_e32 v97, v95
	s_mov_b64 s[4:5], -1
	ds_write_b64 v95, v[93:94]
	s_cbranch_scc1 .LBB109_447
; %bb.4:
	buffer_load_dword v93, off, s[0:3], 0 offset:352
	buffer_load_dword v94, off, s[0:3], 0 offset:356
	s_movk_i32 s12, 0x48
	s_movk_i32 s13, 0x50
	;; [unrolled: 1-line block ×35, first 2 shown]
	v_cmp_eq_u32_e64 s[4:5], 45, v0
	s_waitcnt vmcnt(0)
	ds_write_b64 v96, v[93:94]
	s_waitcnt lgkmcnt(0)
	; wave barrier
	s_and_saveexec_b64 s[6:7], s[4:5]
	s_cbranch_execz .LBB109_10
; %bb.5:
	s_and_b64 vcc, exec, s[10:11]
	s_cbranch_vccz .LBB109_7
; %bb.6:
	buffer_load_dword v93, v97, s[0:3], 0 offen
	buffer_load_dword v94, v97, s[0:3], 0 offen offset:4
	ds_read_b64 v[98:99], v96
	s_waitcnt vmcnt(0) lgkmcnt(0)
	v_mul_f64 v[93:94], v[93:94], v[98:99]
	s_cbranch_execz .LBB109_8
	s_branch .LBB109_9
.LBB109_7:
                                        ; implicit-def: $vgpr93_vgpr94
.LBB109_8:
	ds_read_b64 v[93:94], v96
.LBB109_9:
	v_mov_b32_e32 v98, 0
	ds_read_b64 v[98:99], v98 offset:352
	s_waitcnt lgkmcnt(0)
	v_mul_f64 v[93:94], v[93:94], v[98:99]
	buffer_store_dword v94, off, s[0:3], 0 offset:356
	buffer_store_dword v93, off, s[0:3], 0 offset:352
.LBB109_10:
	s_or_b64 exec, exec, s[6:7]
	buffer_load_dword v93, off, s[0:3], 0 offset:344
	buffer_load_dword v94, off, s[0:3], 0 offset:348
	s_or_b32 s14, 0, 8
	s_mov_b32 s15, 16
	s_mov_b32 s16, 24
	s_mov_b32 s17, 32
	s_mov_b32 s18, 40
	s_mov_b32 s19, 48
	s_mov_b32 s20, 56
	s_mov_b32 s21, 64
	s_mov_b32 s22, s12
	s_mov_b32 s23, s13
	v_cmp_lt_u32_e64 s[6:7], 43, v0
	s_waitcnt vmcnt(0)
	ds_write_b64 v96, v[93:94]
	s_waitcnt lgkmcnt(0)
	; wave barrier
	s_and_saveexec_b64 s[8:9], s[6:7]
	s_cbranch_execz .LBB109_16
; %bb.11:
	s_andn2_b64 vcc, exec, s[10:11]
	s_cbranch_vccnz .LBB109_13
; %bb.12:
	buffer_load_dword v93, v97, s[0:3], 0 offen
	buffer_load_dword v94, v97, s[0:3], 0 offen offset:4
	ds_read_b64 v[98:99], v96
	s_waitcnt vmcnt(0) lgkmcnt(0)
	v_mul_f64 v[93:94], v[93:94], v[98:99]
	s_cbranch_execz .LBB109_14
	s_branch .LBB109_15
.LBB109_13:
                                        ; implicit-def: $vgpr93_vgpr94
.LBB109_14:
	ds_read_b64 v[93:94], v96
.LBB109_15:
	buffer_load_dword v102, off, s[0:3], 0 offset:352
	buffer_load_dword v103, off, s[0:3], 0 offset:356
	v_mov_b32_e32 v98, 0
	ds_read2_b64 v[98:101], v98 offset0:43 offset1:90
	s_waitcnt vmcnt(0) lgkmcnt(0)
	v_fma_f64 v[100:101], v[102:103], v[100:101], v[93:94]
	v_cndmask_b32_e64 v94, v94, v101, s[4:5]
	v_cndmask_b32_e64 v93, v93, v100, s[4:5]
	v_mul_f64 v[93:94], v[93:94], v[98:99]
	buffer_store_dword v94, off, s[0:3], 0 offset:348
	buffer_store_dword v93, off, s[0:3], 0 offset:344
.LBB109_16:
	s_or_b64 exec, exec, s[8:9]
	buffer_load_dword v93, off, s[0:3], 0 offset:336
	buffer_load_dword v94, off, s[0:3], 0 offset:340
	v_cmp_lt_u32_e64 s[4:5], 42, v0
	s_waitcnt vmcnt(0)
	ds_write_b64 v96, v[93:94]
	s_waitcnt lgkmcnt(0)
	; wave barrier
	s_and_saveexec_b64 s[8:9], s[4:5]
	s_cbranch_execz .LBB109_26
; %bb.17:
	s_andn2_b64 vcc, exec, s[10:11]
	s_cbranch_vccnz .LBB109_19
; %bb.18:
	buffer_load_dword v93, v97, s[0:3], 0 offen
	buffer_load_dword v94, v97, s[0:3], 0 offen offset:4
	ds_read_b64 v[98:99], v96
	s_waitcnt vmcnt(0) lgkmcnt(0)
	v_mul_f64 v[93:94], v[93:94], v[98:99]
	s_cbranch_execz .LBB109_20
	s_branch .LBB109_21
.LBB109_19:
                                        ; implicit-def: $vgpr93_vgpr94
.LBB109_20:
	ds_read_b64 v[93:94], v96
.LBB109_21:
	s_and_saveexec_b64 s[12:13], s[6:7]
	s_cbranch_execz .LBB109_25
; %bb.22:
	v_subrev_u32_e32 v98, 43, v0
	s_movk_i32 s58, 0x2c8
	s_mov_b64 s[6:7], 0
.LBB109_23:                             ; =>This Inner Loop Header: Depth=1
	v_mov_b32_e32 v100, s57
	buffer_load_dword v99, v100, s[0:3], 0 offen
	s_nop 0
	buffer_load_dword v100, v100, s[0:3], 0 offen offset:4
	v_mov_b32_e32 v101, s58
	ds_read_b64 v[101:102], v101
	v_add_u32_e32 v98, -1, v98
	s_add_i32 s58, s58, 8
	s_add_i32 s57, s57, 8
	v_cmp_eq_u32_e32 vcc, 0, v98
	s_or_b64 s[6:7], vcc, s[6:7]
	s_waitcnt vmcnt(0) lgkmcnt(0)
	v_fma_f64 v[93:94], v[99:100], v[101:102], v[93:94]
	s_andn2_b64 exec, exec, s[6:7]
	s_cbranch_execnz .LBB109_23
; %bb.24:
	s_or_b64 exec, exec, s[6:7]
.LBB109_25:
	s_or_b64 exec, exec, s[12:13]
	v_mov_b32_e32 v98, 0
	ds_read_b64 v[98:99], v98 offset:336
	s_waitcnt lgkmcnt(0)
	v_mul_f64 v[93:94], v[93:94], v[98:99]
	buffer_store_dword v94, off, s[0:3], 0 offset:340
	buffer_store_dword v93, off, s[0:3], 0 offset:336
.LBB109_26:
	s_or_b64 exec, exec, s[8:9]
	buffer_load_dword v93, off, s[0:3], 0 offset:328
	buffer_load_dword v94, off, s[0:3], 0 offset:332
	v_cmp_lt_u32_e64 s[6:7], 41, v0
	s_waitcnt vmcnt(0)
	ds_write_b64 v96, v[93:94]
	s_waitcnt lgkmcnt(0)
	; wave barrier
	s_and_saveexec_b64 s[8:9], s[6:7]
	s_cbranch_execz .LBB109_36
; %bb.27:
	s_andn2_b64 vcc, exec, s[10:11]
	s_cbranch_vccnz .LBB109_29
; %bb.28:
	buffer_load_dword v93, v97, s[0:3], 0 offen
	buffer_load_dword v94, v97, s[0:3], 0 offen offset:4
	ds_read_b64 v[98:99], v96
	s_waitcnt vmcnt(0) lgkmcnt(0)
	v_mul_f64 v[93:94], v[93:94], v[98:99]
	s_cbranch_execz .LBB109_30
	s_branch .LBB109_31
.LBB109_29:
                                        ; implicit-def: $vgpr93_vgpr94
.LBB109_30:
	ds_read_b64 v[93:94], v96
.LBB109_31:
	s_and_saveexec_b64 s[12:13], s[4:5]
	s_cbranch_execz .LBB109_35
; %bb.32:
	v_subrev_u32_e32 v98, 42, v0
	s_movk_i32 s57, 0x2c0
	s_mov_b64 s[4:5], 0
.LBB109_33:                             ; =>This Inner Loop Header: Depth=1
	v_mov_b32_e32 v100, s56
	buffer_load_dword v99, v100, s[0:3], 0 offen
	s_nop 0
	buffer_load_dword v100, v100, s[0:3], 0 offen offset:4
	v_mov_b32_e32 v101, s57
	ds_read_b64 v[101:102], v101
	v_add_u32_e32 v98, -1, v98
	s_add_i32 s57, s57, 8
	s_add_i32 s56, s56, 8
	v_cmp_eq_u32_e32 vcc, 0, v98
	s_or_b64 s[4:5], vcc, s[4:5]
	s_waitcnt vmcnt(0) lgkmcnt(0)
	v_fma_f64 v[93:94], v[99:100], v[101:102], v[93:94]
	s_andn2_b64 exec, exec, s[4:5]
	s_cbranch_execnz .LBB109_33
; %bb.34:
	s_or_b64 exec, exec, s[4:5]
.LBB109_35:
	s_or_b64 exec, exec, s[12:13]
	v_mov_b32_e32 v98, 0
	ds_read_b64 v[98:99], v98 offset:328
	s_waitcnt lgkmcnt(0)
	v_mul_f64 v[93:94], v[93:94], v[98:99]
	buffer_store_dword v94, off, s[0:3], 0 offset:332
	buffer_store_dword v93, off, s[0:3], 0 offset:328
.LBB109_36:
	;; [unrolled: 59-line block ×7, first 2 shown]
	s_or_b64 exec, exec, s[4:5]
	buffer_load_dword v93, off, s[0:3], 0 offset:280
	buffer_load_dword v94, off, s[0:3], 0 offset:284
	v_cmp_lt_u32_e64 s[4:5], 35, v0
	s_waitcnt vmcnt(0)
	ds_write_b64 v96, v[93:94]
	s_waitcnt lgkmcnt(0)
	; wave barrier
	s_and_saveexec_b64 s[6:7], s[4:5]
	s_cbranch_execz .LBB109_96
; %bb.87:
	s_andn2_b64 vcc, exec, s[10:11]
	s_cbranch_vccnz .LBB109_89
; %bb.88:
	buffer_load_dword v93, v97, s[0:3], 0 offen
	buffer_load_dword v94, v97, s[0:3], 0 offen offset:4
	ds_read_b64 v[98:99], v96
	s_waitcnt vmcnt(0) lgkmcnt(0)
	v_mul_f64 v[93:94], v[93:94], v[98:99]
	s_cbranch_execz .LBB109_90
	s_branch .LBB109_91
.LBB109_89:
                                        ; implicit-def: $vgpr93_vgpr94
.LBB109_90:
	ds_read_b64 v[93:94], v96
.LBB109_91:
	s_and_saveexec_b64 s[12:13], s[8:9]
	s_cbranch_execz .LBB109_95
; %bb.92:
	v_subrev_u32_e32 v98, 36, v0
	s_movk_i32 s51, 0x290
	s_mov_b64 s[8:9], 0
.LBB109_93:                             ; =>This Inner Loop Header: Depth=1
	v_mov_b32_e32 v101, s50
	buffer_load_dword v99, v101, s[0:3], 0 offen
	buffer_load_dword v100, v101, s[0:3], 0 offen offset:4
	v_mov_b32_e32 v101, s51
	ds_read_b64 v[101:102], v101
	v_add_u32_e32 v98, -1, v98
	s_add_i32 s51, s51, 8
	s_add_i32 s50, s50, 8
	v_cmp_eq_u32_e32 vcc, 0, v98
	s_or_b64 s[8:9], vcc, s[8:9]
	s_waitcnt vmcnt(0) lgkmcnt(0)
	v_fma_f64 v[93:94], v[99:100], v[101:102], v[93:94]
	s_andn2_b64 exec, exec, s[8:9]
	s_cbranch_execnz .LBB109_93
; %bb.94:
	s_or_b64 exec, exec, s[8:9]
.LBB109_95:
	s_or_b64 exec, exec, s[12:13]
	v_mov_b32_e32 v98, 0
	ds_read_b64 v[98:99], v98 offset:280
	s_waitcnt lgkmcnt(0)
	v_mul_f64 v[93:94], v[93:94], v[98:99]
	buffer_store_dword v94, off, s[0:3], 0 offset:284
	buffer_store_dword v93, off, s[0:3], 0 offset:280
.LBB109_96:
	s_or_b64 exec, exec, s[6:7]
	buffer_load_dword v93, off, s[0:3], 0 offset:272
	buffer_load_dword v94, off, s[0:3], 0 offset:276
	v_cmp_lt_u32_e64 s[6:7], 34, v0
	s_waitcnt vmcnt(0)
	ds_write_b64 v96, v[93:94]
	s_waitcnt lgkmcnt(0)
	; wave barrier
	s_and_saveexec_b64 s[8:9], s[6:7]
	s_cbranch_execz .LBB109_106
; %bb.97:
	s_andn2_b64 vcc, exec, s[10:11]
	s_cbranch_vccnz .LBB109_99
; %bb.98:
	buffer_load_dword v93, v97, s[0:3], 0 offen
	buffer_load_dword v94, v97, s[0:3], 0 offen offset:4
	ds_read_b64 v[98:99], v96
	s_waitcnt vmcnt(0) lgkmcnt(0)
	v_mul_f64 v[93:94], v[93:94], v[98:99]
	s_cbranch_execz .LBB109_100
	s_branch .LBB109_101
.LBB109_99:
                                        ; implicit-def: $vgpr93_vgpr94
.LBB109_100:
	ds_read_b64 v[93:94], v96
.LBB109_101:
	s_and_saveexec_b64 s[12:13], s[4:5]
	s_cbranch_execz .LBB109_105
; %bb.102:
	v_subrev_u32_e32 v98, 35, v0
	s_movk_i32 s50, 0x288
	s_mov_b64 s[4:5], 0
.LBB109_103:                            ; =>This Inner Loop Header: Depth=1
	v_mov_b32_e32 v101, s49
	buffer_load_dword v99, v101, s[0:3], 0 offen
	buffer_load_dword v100, v101, s[0:3], 0 offen offset:4
	v_mov_b32_e32 v101, s50
	ds_read_b64 v[101:102], v101
	v_add_u32_e32 v98, -1, v98
	s_add_i32 s50, s50, 8
	s_add_i32 s49, s49, 8
	v_cmp_eq_u32_e32 vcc, 0, v98
	s_or_b64 s[4:5], vcc, s[4:5]
	s_waitcnt vmcnt(0) lgkmcnt(0)
	v_fma_f64 v[93:94], v[99:100], v[101:102], v[93:94]
	s_andn2_b64 exec, exec, s[4:5]
	s_cbranch_execnz .LBB109_103
; %bb.104:
	s_or_b64 exec, exec, s[4:5]
.LBB109_105:
	s_or_b64 exec, exec, s[12:13]
	v_mov_b32_e32 v98, 0
	ds_read_b64 v[98:99], v98 offset:272
	s_waitcnt lgkmcnt(0)
	v_mul_f64 v[93:94], v[93:94], v[98:99]
	buffer_store_dword v94, off, s[0:3], 0 offset:276
	buffer_store_dword v93, off, s[0:3], 0 offset:272
.LBB109_106:
	s_or_b64 exec, exec, s[8:9]
	buffer_load_dword v93, off, s[0:3], 0 offset:264
	buffer_load_dword v94, off, s[0:3], 0 offset:268
	v_cmp_lt_u32_e64 s[4:5], 33, v0
	s_waitcnt vmcnt(0)
	ds_write_b64 v96, v[93:94]
	s_waitcnt lgkmcnt(0)
	; wave barrier
	s_and_saveexec_b64 s[8:9], s[4:5]
	s_cbranch_execz .LBB109_116
; %bb.107:
	s_andn2_b64 vcc, exec, s[10:11]
	s_cbranch_vccnz .LBB109_109
; %bb.108:
	buffer_load_dword v93, v97, s[0:3], 0 offen
	buffer_load_dword v94, v97, s[0:3], 0 offen offset:4
	ds_read_b64 v[98:99], v96
	s_waitcnt vmcnt(0) lgkmcnt(0)
	v_mul_f64 v[93:94], v[93:94], v[98:99]
	s_cbranch_execz .LBB109_110
	s_branch .LBB109_111
.LBB109_109:
                                        ; implicit-def: $vgpr93_vgpr94
.LBB109_110:
	ds_read_b64 v[93:94], v96
.LBB109_111:
	s_and_saveexec_b64 s[12:13], s[6:7]
	s_cbranch_execz .LBB109_115
; %bb.112:
	v_subrev_u32_e32 v98, 34, v0
	s_movk_i32 s49, 0x280
	s_mov_b64 s[6:7], 0
.LBB109_113:                            ; =>This Inner Loop Header: Depth=1
	v_mov_b32_e32 v101, s48
	buffer_load_dword v99, v101, s[0:3], 0 offen
	buffer_load_dword v100, v101, s[0:3], 0 offen offset:4
	v_mov_b32_e32 v101, s49
	ds_read_b64 v[101:102], v101
	v_add_u32_e32 v98, -1, v98
	s_add_i32 s49, s49, 8
	s_add_i32 s48, s48, 8
	v_cmp_eq_u32_e32 vcc, 0, v98
	s_or_b64 s[6:7], vcc, s[6:7]
	s_waitcnt vmcnt(0) lgkmcnt(0)
	v_fma_f64 v[93:94], v[99:100], v[101:102], v[93:94]
	s_andn2_b64 exec, exec, s[6:7]
	s_cbranch_execnz .LBB109_113
; %bb.114:
	s_or_b64 exec, exec, s[6:7]
.LBB109_115:
	s_or_b64 exec, exec, s[12:13]
	v_mov_b32_e32 v98, 0
	ds_read_b64 v[98:99], v98 offset:264
	s_waitcnt lgkmcnt(0)
	v_mul_f64 v[93:94], v[93:94], v[98:99]
	buffer_store_dword v94, off, s[0:3], 0 offset:268
	buffer_store_dword v93, off, s[0:3], 0 offset:264
.LBB109_116:
	;; [unrolled: 58-line block ×19, first 2 shown]
	s_or_b64 exec, exec, s[8:9]
	buffer_load_dword v93, off, s[0:3], 0 offset:120
	buffer_load_dword v94, off, s[0:3], 0 offset:124
	v_cmp_lt_u32_e64 s[4:5], 15, v0
	s_waitcnt vmcnt(0)
	ds_write_b64 v96, v[93:94]
	s_waitcnt lgkmcnt(0)
	; wave barrier
	s_and_saveexec_b64 s[8:9], s[4:5]
	s_cbranch_execz .LBB109_296
; %bb.287:
	s_andn2_b64 vcc, exec, s[10:11]
	s_cbranch_vccnz .LBB109_289
; %bb.288:
	buffer_load_dword v93, v97, s[0:3], 0 offen
	buffer_load_dword v94, v97, s[0:3], 0 offen offset:4
	ds_read_b64 v[98:99], v96
	s_waitcnt vmcnt(0) lgkmcnt(0)
	v_mul_f64 v[93:94], v[93:94], v[98:99]
	s_cbranch_execz .LBB109_290
	s_branch .LBB109_291
.LBB109_289:
                                        ; implicit-def: $vgpr93_vgpr94
.LBB109_290:
	ds_read_b64 v[93:94], v96
.LBB109_291:
	s_and_saveexec_b64 s[12:13], s[6:7]
	s_cbranch_execz .LBB109_295
; %bb.292:
	v_add_u32_e32 v98, -16, v0
	s_movk_i32 s30, 0x1f0
	s_mov_b64 s[6:7], 0
.LBB109_293:                            ; =>This Inner Loop Header: Depth=1
	v_mov_b32_e32 v101, s29
	buffer_load_dword v99, v101, s[0:3], 0 offen
	buffer_load_dword v100, v101, s[0:3], 0 offen offset:4
	v_mov_b32_e32 v101, s30
	ds_read_b64 v[101:102], v101
	v_add_u32_e32 v98, -1, v98
	s_add_i32 s30, s30, 8
	s_add_i32 s29, s29, 8
	v_cmp_eq_u32_e32 vcc, 0, v98
	s_or_b64 s[6:7], vcc, s[6:7]
	s_waitcnt vmcnt(0) lgkmcnt(0)
	v_fma_f64 v[93:94], v[99:100], v[101:102], v[93:94]
	s_andn2_b64 exec, exec, s[6:7]
	s_cbranch_execnz .LBB109_293
; %bb.294:
	s_or_b64 exec, exec, s[6:7]
.LBB109_295:
	s_or_b64 exec, exec, s[12:13]
	v_mov_b32_e32 v98, 0
	ds_read_b64 v[98:99], v98 offset:120
	s_waitcnt lgkmcnt(0)
	v_mul_f64 v[93:94], v[93:94], v[98:99]
	buffer_store_dword v94, off, s[0:3], 0 offset:124
	buffer_store_dword v93, off, s[0:3], 0 offset:120
.LBB109_296:
	s_or_b64 exec, exec, s[8:9]
	buffer_load_dword v93, off, s[0:3], 0 offset:112
	buffer_load_dword v94, off, s[0:3], 0 offset:116
	v_cmp_lt_u32_e64 s[6:7], 14, v0
	s_waitcnt vmcnt(0)
	ds_write_b64 v96, v[93:94]
	s_waitcnt lgkmcnt(0)
	; wave barrier
	s_and_saveexec_b64 s[8:9], s[6:7]
	s_cbranch_execz .LBB109_306
; %bb.297:
	s_andn2_b64 vcc, exec, s[10:11]
	s_cbranch_vccnz .LBB109_299
; %bb.298:
	buffer_load_dword v93, v97, s[0:3], 0 offen
	buffer_load_dword v94, v97, s[0:3], 0 offen offset:4
	ds_read_b64 v[98:99], v96
	s_waitcnt vmcnt(0) lgkmcnt(0)
	v_mul_f64 v[93:94], v[93:94], v[98:99]
	s_cbranch_execz .LBB109_300
	s_branch .LBB109_301
.LBB109_299:
                                        ; implicit-def: $vgpr93_vgpr94
.LBB109_300:
	ds_read_b64 v[93:94], v96
.LBB109_301:
	s_and_saveexec_b64 s[12:13], s[4:5]
	s_cbranch_execz .LBB109_305
; %bb.302:
	v_add_u32_e32 v98, -15, v0
	s_movk_i32 s29, 0x1e8
	s_mov_b64 s[4:5], 0
.LBB109_303:                            ; =>This Inner Loop Header: Depth=1
	v_mov_b32_e32 v101, s28
	buffer_load_dword v99, v101, s[0:3], 0 offen
	buffer_load_dword v100, v101, s[0:3], 0 offen offset:4
	v_mov_b32_e32 v101, s29
	ds_read_b64 v[101:102], v101
	v_add_u32_e32 v98, -1, v98
	s_add_i32 s29, s29, 8
	s_add_i32 s28, s28, 8
	v_cmp_eq_u32_e32 vcc, 0, v98
	s_or_b64 s[4:5], vcc, s[4:5]
	s_waitcnt vmcnt(0) lgkmcnt(0)
	v_fma_f64 v[93:94], v[99:100], v[101:102], v[93:94]
	s_andn2_b64 exec, exec, s[4:5]
	s_cbranch_execnz .LBB109_303
; %bb.304:
	s_or_b64 exec, exec, s[4:5]
.LBB109_305:
	s_or_b64 exec, exec, s[12:13]
	v_mov_b32_e32 v98, 0
	ds_read_b64 v[98:99], v98 offset:112
	s_waitcnt lgkmcnt(0)
	v_mul_f64 v[93:94], v[93:94], v[98:99]
	buffer_store_dword v94, off, s[0:3], 0 offset:116
	buffer_store_dword v93, off, s[0:3], 0 offset:112
.LBB109_306:
	;; [unrolled: 58-line block ×15, first 2 shown]
	s_or_b64 exec, exec, s[8:9]
	buffer_load_dword v93, off, s[0:3], 0
	buffer_load_dword v94, off, s[0:3], 0 offset:4
	v_cmp_ne_u32_e32 vcc, 0, v0
	s_waitcnt vmcnt(0)
	ds_write_b64 v96, v[93:94]
	s_waitcnt lgkmcnt(0)
	; wave barrier
	s_and_saveexec_b64 s[6:7], vcc
	s_cbranch_execz .LBB109_446
; %bb.437:
	s_andn2_b64 vcc, exec, s[10:11]
	s_cbranch_vccnz .LBB109_439
; %bb.438:
	buffer_load_dword v93, v97, s[0:3], 0 offen
	buffer_load_dword v94, v97, s[0:3], 0 offen offset:4
	ds_read_b64 v[98:99], v96
	s_waitcnt vmcnt(0) lgkmcnt(0)
	v_mul_f64 v[93:94], v[93:94], v[98:99]
	s_cbranch_execz .LBB109_440
	s_branch .LBB109_441
.LBB109_439:
                                        ; implicit-def: $vgpr93_vgpr94
.LBB109_440:
	ds_read_b64 v[93:94], v96
.LBB109_441:
	s_and_saveexec_b64 s[8:9], s[4:5]
	s_cbranch_execz .LBB109_445
; %bb.442:
	v_add_u32_e32 v98, -1, v0
	s_movk_i32 s12, 0x178
	s_mov_b64 s[4:5], 0
.LBB109_443:                            ; =>This Inner Loop Header: Depth=1
	v_mov_b32_e32 v101, s14
	buffer_load_dword v99, v101, s[0:3], 0 offen
	buffer_load_dword v100, v101, s[0:3], 0 offen offset:4
	v_mov_b32_e32 v101, s12
	ds_read_b64 v[101:102], v101
	v_add_u32_e32 v98, -1, v98
	s_add_i32 s12, s12, 8
	s_add_i32 s14, s14, 8
	v_cmp_eq_u32_e32 vcc, 0, v98
	s_or_b64 s[4:5], vcc, s[4:5]
	s_waitcnt vmcnt(0) lgkmcnt(0)
	v_fma_f64 v[93:94], v[99:100], v[101:102], v[93:94]
	s_andn2_b64 exec, exec, s[4:5]
	s_cbranch_execnz .LBB109_443
; %bb.444:
	s_or_b64 exec, exec, s[4:5]
.LBB109_445:
	s_or_b64 exec, exec, s[8:9]
	v_mov_b32_e32 v98, 0
	ds_read_b64 v[98:99], v98
	s_waitcnt lgkmcnt(0)
	v_mul_f64 v[93:94], v[93:94], v[98:99]
	buffer_store_dword v94, off, s[0:3], 0 offset:4
	buffer_store_dword v93, off, s[0:3], 0
.LBB109_446:
	s_or_b64 exec, exec, s[6:7]
	s_mov_b64 s[4:5], 0
.LBB109_447:
	s_and_b64 vcc, exec, s[4:5]
	s_cbranch_vccz .LBB109_889
; %bb.448:
	buffer_load_dword v93, off, s[0:3], 0 offset:8
	buffer_load_dword v94, off, s[0:3], 0 offset:12
	v_cmp_eq_u32_e64 s[6:7], 0, v0
	s_waitcnt vmcnt(0)
	ds_write_b64 v96, v[93:94]
	s_waitcnt lgkmcnt(0)
	; wave barrier
	s_and_saveexec_b64 s[4:5], s[6:7]
	s_cbranch_execz .LBB109_454
; %bb.449:
	s_and_b64 vcc, exec, s[10:11]
	s_cbranch_vccz .LBB109_451
; %bb.450:
	buffer_load_dword v93, v97, s[0:3], 0 offen
	buffer_load_dword v94, v97, s[0:3], 0 offen offset:4
	ds_read_b64 v[98:99], v96
	s_waitcnt vmcnt(0) lgkmcnt(0)
	v_mul_f64 v[93:94], v[93:94], v[98:99]
	s_cbranch_execz .LBB109_452
	s_branch .LBB109_453
.LBB109_451:
                                        ; implicit-def: $vgpr93_vgpr94
.LBB109_452:
	ds_read_b64 v[93:94], v96
.LBB109_453:
	v_mov_b32_e32 v98, 0
	ds_read_b64 v[98:99], v98 offset:8
	s_waitcnt lgkmcnt(0)
	v_mul_f64 v[93:94], v[93:94], v[98:99]
	buffer_store_dword v94, off, s[0:3], 0 offset:12
	buffer_store_dword v93, off, s[0:3], 0 offset:8
.LBB109_454:
	s_or_b64 exec, exec, s[4:5]
	buffer_load_dword v93, off, s[0:3], 0 offset:16
	buffer_load_dword v94, off, s[0:3], 0 offset:20
	v_cndmask_b32_e64 v98, 0, 1, s[10:11]
	v_cmp_gt_u32_e32 vcc, 2, v0
	v_cmp_ne_u32_e64 s[4:5], 1, v98
	s_waitcnt vmcnt(0)
	ds_write_b64 v96, v[93:94]
	s_waitcnt lgkmcnt(0)
	; wave barrier
	s_and_saveexec_b64 s[8:9], vcc
	s_cbranch_execz .LBB109_460
; %bb.455:
	s_and_b64 vcc, exec, s[4:5]
	s_cbranch_vccnz .LBB109_457
; %bb.456:
	buffer_load_dword v93, v97, s[0:3], 0 offen
	buffer_load_dword v94, v97, s[0:3], 0 offen offset:4
	ds_read_b64 v[98:99], v96
	s_waitcnt vmcnt(0) lgkmcnt(0)
	v_mul_f64 v[93:94], v[93:94], v[98:99]
	s_cbranch_execz .LBB109_458
	s_branch .LBB109_459
.LBB109_457:
                                        ; implicit-def: $vgpr93_vgpr94
.LBB109_458:
	ds_read_b64 v[93:94], v96
.LBB109_459:
	buffer_load_dword v102, off, s[0:3], 0 offset:8
	buffer_load_dword v103, off, s[0:3], 0 offset:12
	v_mov_b32_e32 v98, 0
	ds_read2_b64 v[98:101], v98 offset0:2 offset1:47
	s_waitcnt vmcnt(0) lgkmcnt(0)
	v_fma_f64 v[100:101], v[102:103], v[100:101], v[93:94]
	v_cndmask_b32_e64 v94, v94, v101, s[6:7]
	v_cndmask_b32_e64 v93, v93, v100, s[6:7]
	v_mul_f64 v[93:94], v[93:94], v[98:99]
	buffer_store_dword v94, off, s[0:3], 0 offset:20
	buffer_store_dword v93, off, s[0:3], 0 offset:16
.LBB109_460:
	s_or_b64 exec, exec, s[8:9]
	buffer_load_dword v93, off, s[0:3], 0 offset:24
	buffer_load_dword v94, off, s[0:3], 0 offset:28
	v_cmp_gt_u32_e32 vcc, 3, v0
	s_waitcnt vmcnt(0)
	ds_write_b64 v96, v[93:94]
	s_waitcnt lgkmcnt(0)
	; wave barrier
	s_and_saveexec_b64 s[8:9], vcc
	s_cbranch_execz .LBB109_468
; %bb.461:
	s_and_b64 vcc, exec, s[4:5]
	s_cbranch_vccnz .LBB109_463
; %bb.462:
	buffer_load_dword v93, v97, s[0:3], 0 offen
	buffer_load_dword v94, v97, s[0:3], 0 offen offset:4
	ds_read_b64 v[98:99], v96
	s_waitcnt vmcnt(0) lgkmcnt(0)
	v_mul_f64 v[93:94], v[93:94], v[98:99]
	s_cbranch_execz .LBB109_464
	s_branch .LBB109_465
.LBB109_463:
                                        ; implicit-def: $vgpr93_vgpr94
.LBB109_464:
	ds_read_b64 v[93:94], v96
.LBB109_465:
	v_cmp_ne_u32_e32 vcc, 2, v0
	s_and_saveexec_b64 s[10:11], vcc
	s_cbranch_execz .LBB109_467
; %bb.466:
	buffer_load_dword v98, v97, s[0:3], 0 offen offset:8
	buffer_load_dword v99, v97, s[0:3], 0 offen offset:12
	buffer_load_dword v100, off, s[0:3], 0 offset:16
	buffer_load_dword v101, off, s[0:3], 0 offset:20
	ds_read_b64 v[102:103], v96 offset:8
	v_mov_b32_e32 v104, 0
	ds_read_b64 v[104:105], v104 offset:384
	s_waitcnt vmcnt(2) lgkmcnt(1)
	v_fma_f64 v[93:94], v[98:99], v[102:103], v[93:94]
	s_waitcnt vmcnt(0) lgkmcnt(0)
	v_fma_f64 v[98:99], v[100:101], v[104:105], v[93:94]
	v_cndmask_b32_e64 v94, v94, v99, s[6:7]
	v_cndmask_b32_e64 v93, v93, v98, s[6:7]
.LBB109_467:
	s_or_b64 exec, exec, s[10:11]
	v_mov_b32_e32 v98, 0
	ds_read_b64 v[98:99], v98 offset:24
	s_waitcnt lgkmcnt(0)
	v_mul_f64 v[93:94], v[93:94], v[98:99]
	buffer_store_dword v94, off, s[0:3], 0 offset:28
	buffer_store_dword v93, off, s[0:3], 0 offset:24
.LBB109_468:
	s_or_b64 exec, exec, s[8:9]
	buffer_load_dword v93, off, s[0:3], 0 offset:32
	buffer_load_dword v94, off, s[0:3], 0 offset:36
	v_cmp_gt_u32_e32 vcc, 4, v0
	s_waitcnt vmcnt(0)
	ds_write_b64 v96, v[93:94]
	s_waitcnt lgkmcnt(0)
	; wave barrier
	s_and_saveexec_b64 s[6:7], vcc
	s_cbranch_execz .LBB109_478
; %bb.469:
	s_and_b64 vcc, exec, s[4:5]
	s_cbranch_vccnz .LBB109_471
; %bb.470:
	buffer_load_dword v93, v97, s[0:3], 0 offen
	buffer_load_dword v94, v97, s[0:3], 0 offen offset:4
	ds_read_b64 v[98:99], v96
	s_waitcnt vmcnt(0) lgkmcnt(0)
	v_mul_f64 v[93:94], v[93:94], v[98:99]
	s_cbranch_execz .LBB109_472
	s_branch .LBB109_473
.LBB109_471:
                                        ; implicit-def: $vgpr93_vgpr94
.LBB109_472:
	ds_read_b64 v[93:94], v96
.LBB109_473:
	v_cmp_ne_u32_e32 vcc, 3, v0
	s_and_saveexec_b64 s[8:9], vcc
	s_cbranch_execz .LBB109_477
; %bb.474:
	s_mov_b32 s10, 0
	v_add_u32_e32 v98, 0x178, v95
	v_add3_u32 v99, v95, s10, 8
	s_mov_b64 s[10:11], 0
	v_mov_b32_e32 v100, v0
.LBB109_475:                            ; =>This Inner Loop Header: Depth=1
	buffer_load_dword v101, v99, s[0:3], 0 offen
	buffer_load_dword v102, v99, s[0:3], 0 offen offset:4
	ds_read_b64 v[103:104], v98
	v_add_u32_e32 v100, 1, v100
	v_cmp_lt_u32_e32 vcc, 2, v100
	v_add_u32_e32 v98, 8, v98
	s_or_b64 s[10:11], vcc, s[10:11]
	v_add_u32_e32 v99, 8, v99
	s_waitcnt vmcnt(0) lgkmcnt(0)
	v_fma_f64 v[93:94], v[101:102], v[103:104], v[93:94]
	s_andn2_b64 exec, exec, s[10:11]
	s_cbranch_execnz .LBB109_475
; %bb.476:
	s_or_b64 exec, exec, s[10:11]
.LBB109_477:
	s_or_b64 exec, exec, s[8:9]
	v_mov_b32_e32 v98, 0
	ds_read_b64 v[98:99], v98 offset:32
	s_waitcnt lgkmcnt(0)
	v_mul_f64 v[93:94], v[93:94], v[98:99]
	buffer_store_dword v94, off, s[0:3], 0 offset:36
	buffer_store_dword v93, off, s[0:3], 0 offset:32
.LBB109_478:
	s_or_b64 exec, exec, s[6:7]
	buffer_load_dword v93, off, s[0:3], 0 offset:40
	buffer_load_dword v94, off, s[0:3], 0 offset:44
	v_cmp_gt_u32_e32 vcc, 5, v0
	s_waitcnt vmcnt(0)
	ds_write_b64 v96, v[93:94]
	s_waitcnt lgkmcnt(0)
	; wave barrier
	s_and_saveexec_b64 s[6:7], vcc
	s_cbranch_execz .LBB109_488
; %bb.479:
	s_and_b64 vcc, exec, s[4:5]
	s_cbranch_vccnz .LBB109_481
; %bb.480:
	buffer_load_dword v93, v97, s[0:3], 0 offen
	buffer_load_dword v94, v97, s[0:3], 0 offen offset:4
	ds_read_b64 v[98:99], v96
	s_waitcnt vmcnt(0) lgkmcnt(0)
	v_mul_f64 v[93:94], v[93:94], v[98:99]
	s_cbranch_execz .LBB109_482
	s_branch .LBB109_483
.LBB109_481:
                                        ; implicit-def: $vgpr93_vgpr94
.LBB109_482:
	ds_read_b64 v[93:94], v96
.LBB109_483:
	v_cmp_ne_u32_e32 vcc, 4, v0
	s_and_saveexec_b64 s[8:9], vcc
	s_cbranch_execz .LBB109_487
; %bb.484:
	s_mov_b32 s10, 0
	v_add_u32_e32 v98, 0x178, v95
	v_add3_u32 v99, v95, s10, 8
	s_mov_b64 s[10:11], 0
	v_mov_b32_e32 v100, v0
.LBB109_485:                            ; =>This Inner Loop Header: Depth=1
	buffer_load_dword v101, v99, s[0:3], 0 offen
	buffer_load_dword v102, v99, s[0:3], 0 offen offset:4
	ds_read_b64 v[103:104], v98
	v_add_u32_e32 v100, 1, v100
	v_cmp_lt_u32_e32 vcc, 3, v100
	v_add_u32_e32 v98, 8, v98
	s_or_b64 s[10:11], vcc, s[10:11]
	v_add_u32_e32 v99, 8, v99
	s_waitcnt vmcnt(0) lgkmcnt(0)
	v_fma_f64 v[93:94], v[101:102], v[103:104], v[93:94]
	s_andn2_b64 exec, exec, s[10:11]
	s_cbranch_execnz .LBB109_485
; %bb.486:
	s_or_b64 exec, exec, s[10:11]
.LBB109_487:
	s_or_b64 exec, exec, s[8:9]
	v_mov_b32_e32 v98, 0
	ds_read_b64 v[98:99], v98 offset:40
	s_waitcnt lgkmcnt(0)
	v_mul_f64 v[93:94], v[93:94], v[98:99]
	buffer_store_dword v94, off, s[0:3], 0 offset:44
	buffer_store_dword v93, off, s[0:3], 0 offset:40
.LBB109_488:
	;; [unrolled: 59-line block ×40, first 2 shown]
	s_or_b64 exec, exec, s[6:7]
	buffer_load_dword v93, off, s[0:3], 0 offset:352
	buffer_load_dword v94, off, s[0:3], 0 offset:356
	v_cmp_gt_u32_e64 s[6:7], 44, v0
	s_waitcnt vmcnt(0)
	ds_write_b64 v96, v[93:94]
	s_waitcnt lgkmcnt(0)
	; wave barrier
	s_and_saveexec_b64 s[8:9], s[6:7]
	s_cbranch_execz .LBB109_878
; %bb.869:
	s_and_b64 vcc, exec, s[4:5]
	s_cbranch_vccnz .LBB109_871
; %bb.870:
	buffer_load_dword v93, v97, s[0:3], 0 offen
	buffer_load_dword v94, v97, s[0:3], 0 offen offset:4
	ds_read_b64 v[98:99], v96
	s_waitcnt vmcnt(0) lgkmcnt(0)
	v_mul_f64 v[93:94], v[93:94], v[98:99]
	s_cbranch_execz .LBB109_872
	s_branch .LBB109_873
.LBB109_871:
                                        ; implicit-def: $vgpr93_vgpr94
.LBB109_872:
	ds_read_b64 v[93:94], v96
.LBB109_873:
	v_cmp_ne_u32_e32 vcc, 43, v0
	s_and_saveexec_b64 s[10:11], vcc
	s_cbranch_execz .LBB109_877
; %bb.874:
	s_mov_b32 s12, 0
	v_add_u32_e32 v98, 0x178, v95
	v_add3_u32 v99, v95, s12, 8
	s_mov_b64 s[12:13], 0
	v_mov_b32_e32 v100, v0
.LBB109_875:                            ; =>This Inner Loop Header: Depth=1
	buffer_load_dword v101, v99, s[0:3], 0 offen
	buffer_load_dword v102, v99, s[0:3], 0 offen offset:4
	ds_read_b64 v[103:104], v98
	v_add_u32_e32 v100, 1, v100
	v_cmp_lt_u32_e32 vcc, 42, v100
	v_add_u32_e32 v98, 8, v98
	s_or_b64 s[12:13], vcc, s[12:13]
	v_add_u32_e32 v99, 8, v99
	s_waitcnt vmcnt(0) lgkmcnt(0)
	v_fma_f64 v[93:94], v[101:102], v[103:104], v[93:94]
	s_andn2_b64 exec, exec, s[12:13]
	s_cbranch_execnz .LBB109_875
; %bb.876:
	s_or_b64 exec, exec, s[12:13]
.LBB109_877:
	s_or_b64 exec, exec, s[10:11]
	v_mov_b32_e32 v98, 0
	ds_read_b64 v[98:99], v98 offset:352
	s_waitcnt lgkmcnt(0)
	v_mul_f64 v[93:94], v[93:94], v[98:99]
	buffer_store_dword v94, off, s[0:3], 0 offset:356
	buffer_store_dword v93, off, s[0:3], 0 offset:352
.LBB109_878:
	s_or_b64 exec, exec, s[8:9]
	buffer_load_dword v93, off, s[0:3], 0 offset:360
	buffer_load_dword v94, off, s[0:3], 0 offset:364
	v_cmp_ne_u32_e32 vcc, 45, v0
	s_waitcnt vmcnt(0)
	ds_write_b64 v96, v[93:94]
	s_waitcnt lgkmcnt(0)
	; wave barrier
	s_and_saveexec_b64 s[8:9], vcc
	s_cbranch_execz .LBB109_888
; %bb.879:
	s_and_b64 vcc, exec, s[4:5]
	s_cbranch_vccnz .LBB109_881
; %bb.880:
	buffer_load_dword v93, v97, s[0:3], 0 offen
	buffer_load_dword v94, v97, s[0:3], 0 offen offset:4
	ds_read_b64 v[97:98], v96
	s_waitcnt vmcnt(0) lgkmcnt(0)
	v_mul_f64 v[93:94], v[93:94], v[97:98]
	s_cbranch_execz .LBB109_882
	s_branch .LBB109_883
.LBB109_881:
                                        ; implicit-def: $vgpr93_vgpr94
.LBB109_882:
	ds_read_b64 v[93:94], v96
.LBB109_883:
	s_and_saveexec_b64 s[4:5], s[6:7]
	s_cbranch_execz .LBB109_887
; %bb.884:
	s_mov_b32 s6, 0
	v_add_u32_e32 v96, 0x178, v95
	v_add3_u32 v95, v95, s6, 8
	s_mov_b64 s[6:7], 0
.LBB109_885:                            ; =>This Inner Loop Header: Depth=1
	buffer_load_dword v97, v95, s[0:3], 0 offen
	buffer_load_dword v98, v95, s[0:3], 0 offen offset:4
	ds_read_b64 v[99:100], v96
	v_add_u32_e32 v0, 1, v0
	v_cmp_lt_u32_e32 vcc, 43, v0
	v_add_u32_e32 v96, 8, v96
	s_or_b64 s[6:7], vcc, s[6:7]
	v_add_u32_e32 v95, 8, v95
	s_waitcnt vmcnt(0) lgkmcnt(0)
	v_fma_f64 v[93:94], v[97:98], v[99:100], v[93:94]
	s_andn2_b64 exec, exec, s[6:7]
	s_cbranch_execnz .LBB109_885
; %bb.886:
	s_or_b64 exec, exec, s[6:7]
.LBB109_887:
	s_or_b64 exec, exec, s[4:5]
	v_mov_b32_e32 v0, 0
	ds_read_b64 v[95:96], v0 offset:360
	s_waitcnt lgkmcnt(0)
	v_mul_f64 v[93:94], v[93:94], v[95:96]
	buffer_store_dword v94, off, s[0:3], 0 offset:364
	buffer_store_dword v93, off, s[0:3], 0 offset:360
.LBB109_888:
	s_or_b64 exec, exec, s[8:9]
.LBB109_889:
	buffer_load_dword v93, off, s[0:3], 0
	buffer_load_dword v94, off, s[0:3], 0 offset:4
	s_waitcnt vmcnt(0)
	flat_store_dwordx2 v[1:2], v[93:94]
	buffer_load_dword v0, off, s[0:3], 0 offset:8
	s_nop 0
	buffer_load_dword v1, off, s[0:3], 0 offset:12
	s_waitcnt vmcnt(0)
	flat_store_dwordx2 v[3:4], v[0:1]
	buffer_load_dword v0, off, s[0:3], 0 offset:16
	s_nop 0
	;; [unrolled: 5-line block ×45, first 2 shown]
	buffer_load_dword v1, off, s[0:3], 0 offset:364
	s_waitcnt vmcnt(0)
	flat_store_dwordx2 v[91:92], v[0:1]
.LBB109_890:
	s_endpgm
	.section	.rodata,"a",@progbits
	.p2align	6, 0x0
	.amdhsa_kernel _ZN9rocsolver6v33100L18trti2_kernel_smallILi46EdPKPdEEv13rocblas_fill_17rocblas_diagonal_T1_iil
		.amdhsa_group_segment_fixed_size 736
		.amdhsa_private_segment_fixed_size 384
		.amdhsa_kernarg_size 32
		.amdhsa_user_sgpr_count 6
		.amdhsa_user_sgpr_private_segment_buffer 1
		.amdhsa_user_sgpr_dispatch_ptr 0
		.amdhsa_user_sgpr_queue_ptr 0
		.amdhsa_user_sgpr_kernarg_segment_ptr 1
		.amdhsa_user_sgpr_dispatch_id 0
		.amdhsa_user_sgpr_flat_scratch_init 0
		.amdhsa_user_sgpr_private_segment_size 0
		.amdhsa_uses_dynamic_stack 0
		.amdhsa_system_sgpr_private_segment_wavefront_offset 1
		.amdhsa_system_sgpr_workgroup_id_x 1
		.amdhsa_system_sgpr_workgroup_id_y 0
		.amdhsa_system_sgpr_workgroup_id_z 0
		.amdhsa_system_sgpr_workgroup_info 0
		.amdhsa_system_vgpr_workitem_id 0
		.amdhsa_next_free_vgpr 106
		.amdhsa_next_free_sgpr 59
		.amdhsa_reserve_vcc 1
		.amdhsa_reserve_flat_scratch 0
		.amdhsa_float_round_mode_32 0
		.amdhsa_float_round_mode_16_64 0
		.amdhsa_float_denorm_mode_32 3
		.amdhsa_float_denorm_mode_16_64 3
		.amdhsa_dx10_clamp 1
		.amdhsa_ieee_mode 1
		.amdhsa_fp16_overflow 0
		.amdhsa_exception_fp_ieee_invalid_op 0
		.amdhsa_exception_fp_denorm_src 0
		.amdhsa_exception_fp_ieee_div_zero 0
		.amdhsa_exception_fp_ieee_overflow 0
		.amdhsa_exception_fp_ieee_underflow 0
		.amdhsa_exception_fp_ieee_inexact 0
		.amdhsa_exception_int_div_zero 0
	.end_amdhsa_kernel
	.section	.text._ZN9rocsolver6v33100L18trti2_kernel_smallILi46EdPKPdEEv13rocblas_fill_17rocblas_diagonal_T1_iil,"axG",@progbits,_ZN9rocsolver6v33100L18trti2_kernel_smallILi46EdPKPdEEv13rocblas_fill_17rocblas_diagonal_T1_iil,comdat
.Lfunc_end109:
	.size	_ZN9rocsolver6v33100L18trti2_kernel_smallILi46EdPKPdEEv13rocblas_fill_17rocblas_diagonal_T1_iil, .Lfunc_end109-_ZN9rocsolver6v33100L18trti2_kernel_smallILi46EdPKPdEEv13rocblas_fill_17rocblas_diagonal_T1_iil
                                        ; -- End function
	.set _ZN9rocsolver6v33100L18trti2_kernel_smallILi46EdPKPdEEv13rocblas_fill_17rocblas_diagonal_T1_iil.num_vgpr, 106
	.set _ZN9rocsolver6v33100L18trti2_kernel_smallILi46EdPKPdEEv13rocblas_fill_17rocblas_diagonal_T1_iil.num_agpr, 0
	.set _ZN9rocsolver6v33100L18trti2_kernel_smallILi46EdPKPdEEv13rocblas_fill_17rocblas_diagonal_T1_iil.numbered_sgpr, 59
	.set _ZN9rocsolver6v33100L18trti2_kernel_smallILi46EdPKPdEEv13rocblas_fill_17rocblas_diagonal_T1_iil.num_named_barrier, 0
	.set _ZN9rocsolver6v33100L18trti2_kernel_smallILi46EdPKPdEEv13rocblas_fill_17rocblas_diagonal_T1_iil.private_seg_size, 384
	.set _ZN9rocsolver6v33100L18trti2_kernel_smallILi46EdPKPdEEv13rocblas_fill_17rocblas_diagonal_T1_iil.uses_vcc, 1
	.set _ZN9rocsolver6v33100L18trti2_kernel_smallILi46EdPKPdEEv13rocblas_fill_17rocblas_diagonal_T1_iil.uses_flat_scratch, 0
	.set _ZN9rocsolver6v33100L18trti2_kernel_smallILi46EdPKPdEEv13rocblas_fill_17rocblas_diagonal_T1_iil.has_dyn_sized_stack, 0
	.set _ZN9rocsolver6v33100L18trti2_kernel_smallILi46EdPKPdEEv13rocblas_fill_17rocblas_diagonal_T1_iil.has_recursion, 0
	.set _ZN9rocsolver6v33100L18trti2_kernel_smallILi46EdPKPdEEv13rocblas_fill_17rocblas_diagonal_T1_iil.has_indirect_call, 0
	.section	.AMDGPU.csdata,"",@progbits
; Kernel info:
; codeLenInByte = 27248
; TotalNumSgprs: 63
; NumVgprs: 106
; ScratchSize: 384
; MemoryBound: 0
; FloatMode: 240
; IeeeMode: 1
; LDSByteSize: 736 bytes/workgroup (compile time only)
; SGPRBlocks: 7
; VGPRBlocks: 26
; NumSGPRsForWavesPerEU: 63
; NumVGPRsForWavesPerEU: 106
; Occupancy: 2
; WaveLimiterHint : 1
; COMPUTE_PGM_RSRC2:SCRATCH_EN: 1
; COMPUTE_PGM_RSRC2:USER_SGPR: 6
; COMPUTE_PGM_RSRC2:TRAP_HANDLER: 0
; COMPUTE_PGM_RSRC2:TGID_X_EN: 1
; COMPUTE_PGM_RSRC2:TGID_Y_EN: 0
; COMPUTE_PGM_RSRC2:TGID_Z_EN: 0
; COMPUTE_PGM_RSRC2:TIDIG_COMP_CNT: 0
	.section	.text._ZN9rocsolver6v33100L18trti2_kernel_smallILi47EdPKPdEEv13rocblas_fill_17rocblas_diagonal_T1_iil,"axG",@progbits,_ZN9rocsolver6v33100L18trti2_kernel_smallILi47EdPKPdEEv13rocblas_fill_17rocblas_diagonal_T1_iil,comdat
	.globl	_ZN9rocsolver6v33100L18trti2_kernel_smallILi47EdPKPdEEv13rocblas_fill_17rocblas_diagonal_T1_iil ; -- Begin function _ZN9rocsolver6v33100L18trti2_kernel_smallILi47EdPKPdEEv13rocblas_fill_17rocblas_diagonal_T1_iil
	.p2align	8
	.type	_ZN9rocsolver6v33100L18trti2_kernel_smallILi47EdPKPdEEv13rocblas_fill_17rocblas_diagonal_T1_iil,@function
_ZN9rocsolver6v33100L18trti2_kernel_smallILi47EdPKPdEEv13rocblas_fill_17rocblas_diagonal_T1_iil: ; @_ZN9rocsolver6v33100L18trti2_kernel_smallILi47EdPKPdEEv13rocblas_fill_17rocblas_diagonal_T1_iil
; %bb.0:
	s_add_u32 s0, s0, s7
	s_addc_u32 s1, s1, 0
	v_cmp_gt_u32_e32 vcc, 47, v0
	s_and_saveexec_b64 s[8:9], vcc
	s_cbranch_execz .LBB110_910
; %bb.1:
	s_load_dwordx2 s[12:13], s[4:5], 0x10
	s_load_dwordx4 s[8:11], s[4:5], 0x0
	s_ashr_i32 s7, s6, 31
	s_lshl_b64 s[6:7], s[6:7], 3
	v_lshlrev_b32_e32 v97, 3, v0
	s_waitcnt lgkmcnt(0)
	s_ashr_i32 s5, s12, 31
	s_add_u32 s6, s10, s6
	s_addc_u32 s7, s11, s7
	s_load_dwordx2 s[6:7], s[6:7], 0x0
	s_mov_b32 s4, s12
	s_lshl_b64 s[4:5], s[4:5], 3
	s_waitcnt lgkmcnt(0)
	s_add_u32 s4, s6, s4
	s_addc_u32 s5, s7, s5
	v_mov_b32_e32 v2, s5
	v_add_co_u32_e32 v1, vcc, s4, v97
	v_addc_co_u32_e32 v2, vcc, 0, v2, vcc
	flat_load_dwordx2 v[5:6], v[1:2]
	s_mov_b32 s6, s13
	s_ashr_i32 s7, s13, 31
	s_lshl_b64 s[6:7], s[6:7], 3
	v_mov_b32_e32 v4, s7
	v_add_co_u32_e32 v3, vcc, s6, v1
	v_addc_co_u32_e32 v4, vcc, v2, v4, vcc
	s_add_i32 s6, s13, s13
	v_add_u32_e32 v9, s6, v0
	v_ashrrev_i32_e32 v10, 31, v9
	v_mov_b32_e32 v11, s5
	v_add_u32_e32 v12, s13, v9
	v_ashrrev_i32_e32 v13, 31, v12
	v_mov_b32_e32 v14, s5
	v_mov_b32_e32 v15, s5
	;; [unrolled: 1-line block ×43, first 2 shown]
	s_cmpk_lg_i32 s9, 0x84
	s_cselect_b64 s[10:11], -1, 0
	s_cmpk_eq_i32 s9, 0x84
	s_waitcnt vmcnt(0) lgkmcnt(0)
	buffer_store_dword v6, off, s[0:3], 0 offset:4
	buffer_store_dword v5, off, s[0:3], 0
	flat_load_dwordx2 v[7:8], v[3:4]
	v_lshlrev_b64 v[5:6], 3, v[9:10]
	s_waitcnt vmcnt(0) lgkmcnt(0)
	buffer_store_dword v8, off, s[0:3], 0 offset:12
	buffer_store_dword v7, off, s[0:3], 0 offset:8
	v_add_co_u32_e32 v5, vcc, s4, v5
	v_addc_co_u32_e32 v6, vcc, v11, v6, vcc
	flat_load_dwordx2 v[10:11], v[5:6]
	v_lshlrev_b64 v[7:8], 3, v[12:13]
	s_waitcnt vmcnt(0) lgkmcnt(0)
	buffer_store_dword v11, off, s[0:3], 0 offset:20
	buffer_store_dword v10, off, s[0:3], 0 offset:16
	v_add_co_u32_e32 v7, vcc, s4, v7
	v_addc_co_u32_e32 v8, vcc, v14, v8, vcc
	flat_load_dwordx2 v[13:14], v[7:8]
	v_add_u32_e32 v11, s13, v12
	v_ashrrev_i32_e32 v12, 31, v11
	v_lshlrev_b64 v[9:10], 3, v[11:12]
	s_waitcnt vmcnt(0) lgkmcnt(0)
	buffer_store_dword v14, off, s[0:3], 0 offset:28
	buffer_store_dword v13, off, s[0:3], 0 offset:24
	v_add_co_u32_e32 v9, vcc, s4, v9
	v_addc_co_u32_e32 v10, vcc, v15, v10, vcc
	flat_load_dwordx2 v[13:14], v[9:10]
	v_add_u32_e32 v15, s13, v11
	v_ashrrev_i32_e32 v16, 31, v15
	v_lshlrev_b64 v[11:12], 3, v[15:16]
	v_add_u32_e32 v18, s13, v15
	v_add_co_u32_e32 v11, vcc, s4, v11
	v_addc_co_u32_e32 v12, vcc, v17, v12, vcc
	v_ashrrev_i32_e32 v19, 31, v18
	s_waitcnt vmcnt(0) lgkmcnt(0)
	buffer_store_dword v14, off, s[0:3], 0 offset:36
	buffer_store_dword v13, off, s[0:3], 0 offset:32
	flat_load_dwordx2 v[16:17], v[11:12]
	v_lshlrev_b64 v[13:14], 3, v[18:19]
	s_waitcnt vmcnt(0) lgkmcnt(0)
	buffer_store_dword v17, off, s[0:3], 0 offset:44
	buffer_store_dword v16, off, s[0:3], 0 offset:40
	v_add_co_u32_e32 v13, vcc, s4, v13
	v_addc_co_u32_e32 v14, vcc, v20, v14, vcc
	flat_load_dwordx2 v[19:20], v[13:14]
	v_add_u32_e32 v17, s13, v18
	v_ashrrev_i32_e32 v18, 31, v17
	v_lshlrev_b64 v[15:16], 3, v[17:18]
	s_waitcnt vmcnt(0) lgkmcnt(0)
	buffer_store_dword v20, off, s[0:3], 0 offset:52
	buffer_store_dword v19, off, s[0:3], 0 offset:48
	v_add_co_u32_e32 v15, vcc, s4, v15
	v_addc_co_u32_e32 v16, vcc, v21, v16, vcc
	flat_load_dwordx2 v[19:20], v[15:16]
	v_add_u32_e32 v21, s13, v17
	v_ashrrev_i32_e32 v22, 31, v21
	v_lshlrev_b64 v[17:18], 3, v[21:22]
	v_add_u32_e32 v24, s13, v21
	v_add_co_u32_e32 v17, vcc, s4, v17
	v_addc_co_u32_e32 v18, vcc, v23, v18, vcc
	v_ashrrev_i32_e32 v25, 31, v24
	s_waitcnt vmcnt(0) lgkmcnt(0)
	buffer_store_dword v20, off, s[0:3], 0 offset:60
	buffer_store_dword v19, off, s[0:3], 0 offset:56
	flat_load_dwordx2 v[22:23], v[17:18]
	v_lshlrev_b64 v[19:20], 3, v[24:25]
	s_waitcnt vmcnt(0) lgkmcnt(0)
	buffer_store_dword v23, off, s[0:3], 0 offset:68
	buffer_store_dword v22, off, s[0:3], 0 offset:64
	v_add_co_u32_e32 v19, vcc, s4, v19
	v_addc_co_u32_e32 v20, vcc, v26, v20, vcc
	flat_load_dwordx2 v[25:26], v[19:20]
	v_add_u32_e32 v23, s13, v24
	v_ashrrev_i32_e32 v24, 31, v23
	v_lshlrev_b64 v[21:22], 3, v[23:24]
	s_waitcnt vmcnt(0) lgkmcnt(0)
	buffer_store_dword v26, off, s[0:3], 0 offset:76
	buffer_store_dword v25, off, s[0:3], 0 offset:72
	v_add_co_u32_e32 v21, vcc, s4, v21
	v_addc_co_u32_e32 v22, vcc, v27, v22, vcc
	flat_load_dwordx2 v[25:26], v[21:22]
	v_add_u32_e32 v27, s13, v23
	v_ashrrev_i32_e32 v28, 31, v27
	v_lshlrev_b64 v[23:24], 3, v[27:28]
	v_add_u32_e32 v30, s13, v27
	v_add_co_u32_e32 v23, vcc, s4, v23
	v_addc_co_u32_e32 v24, vcc, v29, v24, vcc
	v_ashrrev_i32_e32 v31, 31, v30
	s_waitcnt vmcnt(0) lgkmcnt(0)
	buffer_store_dword v26, off, s[0:3], 0 offset:84
	buffer_store_dword v25, off, s[0:3], 0 offset:80
	flat_load_dwordx2 v[28:29], v[23:24]
	v_lshlrev_b64 v[25:26], 3, v[30:31]
	s_waitcnt vmcnt(0) lgkmcnt(0)
	buffer_store_dword v29, off, s[0:3], 0 offset:92
	buffer_store_dword v28, off, s[0:3], 0 offset:88
	v_add_co_u32_e32 v25, vcc, s4, v25
	v_addc_co_u32_e32 v26, vcc, v32, v26, vcc
	flat_load_dwordx2 v[31:32], v[25:26]
	v_add_u32_e32 v29, s13, v30
	v_ashrrev_i32_e32 v30, 31, v29
	v_lshlrev_b64 v[27:28], 3, v[29:30]
	s_waitcnt vmcnt(0) lgkmcnt(0)
	buffer_store_dword v32, off, s[0:3], 0 offset:100
	buffer_store_dword v31, off, s[0:3], 0 offset:96
	v_add_co_u32_e32 v27, vcc, s4, v27
	v_addc_co_u32_e32 v28, vcc, v33, v28, vcc
	flat_load_dwordx2 v[31:32], v[27:28]
	v_add_u32_e32 v33, s13, v29
	v_ashrrev_i32_e32 v34, 31, v33
	v_lshlrev_b64 v[29:30], 3, v[33:34]
	v_add_u32_e32 v36, s13, v33
	v_add_co_u32_e32 v29, vcc, s4, v29
	v_addc_co_u32_e32 v30, vcc, v35, v30, vcc
	v_ashrrev_i32_e32 v37, 31, v36
	s_waitcnt vmcnt(0) lgkmcnt(0)
	buffer_store_dword v32, off, s[0:3], 0 offset:108
	buffer_store_dword v31, off, s[0:3], 0 offset:104
	flat_load_dwordx2 v[34:35], v[29:30]
	v_lshlrev_b64 v[31:32], 3, v[36:37]
	s_waitcnt vmcnt(0) lgkmcnt(0)
	buffer_store_dword v35, off, s[0:3], 0 offset:116
	buffer_store_dword v34, off, s[0:3], 0 offset:112
	v_add_co_u32_e32 v31, vcc, s4, v31
	v_addc_co_u32_e32 v32, vcc, v38, v32, vcc
	flat_load_dwordx2 v[37:38], v[31:32]
	v_add_u32_e32 v35, s13, v36
	v_ashrrev_i32_e32 v36, 31, v35
	v_lshlrev_b64 v[33:34], 3, v[35:36]
	s_waitcnt vmcnt(0) lgkmcnt(0)
	buffer_store_dword v38, off, s[0:3], 0 offset:124
	buffer_store_dword v37, off, s[0:3], 0 offset:120
	v_add_co_u32_e32 v33, vcc, s4, v33
	v_addc_co_u32_e32 v34, vcc, v39, v34, vcc
	flat_load_dwordx2 v[37:38], v[33:34]
	v_add_u32_e32 v39, s13, v35
	v_ashrrev_i32_e32 v40, 31, v39
	v_lshlrev_b64 v[35:36], 3, v[39:40]
	v_add_u32_e32 v42, s13, v39
	v_add_co_u32_e32 v35, vcc, s4, v35
	v_addc_co_u32_e32 v36, vcc, v41, v36, vcc
	v_ashrrev_i32_e32 v43, 31, v42
	s_waitcnt vmcnt(0) lgkmcnt(0)
	buffer_store_dword v38, off, s[0:3], 0 offset:132
	buffer_store_dword v37, off, s[0:3], 0 offset:128
	flat_load_dwordx2 v[40:41], v[35:36]
	v_lshlrev_b64 v[37:38], 3, v[42:43]
	s_waitcnt vmcnt(0) lgkmcnt(0)
	buffer_store_dword v41, off, s[0:3], 0 offset:140
	buffer_store_dword v40, off, s[0:3], 0 offset:136
	v_add_co_u32_e32 v37, vcc, s4, v37
	v_addc_co_u32_e32 v38, vcc, v44, v38, vcc
	flat_load_dwordx2 v[43:44], v[37:38]
	v_add_u32_e32 v41, s13, v42
	v_ashrrev_i32_e32 v42, 31, v41
	v_lshlrev_b64 v[39:40], 3, v[41:42]
	s_waitcnt vmcnt(0) lgkmcnt(0)
	buffer_store_dword v44, off, s[0:3], 0 offset:148
	buffer_store_dword v43, off, s[0:3], 0 offset:144
	v_add_co_u32_e32 v39, vcc, s4, v39
	v_addc_co_u32_e32 v40, vcc, v45, v40, vcc
	flat_load_dwordx2 v[43:44], v[39:40]
	v_add_u32_e32 v45, s13, v41
	v_ashrrev_i32_e32 v46, 31, v45
	v_lshlrev_b64 v[41:42], 3, v[45:46]
	v_add_u32_e32 v48, s13, v45
	v_add_co_u32_e32 v41, vcc, s4, v41
	v_addc_co_u32_e32 v42, vcc, v47, v42, vcc
	v_ashrrev_i32_e32 v49, 31, v48
	s_waitcnt vmcnt(0) lgkmcnt(0)
	buffer_store_dword v44, off, s[0:3], 0 offset:156
	buffer_store_dword v43, off, s[0:3], 0 offset:152
	flat_load_dwordx2 v[46:47], v[41:42]
	v_lshlrev_b64 v[43:44], 3, v[48:49]
	s_waitcnt vmcnt(0) lgkmcnt(0)
	buffer_store_dword v47, off, s[0:3], 0 offset:164
	buffer_store_dword v46, off, s[0:3], 0 offset:160
	v_add_co_u32_e32 v43, vcc, s4, v43
	v_addc_co_u32_e32 v44, vcc, v50, v44, vcc
	flat_load_dwordx2 v[49:50], v[43:44]
	v_add_u32_e32 v47, s13, v48
	v_ashrrev_i32_e32 v48, 31, v47
	v_lshlrev_b64 v[45:46], 3, v[47:48]
	s_waitcnt vmcnt(0) lgkmcnt(0)
	buffer_store_dword v50, off, s[0:3], 0 offset:172
	buffer_store_dword v49, off, s[0:3], 0 offset:168
	v_add_co_u32_e32 v45, vcc, s4, v45
	v_addc_co_u32_e32 v46, vcc, v51, v46, vcc
	flat_load_dwordx2 v[49:50], v[45:46]
	v_add_u32_e32 v51, s13, v47
	v_ashrrev_i32_e32 v52, 31, v51
	v_lshlrev_b64 v[47:48], 3, v[51:52]
	v_add_u32_e32 v54, s13, v51
	v_add_co_u32_e32 v47, vcc, s4, v47
	v_addc_co_u32_e32 v48, vcc, v53, v48, vcc
	v_ashrrev_i32_e32 v55, 31, v54
	s_waitcnt vmcnt(0) lgkmcnt(0)
	buffer_store_dword v50, off, s[0:3], 0 offset:180
	buffer_store_dword v49, off, s[0:3], 0 offset:176
	flat_load_dwordx2 v[52:53], v[47:48]
	v_lshlrev_b64 v[49:50], 3, v[54:55]
	s_waitcnt vmcnt(0) lgkmcnt(0)
	buffer_store_dword v53, off, s[0:3], 0 offset:188
	buffer_store_dword v52, off, s[0:3], 0 offset:184
	v_add_co_u32_e32 v49, vcc, s4, v49
	v_addc_co_u32_e32 v50, vcc, v56, v50, vcc
	flat_load_dwordx2 v[55:56], v[49:50]
	v_add_u32_e32 v53, s13, v54
	v_ashrrev_i32_e32 v54, 31, v53
	v_lshlrev_b64 v[51:52], 3, v[53:54]
	s_waitcnt vmcnt(0) lgkmcnt(0)
	buffer_store_dword v56, off, s[0:3], 0 offset:196
	buffer_store_dword v55, off, s[0:3], 0 offset:192
	v_add_co_u32_e32 v51, vcc, s4, v51
	v_addc_co_u32_e32 v52, vcc, v57, v52, vcc
	flat_load_dwordx2 v[55:56], v[51:52]
	v_add_u32_e32 v57, s13, v53
	v_ashrrev_i32_e32 v58, 31, v57
	v_lshlrev_b64 v[53:54], 3, v[57:58]
	v_add_u32_e32 v60, s13, v57
	v_add_co_u32_e32 v53, vcc, s4, v53
	v_addc_co_u32_e32 v54, vcc, v59, v54, vcc
	s_waitcnt vmcnt(0) lgkmcnt(0)
	buffer_store_dword v56, off, s[0:3], 0 offset:204
	buffer_store_dword v55, off, s[0:3], 0 offset:200
	flat_load_dwordx2 v[58:59], v[53:54]
	v_ashrrev_i32_e32 v61, 31, v60
	v_lshlrev_b64 v[55:56], 3, v[60:61]
	s_waitcnt vmcnt(0) lgkmcnt(0)
	buffer_store_dword v59, off, s[0:3], 0 offset:212
	buffer_store_dword v58, off, s[0:3], 0 offset:208
	v_add_co_u32_e32 v55, vcc, s4, v55
	v_addc_co_u32_e32 v56, vcc, v62, v56, vcc
	flat_load_dwordx2 v[61:62], v[55:56]
	v_add_u32_e32 v59, s13, v60
	v_ashrrev_i32_e32 v60, 31, v59
	v_lshlrev_b64 v[57:58], 3, v[59:60]
	s_waitcnt vmcnt(0) lgkmcnt(0)
	buffer_store_dword v62, off, s[0:3], 0 offset:220
	buffer_store_dword v61, off, s[0:3], 0 offset:216
	v_add_co_u32_e32 v57, vcc, s4, v57
	v_addc_co_u32_e32 v58, vcc, v63, v58, vcc
	flat_load_dwordx2 v[61:62], v[57:58]
	v_add_u32_e32 v63, s13, v59
	;; [unrolled: 9-line block ×19, first 2 shown]
	v_ashrrev_i32_e32 v94, 31, v93
	v_lshlrev_b64 v[93:94], 3, v[93:94]
	v_mov_b32_e32 v99, s5
	v_add_co_u32_e32 v93, vcc, s4, v93
	v_addc_co_u32_e32 v94, vcc, v99, v94, vcc
	s_waitcnt vmcnt(0) lgkmcnt(0)
	buffer_store_dword v96, off, s[0:3], 0 offset:364
	buffer_store_dword v95, off, s[0:3], 0 offset:360
	flat_load_dwordx2 v[98:99], v[93:94]
	v_mov_b32_e32 v95, 0
	v_mov_b32_e32 v96, 0xbff00000
	s_waitcnt vmcnt(0) lgkmcnt(0)
	buffer_store_dword v99, off, s[0:3], 0 offset:372
	buffer_store_dword v98, off, s[0:3], 0 offset:368
	s_cbranch_scc1 .LBB110_3
; %bb.2:
	v_mov_b32_e32 v95, 0
	v_lshl_add_u32 v106, v0, 3, v95
	buffer_load_dword v95, v106, s[0:3], 0 offen
	buffer_load_dword v96, v106, s[0:3], 0 offen offset:4
	s_waitcnt vmcnt(0)
	v_div_scale_f64 v[98:99], s[4:5], v[95:96], v[95:96], 1.0
	v_rcp_f64_e32 v[100:101], v[98:99]
	v_fma_f64 v[102:103], -v[98:99], v[100:101], 1.0
	v_fma_f64 v[100:101], v[100:101], v[102:103], v[100:101]
	v_div_scale_f64 v[102:103], vcc, 1.0, v[95:96], 1.0
	v_fma_f64 v[104:105], -v[98:99], v[100:101], 1.0
	v_fma_f64 v[100:101], v[100:101], v[104:105], v[100:101]
	v_mul_f64 v[104:105], v[102:103], v[100:101]
	v_fma_f64 v[98:99], -v[98:99], v[104:105], v[102:103]
	v_div_fmas_f64 v[98:99], v[98:99], v[100:101], v[104:105]
	v_div_fixup_f64 v[95:96], v[98:99], v[95:96], 1.0
	buffer_store_dword v95, v106, s[0:3], 0 offen
	buffer_store_dword v96, v106, s[0:3], 0 offen offset:4
	v_xor_b32_e32 v96, 0x80000000, v96
.LBB110_3:
	s_cmpk_eq_i32 s8, 0x79
	v_add_u32_e32 v98, 0x180, v97
	v_mov_b32_e32 v99, v97
	s_mov_b64 s[4:5], -1
	ds_write_b64 v97, v[95:96]
	s_cbranch_scc1 .LBB110_457
; %bb.4:
	buffer_load_dword v95, off, s[0:3], 0 offset:360
	buffer_load_dword v96, off, s[0:3], 0 offset:364
	s_movk_i32 s12, 0x48
	s_movk_i32 s13, 0x50
	;; [unrolled: 1-line block ×36, first 2 shown]
	v_cmp_eq_u32_e64 s[4:5], 46, v0
	s_waitcnt vmcnt(0)
	ds_write_b64 v98, v[95:96]
	s_waitcnt lgkmcnt(0)
	; wave barrier
	s_and_saveexec_b64 s[6:7], s[4:5]
	s_cbranch_execz .LBB110_10
; %bb.5:
	s_and_b64 vcc, exec, s[10:11]
	s_cbranch_vccz .LBB110_7
; %bb.6:
	buffer_load_dword v95, v99, s[0:3], 0 offen
	buffer_load_dword v96, v99, s[0:3], 0 offen offset:4
	ds_read_b64 v[100:101], v98
	s_waitcnt vmcnt(0) lgkmcnt(0)
	v_mul_f64 v[95:96], v[95:96], v[100:101]
	s_cbranch_execz .LBB110_8
	s_branch .LBB110_9
.LBB110_7:
                                        ; implicit-def: $vgpr95_vgpr96
.LBB110_8:
	ds_read_b64 v[95:96], v98
.LBB110_9:
	v_mov_b32_e32 v100, 0
	ds_read_b64 v[100:101], v100 offset:360
	s_waitcnt lgkmcnt(0)
	v_mul_f64 v[95:96], v[95:96], v[100:101]
	buffer_store_dword v96, off, s[0:3], 0 offset:364
	buffer_store_dword v95, off, s[0:3], 0 offset:360
.LBB110_10:
	s_or_b64 exec, exec, s[6:7]
	buffer_load_dword v95, off, s[0:3], 0 offset:352
	buffer_load_dword v96, off, s[0:3], 0 offset:356
	s_or_b32 s14, 0, 8
	s_mov_b32 s15, 16
	s_mov_b32 s16, 24
	;; [unrolled: 1-line block ×9, first 2 shown]
	v_cmp_lt_u32_e64 s[6:7], 44, v0
	s_waitcnt vmcnt(0)
	ds_write_b64 v98, v[95:96]
	s_waitcnt lgkmcnt(0)
	; wave barrier
	s_and_saveexec_b64 s[8:9], s[6:7]
	s_cbranch_execz .LBB110_16
; %bb.11:
	s_andn2_b64 vcc, exec, s[10:11]
	s_cbranch_vccnz .LBB110_13
; %bb.12:
	buffer_load_dword v95, v99, s[0:3], 0 offen
	buffer_load_dword v96, v99, s[0:3], 0 offen offset:4
	ds_read_b64 v[100:101], v98
	s_waitcnt vmcnt(0) lgkmcnt(0)
	v_mul_f64 v[95:96], v[95:96], v[100:101]
	s_cbranch_execz .LBB110_14
	s_branch .LBB110_15
.LBB110_13:
                                        ; implicit-def: $vgpr95_vgpr96
.LBB110_14:
	ds_read_b64 v[95:96], v98
.LBB110_15:
	buffer_load_dword v104, off, s[0:3], 0 offset:360
	buffer_load_dword v105, off, s[0:3], 0 offset:364
	v_mov_b32_e32 v100, 0
	ds_read2_b64 v[100:103], v100 offset0:44 offset1:93
	s_waitcnt vmcnt(0) lgkmcnt(0)
	v_fma_f64 v[102:103], v[104:105], v[102:103], v[95:96]
	v_cndmask_b32_e64 v96, v96, v103, s[4:5]
	v_cndmask_b32_e64 v95, v95, v102, s[4:5]
	v_mul_f64 v[95:96], v[95:96], v[100:101]
	buffer_store_dword v96, off, s[0:3], 0 offset:356
	buffer_store_dword v95, off, s[0:3], 0 offset:352
.LBB110_16:
	s_or_b64 exec, exec, s[8:9]
	buffer_load_dword v95, off, s[0:3], 0 offset:344
	buffer_load_dword v96, off, s[0:3], 0 offset:348
	v_cmp_lt_u32_e64 s[4:5], 43, v0
	s_waitcnt vmcnt(0)
	ds_write_b64 v98, v[95:96]
	s_waitcnt lgkmcnt(0)
	; wave barrier
	s_and_saveexec_b64 s[8:9], s[4:5]
	s_cbranch_execz .LBB110_26
; %bb.17:
	s_andn2_b64 vcc, exec, s[10:11]
	s_cbranch_vccnz .LBB110_19
; %bb.18:
	buffer_load_dword v95, v99, s[0:3], 0 offen
	buffer_load_dword v96, v99, s[0:3], 0 offen offset:4
	ds_read_b64 v[100:101], v98
	s_waitcnt vmcnt(0) lgkmcnt(0)
	v_mul_f64 v[95:96], v[95:96], v[100:101]
	s_cbranch_execz .LBB110_20
	s_branch .LBB110_21
.LBB110_19:
                                        ; implicit-def: $vgpr95_vgpr96
.LBB110_20:
	ds_read_b64 v[95:96], v98
.LBB110_21:
	s_and_saveexec_b64 s[12:13], s[6:7]
	s_cbranch_execz .LBB110_25
; %bb.22:
	v_subrev_u32_e32 v100, 44, v0
	s_movk_i32 s59, 0x2e0
	s_mov_b64 s[6:7], 0
.LBB110_23:                             ; =>This Inner Loop Header: Depth=1
	v_mov_b32_e32 v102, s58
	buffer_load_dword v101, v102, s[0:3], 0 offen
	s_nop 0
	buffer_load_dword v102, v102, s[0:3], 0 offen offset:4
	v_mov_b32_e32 v103, s59
	ds_read_b64 v[103:104], v103
	v_add_u32_e32 v100, -1, v100
	s_add_i32 s59, s59, 8
	s_add_i32 s58, s58, 8
	v_cmp_eq_u32_e32 vcc, 0, v100
	s_or_b64 s[6:7], vcc, s[6:7]
	s_waitcnt vmcnt(0) lgkmcnt(0)
	v_fma_f64 v[95:96], v[101:102], v[103:104], v[95:96]
	s_andn2_b64 exec, exec, s[6:7]
	s_cbranch_execnz .LBB110_23
; %bb.24:
	s_or_b64 exec, exec, s[6:7]
.LBB110_25:
	s_or_b64 exec, exec, s[12:13]
	v_mov_b32_e32 v100, 0
	ds_read_b64 v[100:101], v100 offset:344
	s_waitcnt lgkmcnt(0)
	v_mul_f64 v[95:96], v[95:96], v[100:101]
	buffer_store_dword v96, off, s[0:3], 0 offset:348
	buffer_store_dword v95, off, s[0:3], 0 offset:344
.LBB110_26:
	s_or_b64 exec, exec, s[8:9]
	buffer_load_dword v95, off, s[0:3], 0 offset:336
	buffer_load_dword v96, off, s[0:3], 0 offset:340
	v_cmp_lt_u32_e64 s[6:7], 42, v0
	s_waitcnt vmcnt(0)
	ds_write_b64 v98, v[95:96]
	s_waitcnt lgkmcnt(0)
	; wave barrier
	s_and_saveexec_b64 s[8:9], s[6:7]
	s_cbranch_execz .LBB110_36
; %bb.27:
	s_andn2_b64 vcc, exec, s[10:11]
	s_cbranch_vccnz .LBB110_29
; %bb.28:
	buffer_load_dword v95, v99, s[0:3], 0 offen
	buffer_load_dword v96, v99, s[0:3], 0 offen offset:4
	ds_read_b64 v[100:101], v98
	s_waitcnt vmcnt(0) lgkmcnt(0)
	v_mul_f64 v[95:96], v[95:96], v[100:101]
	s_cbranch_execz .LBB110_30
	s_branch .LBB110_31
.LBB110_29:
                                        ; implicit-def: $vgpr95_vgpr96
.LBB110_30:
	ds_read_b64 v[95:96], v98
.LBB110_31:
	s_and_saveexec_b64 s[12:13], s[4:5]
	s_cbranch_execz .LBB110_35
; %bb.32:
	v_subrev_u32_e32 v100, 43, v0
	s_movk_i32 s58, 0x2d8
	s_mov_b64 s[4:5], 0
.LBB110_33:                             ; =>This Inner Loop Header: Depth=1
	v_mov_b32_e32 v102, s57
	buffer_load_dword v101, v102, s[0:3], 0 offen
	s_nop 0
	buffer_load_dword v102, v102, s[0:3], 0 offen offset:4
	v_mov_b32_e32 v103, s58
	ds_read_b64 v[103:104], v103
	v_add_u32_e32 v100, -1, v100
	s_add_i32 s58, s58, 8
	s_add_i32 s57, s57, 8
	v_cmp_eq_u32_e32 vcc, 0, v100
	s_or_b64 s[4:5], vcc, s[4:5]
	s_waitcnt vmcnt(0) lgkmcnt(0)
	v_fma_f64 v[95:96], v[101:102], v[103:104], v[95:96]
	s_andn2_b64 exec, exec, s[4:5]
	s_cbranch_execnz .LBB110_33
; %bb.34:
	s_or_b64 exec, exec, s[4:5]
.LBB110_35:
	s_or_b64 exec, exec, s[12:13]
	v_mov_b32_e32 v100, 0
	ds_read_b64 v[100:101], v100 offset:336
	s_waitcnt lgkmcnt(0)
	v_mul_f64 v[95:96], v[95:96], v[100:101]
	buffer_store_dword v96, off, s[0:3], 0 offset:340
	buffer_store_dword v95, off, s[0:3], 0 offset:336
.LBB110_36:
	;; [unrolled: 59-line block ×8, first 2 shown]
	s_or_b64 exec, exec, s[8:9]
	buffer_load_dword v95, off, s[0:3], 0 offset:280
	buffer_load_dword v96, off, s[0:3], 0 offset:284
	v_cmp_lt_u32_e64 s[4:5], 35, v0
	s_waitcnt vmcnt(0)
	ds_write_b64 v98, v[95:96]
	s_waitcnt lgkmcnt(0)
	; wave barrier
	s_and_saveexec_b64 s[8:9], s[4:5]
	s_cbranch_execz .LBB110_106
; %bb.97:
	s_andn2_b64 vcc, exec, s[10:11]
	s_cbranch_vccnz .LBB110_99
; %bb.98:
	buffer_load_dword v95, v99, s[0:3], 0 offen
	buffer_load_dword v96, v99, s[0:3], 0 offen offset:4
	ds_read_b64 v[100:101], v98
	s_waitcnt vmcnt(0) lgkmcnt(0)
	v_mul_f64 v[95:96], v[95:96], v[100:101]
	s_cbranch_execz .LBB110_100
	s_branch .LBB110_101
.LBB110_99:
                                        ; implicit-def: $vgpr95_vgpr96
.LBB110_100:
	ds_read_b64 v[95:96], v98
.LBB110_101:
	s_and_saveexec_b64 s[12:13], s[6:7]
	s_cbranch_execz .LBB110_105
; %bb.102:
	v_subrev_u32_e32 v100, 36, v0
	s_movk_i32 s51, 0x2a0
	s_mov_b64 s[6:7], 0
.LBB110_103:                            ; =>This Inner Loop Header: Depth=1
	v_mov_b32_e32 v103, s50
	buffer_load_dword v101, v103, s[0:3], 0 offen
	buffer_load_dword v102, v103, s[0:3], 0 offen offset:4
	v_mov_b32_e32 v103, s51
	ds_read_b64 v[103:104], v103
	v_add_u32_e32 v100, -1, v100
	s_add_i32 s51, s51, 8
	s_add_i32 s50, s50, 8
	v_cmp_eq_u32_e32 vcc, 0, v100
	s_or_b64 s[6:7], vcc, s[6:7]
	s_waitcnt vmcnt(0) lgkmcnt(0)
	v_fma_f64 v[95:96], v[101:102], v[103:104], v[95:96]
	s_andn2_b64 exec, exec, s[6:7]
	s_cbranch_execnz .LBB110_103
; %bb.104:
	s_or_b64 exec, exec, s[6:7]
.LBB110_105:
	s_or_b64 exec, exec, s[12:13]
	v_mov_b32_e32 v100, 0
	ds_read_b64 v[100:101], v100 offset:280
	s_waitcnt lgkmcnt(0)
	v_mul_f64 v[95:96], v[95:96], v[100:101]
	buffer_store_dword v96, off, s[0:3], 0 offset:284
	buffer_store_dword v95, off, s[0:3], 0 offset:280
.LBB110_106:
	s_or_b64 exec, exec, s[8:9]
	buffer_load_dword v95, off, s[0:3], 0 offset:272
	buffer_load_dword v96, off, s[0:3], 0 offset:276
	v_cmp_lt_u32_e64 s[6:7], 34, v0
	s_waitcnt vmcnt(0)
	ds_write_b64 v98, v[95:96]
	s_waitcnt lgkmcnt(0)
	; wave barrier
	s_and_saveexec_b64 s[8:9], s[6:7]
	s_cbranch_execz .LBB110_116
; %bb.107:
	s_andn2_b64 vcc, exec, s[10:11]
	s_cbranch_vccnz .LBB110_109
; %bb.108:
	buffer_load_dword v95, v99, s[0:3], 0 offen
	buffer_load_dword v96, v99, s[0:3], 0 offen offset:4
	ds_read_b64 v[100:101], v98
	s_waitcnt vmcnt(0) lgkmcnt(0)
	v_mul_f64 v[95:96], v[95:96], v[100:101]
	s_cbranch_execz .LBB110_110
	s_branch .LBB110_111
.LBB110_109:
                                        ; implicit-def: $vgpr95_vgpr96
.LBB110_110:
	ds_read_b64 v[95:96], v98
.LBB110_111:
	s_and_saveexec_b64 s[12:13], s[4:5]
	s_cbranch_execz .LBB110_115
; %bb.112:
	v_subrev_u32_e32 v100, 35, v0
	s_movk_i32 s50, 0x298
	s_mov_b64 s[4:5], 0
.LBB110_113:                            ; =>This Inner Loop Header: Depth=1
	v_mov_b32_e32 v103, s49
	buffer_load_dword v101, v103, s[0:3], 0 offen
	buffer_load_dword v102, v103, s[0:3], 0 offen offset:4
	v_mov_b32_e32 v103, s50
	ds_read_b64 v[103:104], v103
	v_add_u32_e32 v100, -1, v100
	s_add_i32 s50, s50, 8
	s_add_i32 s49, s49, 8
	v_cmp_eq_u32_e32 vcc, 0, v100
	s_or_b64 s[4:5], vcc, s[4:5]
	s_waitcnt vmcnt(0) lgkmcnt(0)
	v_fma_f64 v[95:96], v[101:102], v[103:104], v[95:96]
	s_andn2_b64 exec, exec, s[4:5]
	s_cbranch_execnz .LBB110_113
; %bb.114:
	s_or_b64 exec, exec, s[4:5]
.LBB110_115:
	s_or_b64 exec, exec, s[12:13]
	v_mov_b32_e32 v100, 0
	ds_read_b64 v[100:101], v100 offset:272
	s_waitcnt lgkmcnt(0)
	v_mul_f64 v[95:96], v[95:96], v[100:101]
	buffer_store_dword v96, off, s[0:3], 0 offset:276
	buffer_store_dword v95, off, s[0:3], 0 offset:272
.LBB110_116:
	;; [unrolled: 58-line block ×20, first 2 shown]
	s_or_b64 exec, exec, s[8:9]
	buffer_load_dword v95, off, s[0:3], 0 offset:120
	buffer_load_dword v96, off, s[0:3], 0 offset:124
	v_cmp_lt_u32_e64 s[4:5], 15, v0
	s_waitcnt vmcnt(0)
	ds_write_b64 v98, v[95:96]
	s_waitcnt lgkmcnt(0)
	; wave barrier
	s_and_saveexec_b64 s[8:9], s[4:5]
	s_cbranch_execz .LBB110_306
; %bb.297:
	s_andn2_b64 vcc, exec, s[10:11]
	s_cbranch_vccnz .LBB110_299
; %bb.298:
	buffer_load_dword v95, v99, s[0:3], 0 offen
	buffer_load_dword v96, v99, s[0:3], 0 offen offset:4
	ds_read_b64 v[100:101], v98
	s_waitcnt vmcnt(0) lgkmcnt(0)
	v_mul_f64 v[95:96], v[95:96], v[100:101]
	s_cbranch_execz .LBB110_300
	s_branch .LBB110_301
.LBB110_299:
                                        ; implicit-def: $vgpr95_vgpr96
.LBB110_300:
	ds_read_b64 v[95:96], v98
.LBB110_301:
	s_and_saveexec_b64 s[12:13], s[6:7]
	s_cbranch_execz .LBB110_305
; %bb.302:
	v_add_u32_e32 v100, -16, v0
	s_movk_i32 s30, 0x200
	s_mov_b64 s[6:7], 0
.LBB110_303:                            ; =>This Inner Loop Header: Depth=1
	v_mov_b32_e32 v103, s29
	buffer_load_dword v101, v103, s[0:3], 0 offen
	buffer_load_dword v102, v103, s[0:3], 0 offen offset:4
	v_mov_b32_e32 v103, s30
	ds_read_b64 v[103:104], v103
	v_add_u32_e32 v100, -1, v100
	s_add_i32 s30, s30, 8
	s_add_i32 s29, s29, 8
	v_cmp_eq_u32_e32 vcc, 0, v100
	s_or_b64 s[6:7], vcc, s[6:7]
	s_waitcnt vmcnt(0) lgkmcnt(0)
	v_fma_f64 v[95:96], v[101:102], v[103:104], v[95:96]
	s_andn2_b64 exec, exec, s[6:7]
	s_cbranch_execnz .LBB110_303
; %bb.304:
	s_or_b64 exec, exec, s[6:7]
.LBB110_305:
	s_or_b64 exec, exec, s[12:13]
	v_mov_b32_e32 v100, 0
	ds_read_b64 v[100:101], v100 offset:120
	s_waitcnt lgkmcnt(0)
	v_mul_f64 v[95:96], v[95:96], v[100:101]
	buffer_store_dword v96, off, s[0:3], 0 offset:124
	buffer_store_dword v95, off, s[0:3], 0 offset:120
.LBB110_306:
	s_or_b64 exec, exec, s[8:9]
	buffer_load_dword v95, off, s[0:3], 0 offset:112
	buffer_load_dword v96, off, s[0:3], 0 offset:116
	v_cmp_lt_u32_e64 s[6:7], 14, v0
	s_waitcnt vmcnt(0)
	ds_write_b64 v98, v[95:96]
	s_waitcnt lgkmcnt(0)
	; wave barrier
	s_and_saveexec_b64 s[8:9], s[6:7]
	s_cbranch_execz .LBB110_316
; %bb.307:
	s_andn2_b64 vcc, exec, s[10:11]
	s_cbranch_vccnz .LBB110_309
; %bb.308:
	buffer_load_dword v95, v99, s[0:3], 0 offen
	buffer_load_dword v96, v99, s[0:3], 0 offen offset:4
	ds_read_b64 v[100:101], v98
	s_waitcnt vmcnt(0) lgkmcnt(0)
	v_mul_f64 v[95:96], v[95:96], v[100:101]
	s_cbranch_execz .LBB110_310
	s_branch .LBB110_311
.LBB110_309:
                                        ; implicit-def: $vgpr95_vgpr96
.LBB110_310:
	ds_read_b64 v[95:96], v98
.LBB110_311:
	s_and_saveexec_b64 s[12:13], s[4:5]
	s_cbranch_execz .LBB110_315
; %bb.312:
	v_add_u32_e32 v100, -15, v0
	s_movk_i32 s29, 0x1f8
	s_mov_b64 s[4:5], 0
.LBB110_313:                            ; =>This Inner Loop Header: Depth=1
	v_mov_b32_e32 v103, s28
	buffer_load_dword v101, v103, s[0:3], 0 offen
	buffer_load_dword v102, v103, s[0:3], 0 offen offset:4
	v_mov_b32_e32 v103, s29
	ds_read_b64 v[103:104], v103
	v_add_u32_e32 v100, -1, v100
	s_add_i32 s29, s29, 8
	s_add_i32 s28, s28, 8
	v_cmp_eq_u32_e32 vcc, 0, v100
	s_or_b64 s[4:5], vcc, s[4:5]
	s_waitcnt vmcnt(0) lgkmcnt(0)
	v_fma_f64 v[95:96], v[101:102], v[103:104], v[95:96]
	s_andn2_b64 exec, exec, s[4:5]
	s_cbranch_execnz .LBB110_313
; %bb.314:
	s_or_b64 exec, exec, s[4:5]
.LBB110_315:
	s_or_b64 exec, exec, s[12:13]
	v_mov_b32_e32 v100, 0
	ds_read_b64 v[100:101], v100 offset:112
	s_waitcnt lgkmcnt(0)
	v_mul_f64 v[95:96], v[95:96], v[100:101]
	buffer_store_dword v96, off, s[0:3], 0 offset:116
	buffer_store_dword v95, off, s[0:3], 0 offset:112
.LBB110_316:
	;; [unrolled: 58-line block ×15, first 2 shown]
	s_or_b64 exec, exec, s[8:9]
	buffer_load_dword v95, off, s[0:3], 0
	buffer_load_dword v96, off, s[0:3], 0 offset:4
	v_cmp_ne_u32_e32 vcc, 0, v0
	s_waitcnt vmcnt(0)
	ds_write_b64 v98, v[95:96]
	s_waitcnt lgkmcnt(0)
	; wave barrier
	s_and_saveexec_b64 s[6:7], vcc
	s_cbranch_execz .LBB110_456
; %bb.447:
	s_andn2_b64 vcc, exec, s[10:11]
	s_cbranch_vccnz .LBB110_449
; %bb.448:
	buffer_load_dword v95, v99, s[0:3], 0 offen
	buffer_load_dword v96, v99, s[0:3], 0 offen offset:4
	ds_read_b64 v[100:101], v98
	s_waitcnt vmcnt(0) lgkmcnt(0)
	v_mul_f64 v[95:96], v[95:96], v[100:101]
	s_cbranch_execz .LBB110_450
	s_branch .LBB110_451
.LBB110_449:
                                        ; implicit-def: $vgpr95_vgpr96
.LBB110_450:
	ds_read_b64 v[95:96], v98
.LBB110_451:
	s_and_saveexec_b64 s[8:9], s[4:5]
	s_cbranch_execz .LBB110_455
; %bb.452:
	v_add_u32_e32 v100, -1, v0
	s_movk_i32 s12, 0x188
	s_mov_b64 s[4:5], 0
.LBB110_453:                            ; =>This Inner Loop Header: Depth=1
	v_mov_b32_e32 v103, s14
	buffer_load_dword v101, v103, s[0:3], 0 offen
	buffer_load_dword v102, v103, s[0:3], 0 offen offset:4
	v_mov_b32_e32 v103, s12
	ds_read_b64 v[103:104], v103
	v_add_u32_e32 v100, -1, v100
	s_add_i32 s12, s12, 8
	s_add_i32 s14, s14, 8
	v_cmp_eq_u32_e32 vcc, 0, v100
	s_or_b64 s[4:5], vcc, s[4:5]
	s_waitcnt vmcnt(0) lgkmcnt(0)
	v_fma_f64 v[95:96], v[101:102], v[103:104], v[95:96]
	s_andn2_b64 exec, exec, s[4:5]
	s_cbranch_execnz .LBB110_453
; %bb.454:
	s_or_b64 exec, exec, s[4:5]
.LBB110_455:
	s_or_b64 exec, exec, s[8:9]
	v_mov_b32_e32 v100, 0
	ds_read_b64 v[100:101], v100
	s_waitcnt lgkmcnt(0)
	v_mul_f64 v[95:96], v[95:96], v[100:101]
	buffer_store_dword v96, off, s[0:3], 0 offset:4
	buffer_store_dword v95, off, s[0:3], 0
.LBB110_456:
	s_or_b64 exec, exec, s[6:7]
	s_mov_b64 s[4:5], 0
.LBB110_457:
	s_and_b64 vcc, exec, s[4:5]
	s_cbranch_vccz .LBB110_909
; %bb.458:
	buffer_load_dword v95, off, s[0:3], 0 offset:8
	buffer_load_dword v96, off, s[0:3], 0 offset:12
	v_cmp_eq_u32_e64 s[6:7], 0, v0
	s_waitcnt vmcnt(0)
	ds_write_b64 v98, v[95:96]
	s_waitcnt lgkmcnt(0)
	; wave barrier
	s_and_saveexec_b64 s[4:5], s[6:7]
	s_cbranch_execz .LBB110_464
; %bb.459:
	s_and_b64 vcc, exec, s[10:11]
	s_cbranch_vccz .LBB110_461
; %bb.460:
	buffer_load_dword v95, v99, s[0:3], 0 offen
	buffer_load_dword v96, v99, s[0:3], 0 offen offset:4
	ds_read_b64 v[100:101], v98
	s_waitcnt vmcnt(0) lgkmcnt(0)
	v_mul_f64 v[95:96], v[95:96], v[100:101]
	s_cbranch_execz .LBB110_462
	s_branch .LBB110_463
.LBB110_461:
                                        ; implicit-def: $vgpr95_vgpr96
.LBB110_462:
	ds_read_b64 v[95:96], v98
.LBB110_463:
	v_mov_b32_e32 v100, 0
	ds_read_b64 v[100:101], v100 offset:8
	s_waitcnt lgkmcnt(0)
	v_mul_f64 v[95:96], v[95:96], v[100:101]
	buffer_store_dword v96, off, s[0:3], 0 offset:12
	buffer_store_dword v95, off, s[0:3], 0 offset:8
.LBB110_464:
	s_or_b64 exec, exec, s[4:5]
	buffer_load_dword v95, off, s[0:3], 0 offset:16
	buffer_load_dword v96, off, s[0:3], 0 offset:20
	v_cndmask_b32_e64 v100, 0, 1, s[10:11]
	v_cmp_gt_u32_e32 vcc, 2, v0
	v_cmp_ne_u32_e64 s[4:5], 1, v100
	s_waitcnt vmcnt(0)
	ds_write_b64 v98, v[95:96]
	s_waitcnt lgkmcnt(0)
	; wave barrier
	s_and_saveexec_b64 s[8:9], vcc
	s_cbranch_execz .LBB110_470
; %bb.465:
	s_and_b64 vcc, exec, s[4:5]
	s_cbranch_vccnz .LBB110_467
; %bb.466:
	buffer_load_dword v95, v99, s[0:3], 0 offen
	buffer_load_dword v96, v99, s[0:3], 0 offen offset:4
	ds_read_b64 v[100:101], v98
	s_waitcnt vmcnt(0) lgkmcnt(0)
	v_mul_f64 v[95:96], v[95:96], v[100:101]
	s_cbranch_execz .LBB110_468
	s_branch .LBB110_469
.LBB110_467:
                                        ; implicit-def: $vgpr95_vgpr96
.LBB110_468:
	ds_read_b64 v[95:96], v98
.LBB110_469:
	buffer_load_dword v104, off, s[0:3], 0 offset:8
	buffer_load_dword v105, off, s[0:3], 0 offset:12
	v_mov_b32_e32 v100, 0
	ds_read2_b64 v[100:103], v100 offset0:2 offset1:49
	s_waitcnt vmcnt(0) lgkmcnt(0)
	v_fma_f64 v[102:103], v[104:105], v[102:103], v[95:96]
	v_cndmask_b32_e64 v96, v96, v103, s[6:7]
	v_cndmask_b32_e64 v95, v95, v102, s[6:7]
	v_mul_f64 v[95:96], v[95:96], v[100:101]
	buffer_store_dword v96, off, s[0:3], 0 offset:20
	buffer_store_dword v95, off, s[0:3], 0 offset:16
.LBB110_470:
	s_or_b64 exec, exec, s[8:9]
	buffer_load_dword v95, off, s[0:3], 0 offset:24
	buffer_load_dword v96, off, s[0:3], 0 offset:28
	v_cmp_gt_u32_e32 vcc, 3, v0
	s_waitcnt vmcnt(0)
	ds_write_b64 v98, v[95:96]
	s_waitcnt lgkmcnt(0)
	; wave barrier
	s_and_saveexec_b64 s[8:9], vcc
	s_cbranch_execz .LBB110_478
; %bb.471:
	s_and_b64 vcc, exec, s[4:5]
	s_cbranch_vccnz .LBB110_473
; %bb.472:
	buffer_load_dword v95, v99, s[0:3], 0 offen
	buffer_load_dword v96, v99, s[0:3], 0 offen offset:4
	ds_read_b64 v[100:101], v98
	s_waitcnt vmcnt(0) lgkmcnt(0)
	v_mul_f64 v[95:96], v[95:96], v[100:101]
	s_cbranch_execz .LBB110_474
	s_branch .LBB110_475
.LBB110_473:
                                        ; implicit-def: $vgpr95_vgpr96
.LBB110_474:
	ds_read_b64 v[95:96], v98
.LBB110_475:
	v_cmp_ne_u32_e32 vcc, 2, v0
	s_and_saveexec_b64 s[10:11], vcc
	s_cbranch_execz .LBB110_477
; %bb.476:
	buffer_load_dword v100, v99, s[0:3], 0 offen offset:8
	buffer_load_dword v101, v99, s[0:3], 0 offen offset:12
	buffer_load_dword v102, off, s[0:3], 0 offset:16
	buffer_load_dword v103, off, s[0:3], 0 offset:20
	ds_read_b64 v[104:105], v98 offset:8
	v_mov_b32_e32 v106, 0
	ds_read_b64 v[106:107], v106 offset:400
	s_waitcnt vmcnt(2) lgkmcnt(1)
	v_fma_f64 v[95:96], v[100:101], v[104:105], v[95:96]
	s_waitcnt vmcnt(0) lgkmcnt(0)
	v_fma_f64 v[100:101], v[102:103], v[106:107], v[95:96]
	v_cndmask_b32_e64 v96, v96, v101, s[6:7]
	v_cndmask_b32_e64 v95, v95, v100, s[6:7]
.LBB110_477:
	s_or_b64 exec, exec, s[10:11]
	v_mov_b32_e32 v100, 0
	ds_read_b64 v[100:101], v100 offset:24
	s_waitcnt lgkmcnt(0)
	v_mul_f64 v[95:96], v[95:96], v[100:101]
	buffer_store_dword v96, off, s[0:3], 0 offset:28
	buffer_store_dword v95, off, s[0:3], 0 offset:24
.LBB110_478:
	s_or_b64 exec, exec, s[8:9]
	buffer_load_dword v95, off, s[0:3], 0 offset:32
	buffer_load_dword v96, off, s[0:3], 0 offset:36
	v_cmp_gt_u32_e32 vcc, 4, v0
	s_waitcnt vmcnt(0)
	ds_write_b64 v98, v[95:96]
	s_waitcnt lgkmcnt(0)
	; wave barrier
	s_and_saveexec_b64 s[6:7], vcc
	s_cbranch_execz .LBB110_488
; %bb.479:
	s_and_b64 vcc, exec, s[4:5]
	s_cbranch_vccnz .LBB110_481
; %bb.480:
	buffer_load_dword v95, v99, s[0:3], 0 offen
	buffer_load_dword v96, v99, s[0:3], 0 offen offset:4
	ds_read_b64 v[100:101], v98
	s_waitcnt vmcnt(0) lgkmcnt(0)
	v_mul_f64 v[95:96], v[95:96], v[100:101]
	s_cbranch_execz .LBB110_482
	s_branch .LBB110_483
.LBB110_481:
                                        ; implicit-def: $vgpr95_vgpr96
.LBB110_482:
	ds_read_b64 v[95:96], v98
.LBB110_483:
	v_cmp_ne_u32_e32 vcc, 3, v0
	s_and_saveexec_b64 s[8:9], vcc
	s_cbranch_execz .LBB110_487
; %bb.484:
	s_mov_b32 s10, 0
	v_add_u32_e32 v100, 0x188, v97
	v_add3_u32 v101, v97, s10, 8
	s_mov_b64 s[10:11], 0
	v_mov_b32_e32 v102, v0
.LBB110_485:                            ; =>This Inner Loop Header: Depth=1
	buffer_load_dword v103, v101, s[0:3], 0 offen
	buffer_load_dword v104, v101, s[0:3], 0 offen offset:4
	ds_read_b64 v[105:106], v100
	v_add_u32_e32 v102, 1, v102
	v_cmp_lt_u32_e32 vcc, 2, v102
	v_add_u32_e32 v100, 8, v100
	s_or_b64 s[10:11], vcc, s[10:11]
	v_add_u32_e32 v101, 8, v101
	s_waitcnt vmcnt(0) lgkmcnt(0)
	v_fma_f64 v[95:96], v[103:104], v[105:106], v[95:96]
	s_andn2_b64 exec, exec, s[10:11]
	s_cbranch_execnz .LBB110_485
; %bb.486:
	s_or_b64 exec, exec, s[10:11]
.LBB110_487:
	s_or_b64 exec, exec, s[8:9]
	v_mov_b32_e32 v100, 0
	ds_read_b64 v[100:101], v100 offset:32
	s_waitcnt lgkmcnt(0)
	v_mul_f64 v[95:96], v[95:96], v[100:101]
	buffer_store_dword v96, off, s[0:3], 0 offset:36
	buffer_store_dword v95, off, s[0:3], 0 offset:32
.LBB110_488:
	s_or_b64 exec, exec, s[6:7]
	buffer_load_dword v95, off, s[0:3], 0 offset:40
	buffer_load_dword v96, off, s[0:3], 0 offset:44
	v_cmp_gt_u32_e32 vcc, 5, v0
	s_waitcnt vmcnt(0)
	ds_write_b64 v98, v[95:96]
	s_waitcnt lgkmcnt(0)
	; wave barrier
	s_and_saveexec_b64 s[6:7], vcc
	s_cbranch_execz .LBB110_498
; %bb.489:
	s_and_b64 vcc, exec, s[4:5]
	s_cbranch_vccnz .LBB110_491
; %bb.490:
	buffer_load_dword v95, v99, s[0:3], 0 offen
	buffer_load_dword v96, v99, s[0:3], 0 offen offset:4
	ds_read_b64 v[100:101], v98
	s_waitcnt vmcnt(0) lgkmcnt(0)
	v_mul_f64 v[95:96], v[95:96], v[100:101]
	s_cbranch_execz .LBB110_492
	s_branch .LBB110_493
.LBB110_491:
                                        ; implicit-def: $vgpr95_vgpr96
.LBB110_492:
	ds_read_b64 v[95:96], v98
.LBB110_493:
	v_cmp_ne_u32_e32 vcc, 4, v0
	s_and_saveexec_b64 s[8:9], vcc
	s_cbranch_execz .LBB110_497
; %bb.494:
	s_mov_b32 s10, 0
	v_add_u32_e32 v100, 0x188, v97
	v_add3_u32 v101, v97, s10, 8
	s_mov_b64 s[10:11], 0
	v_mov_b32_e32 v102, v0
.LBB110_495:                            ; =>This Inner Loop Header: Depth=1
	buffer_load_dword v103, v101, s[0:3], 0 offen
	buffer_load_dword v104, v101, s[0:3], 0 offen offset:4
	ds_read_b64 v[105:106], v100
	v_add_u32_e32 v102, 1, v102
	v_cmp_lt_u32_e32 vcc, 3, v102
	v_add_u32_e32 v100, 8, v100
	s_or_b64 s[10:11], vcc, s[10:11]
	v_add_u32_e32 v101, 8, v101
	s_waitcnt vmcnt(0) lgkmcnt(0)
	v_fma_f64 v[95:96], v[103:104], v[105:106], v[95:96]
	s_andn2_b64 exec, exec, s[10:11]
	s_cbranch_execnz .LBB110_495
; %bb.496:
	s_or_b64 exec, exec, s[10:11]
.LBB110_497:
	s_or_b64 exec, exec, s[8:9]
	v_mov_b32_e32 v100, 0
	ds_read_b64 v[100:101], v100 offset:40
	s_waitcnt lgkmcnt(0)
	v_mul_f64 v[95:96], v[95:96], v[100:101]
	buffer_store_dword v96, off, s[0:3], 0 offset:44
	buffer_store_dword v95, off, s[0:3], 0 offset:40
.LBB110_498:
	;; [unrolled: 59-line block ×41, first 2 shown]
	s_or_b64 exec, exec, s[6:7]
	buffer_load_dword v95, off, s[0:3], 0 offset:360
	buffer_load_dword v96, off, s[0:3], 0 offset:364
	v_cmp_gt_u32_e64 s[6:7], 45, v0
	s_waitcnt vmcnt(0)
	ds_write_b64 v98, v[95:96]
	s_waitcnt lgkmcnt(0)
	; wave barrier
	s_and_saveexec_b64 s[8:9], s[6:7]
	s_cbranch_execz .LBB110_898
; %bb.889:
	s_and_b64 vcc, exec, s[4:5]
	s_cbranch_vccnz .LBB110_891
; %bb.890:
	buffer_load_dword v95, v99, s[0:3], 0 offen
	buffer_load_dword v96, v99, s[0:3], 0 offen offset:4
	ds_read_b64 v[100:101], v98
	s_waitcnt vmcnt(0) lgkmcnt(0)
	v_mul_f64 v[95:96], v[95:96], v[100:101]
	s_cbranch_execz .LBB110_892
	s_branch .LBB110_893
.LBB110_891:
                                        ; implicit-def: $vgpr95_vgpr96
.LBB110_892:
	ds_read_b64 v[95:96], v98
.LBB110_893:
	v_cmp_ne_u32_e32 vcc, 44, v0
	s_and_saveexec_b64 s[10:11], vcc
	s_cbranch_execz .LBB110_897
; %bb.894:
	s_mov_b32 s12, 0
	v_add_u32_e32 v100, 0x188, v97
	v_add3_u32 v101, v97, s12, 8
	s_mov_b64 s[12:13], 0
	v_mov_b32_e32 v102, v0
.LBB110_895:                            ; =>This Inner Loop Header: Depth=1
	buffer_load_dword v103, v101, s[0:3], 0 offen
	buffer_load_dword v104, v101, s[0:3], 0 offen offset:4
	ds_read_b64 v[105:106], v100
	v_add_u32_e32 v102, 1, v102
	v_cmp_lt_u32_e32 vcc, 43, v102
	v_add_u32_e32 v100, 8, v100
	s_or_b64 s[12:13], vcc, s[12:13]
	v_add_u32_e32 v101, 8, v101
	s_waitcnt vmcnt(0) lgkmcnt(0)
	v_fma_f64 v[95:96], v[103:104], v[105:106], v[95:96]
	s_andn2_b64 exec, exec, s[12:13]
	s_cbranch_execnz .LBB110_895
; %bb.896:
	s_or_b64 exec, exec, s[12:13]
.LBB110_897:
	s_or_b64 exec, exec, s[10:11]
	v_mov_b32_e32 v100, 0
	ds_read_b64 v[100:101], v100 offset:360
	s_waitcnt lgkmcnt(0)
	v_mul_f64 v[95:96], v[95:96], v[100:101]
	buffer_store_dword v96, off, s[0:3], 0 offset:364
	buffer_store_dword v95, off, s[0:3], 0 offset:360
.LBB110_898:
	s_or_b64 exec, exec, s[8:9]
	buffer_load_dword v95, off, s[0:3], 0 offset:368
	buffer_load_dword v96, off, s[0:3], 0 offset:372
	v_cmp_ne_u32_e32 vcc, 46, v0
	s_waitcnt vmcnt(0)
	ds_write_b64 v98, v[95:96]
	s_waitcnt lgkmcnt(0)
	; wave barrier
	s_and_saveexec_b64 s[8:9], vcc
	s_cbranch_execz .LBB110_908
; %bb.899:
	s_and_b64 vcc, exec, s[4:5]
	s_cbranch_vccnz .LBB110_901
; %bb.900:
	buffer_load_dword v95, v99, s[0:3], 0 offen
	buffer_load_dword v96, v99, s[0:3], 0 offen offset:4
	ds_read_b64 v[99:100], v98
	s_waitcnt vmcnt(0) lgkmcnt(0)
	v_mul_f64 v[95:96], v[95:96], v[99:100]
	s_cbranch_execz .LBB110_902
	s_branch .LBB110_903
.LBB110_901:
                                        ; implicit-def: $vgpr95_vgpr96
.LBB110_902:
	ds_read_b64 v[95:96], v98
.LBB110_903:
	s_and_saveexec_b64 s[4:5], s[6:7]
	s_cbranch_execz .LBB110_907
; %bb.904:
	s_mov_b32 s6, 0
	v_add_u32_e32 v98, 0x188, v97
	v_add3_u32 v97, v97, s6, 8
	s_mov_b64 s[6:7], 0
.LBB110_905:                            ; =>This Inner Loop Header: Depth=1
	buffer_load_dword v99, v97, s[0:3], 0 offen
	buffer_load_dword v100, v97, s[0:3], 0 offen offset:4
	ds_read_b64 v[101:102], v98
	v_add_u32_e32 v0, 1, v0
	v_cmp_lt_u32_e32 vcc, 44, v0
	v_add_u32_e32 v98, 8, v98
	s_or_b64 s[6:7], vcc, s[6:7]
	v_add_u32_e32 v97, 8, v97
	s_waitcnt vmcnt(0) lgkmcnt(0)
	v_fma_f64 v[95:96], v[99:100], v[101:102], v[95:96]
	s_andn2_b64 exec, exec, s[6:7]
	s_cbranch_execnz .LBB110_905
; %bb.906:
	s_or_b64 exec, exec, s[6:7]
.LBB110_907:
	s_or_b64 exec, exec, s[4:5]
	v_mov_b32_e32 v0, 0
	ds_read_b64 v[97:98], v0 offset:368
	s_waitcnt lgkmcnt(0)
	v_mul_f64 v[95:96], v[95:96], v[97:98]
	buffer_store_dword v96, off, s[0:3], 0 offset:372
	buffer_store_dword v95, off, s[0:3], 0 offset:368
.LBB110_908:
	s_or_b64 exec, exec, s[8:9]
.LBB110_909:
	buffer_load_dword v95, off, s[0:3], 0
	buffer_load_dword v96, off, s[0:3], 0 offset:4
	s_waitcnt vmcnt(0)
	flat_store_dwordx2 v[1:2], v[95:96]
	buffer_load_dword v0, off, s[0:3], 0 offset:8
	s_nop 0
	buffer_load_dword v1, off, s[0:3], 0 offset:12
	s_waitcnt vmcnt(0)
	flat_store_dwordx2 v[3:4], v[0:1]
	buffer_load_dword v0, off, s[0:3], 0 offset:16
	s_nop 0
	;; [unrolled: 5-line block ×46, first 2 shown]
	buffer_load_dword v1, off, s[0:3], 0 offset:372
	s_waitcnt vmcnt(0)
	flat_store_dwordx2 v[93:94], v[0:1]
.LBB110_910:
	s_endpgm
	.section	.rodata,"a",@progbits
	.p2align	6, 0x0
	.amdhsa_kernel _ZN9rocsolver6v33100L18trti2_kernel_smallILi47EdPKPdEEv13rocblas_fill_17rocblas_diagonal_T1_iil
		.amdhsa_group_segment_fixed_size 760
		.amdhsa_private_segment_fixed_size 384
		.amdhsa_kernarg_size 32
		.amdhsa_user_sgpr_count 6
		.amdhsa_user_sgpr_private_segment_buffer 1
		.amdhsa_user_sgpr_dispatch_ptr 0
		.amdhsa_user_sgpr_queue_ptr 0
		.amdhsa_user_sgpr_kernarg_segment_ptr 1
		.amdhsa_user_sgpr_dispatch_id 0
		.amdhsa_user_sgpr_flat_scratch_init 0
		.amdhsa_user_sgpr_private_segment_size 0
		.amdhsa_uses_dynamic_stack 0
		.amdhsa_system_sgpr_private_segment_wavefront_offset 1
		.amdhsa_system_sgpr_workgroup_id_x 1
		.amdhsa_system_sgpr_workgroup_id_y 0
		.amdhsa_system_sgpr_workgroup_id_z 0
		.amdhsa_system_sgpr_workgroup_info 0
		.amdhsa_system_vgpr_workitem_id 0
		.amdhsa_next_free_vgpr 108
		.amdhsa_next_free_sgpr 60
		.amdhsa_reserve_vcc 1
		.amdhsa_reserve_flat_scratch 0
		.amdhsa_float_round_mode_32 0
		.amdhsa_float_round_mode_16_64 0
		.amdhsa_float_denorm_mode_32 3
		.amdhsa_float_denorm_mode_16_64 3
		.amdhsa_dx10_clamp 1
		.amdhsa_ieee_mode 1
		.amdhsa_fp16_overflow 0
		.amdhsa_exception_fp_ieee_invalid_op 0
		.amdhsa_exception_fp_denorm_src 0
		.amdhsa_exception_fp_ieee_div_zero 0
		.amdhsa_exception_fp_ieee_overflow 0
		.amdhsa_exception_fp_ieee_underflow 0
		.amdhsa_exception_fp_ieee_inexact 0
		.amdhsa_exception_int_div_zero 0
	.end_amdhsa_kernel
	.section	.text._ZN9rocsolver6v33100L18trti2_kernel_smallILi47EdPKPdEEv13rocblas_fill_17rocblas_diagonal_T1_iil,"axG",@progbits,_ZN9rocsolver6v33100L18trti2_kernel_smallILi47EdPKPdEEv13rocblas_fill_17rocblas_diagonal_T1_iil,comdat
.Lfunc_end110:
	.size	_ZN9rocsolver6v33100L18trti2_kernel_smallILi47EdPKPdEEv13rocblas_fill_17rocblas_diagonal_T1_iil, .Lfunc_end110-_ZN9rocsolver6v33100L18trti2_kernel_smallILi47EdPKPdEEv13rocblas_fill_17rocblas_diagonal_T1_iil
                                        ; -- End function
	.set _ZN9rocsolver6v33100L18trti2_kernel_smallILi47EdPKPdEEv13rocblas_fill_17rocblas_diagonal_T1_iil.num_vgpr, 108
	.set _ZN9rocsolver6v33100L18trti2_kernel_smallILi47EdPKPdEEv13rocblas_fill_17rocblas_diagonal_T1_iil.num_agpr, 0
	.set _ZN9rocsolver6v33100L18trti2_kernel_smallILi47EdPKPdEEv13rocblas_fill_17rocblas_diagonal_T1_iil.numbered_sgpr, 60
	.set _ZN9rocsolver6v33100L18trti2_kernel_smallILi47EdPKPdEEv13rocblas_fill_17rocblas_diagonal_T1_iil.num_named_barrier, 0
	.set _ZN9rocsolver6v33100L18trti2_kernel_smallILi47EdPKPdEEv13rocblas_fill_17rocblas_diagonal_T1_iil.private_seg_size, 384
	.set _ZN9rocsolver6v33100L18trti2_kernel_smallILi47EdPKPdEEv13rocblas_fill_17rocblas_diagonal_T1_iil.uses_vcc, 1
	.set _ZN9rocsolver6v33100L18trti2_kernel_smallILi47EdPKPdEEv13rocblas_fill_17rocblas_diagonal_T1_iil.uses_flat_scratch, 0
	.set _ZN9rocsolver6v33100L18trti2_kernel_smallILi47EdPKPdEEv13rocblas_fill_17rocblas_diagonal_T1_iil.has_dyn_sized_stack, 0
	.set _ZN9rocsolver6v33100L18trti2_kernel_smallILi47EdPKPdEEv13rocblas_fill_17rocblas_diagonal_T1_iil.has_recursion, 0
	.set _ZN9rocsolver6v33100L18trti2_kernel_smallILi47EdPKPdEEv13rocblas_fill_17rocblas_diagonal_T1_iil.has_indirect_call, 0
	.section	.AMDGPU.csdata,"",@progbits
; Kernel info:
; codeLenInByte = 27856
; TotalNumSgprs: 64
; NumVgprs: 108
; ScratchSize: 384
; MemoryBound: 0
; FloatMode: 240
; IeeeMode: 1
; LDSByteSize: 760 bytes/workgroup (compile time only)
; SGPRBlocks: 7
; VGPRBlocks: 26
; NumSGPRsForWavesPerEU: 64
; NumVGPRsForWavesPerEU: 108
; Occupancy: 2
; WaveLimiterHint : 1
; COMPUTE_PGM_RSRC2:SCRATCH_EN: 1
; COMPUTE_PGM_RSRC2:USER_SGPR: 6
; COMPUTE_PGM_RSRC2:TRAP_HANDLER: 0
; COMPUTE_PGM_RSRC2:TGID_X_EN: 1
; COMPUTE_PGM_RSRC2:TGID_Y_EN: 0
; COMPUTE_PGM_RSRC2:TGID_Z_EN: 0
; COMPUTE_PGM_RSRC2:TIDIG_COMP_CNT: 0
	.section	.text._ZN9rocsolver6v33100L18trti2_kernel_smallILi48EdPKPdEEv13rocblas_fill_17rocblas_diagonal_T1_iil,"axG",@progbits,_ZN9rocsolver6v33100L18trti2_kernel_smallILi48EdPKPdEEv13rocblas_fill_17rocblas_diagonal_T1_iil,comdat
	.globl	_ZN9rocsolver6v33100L18trti2_kernel_smallILi48EdPKPdEEv13rocblas_fill_17rocblas_diagonal_T1_iil ; -- Begin function _ZN9rocsolver6v33100L18trti2_kernel_smallILi48EdPKPdEEv13rocblas_fill_17rocblas_diagonal_T1_iil
	.p2align	8
	.type	_ZN9rocsolver6v33100L18trti2_kernel_smallILi48EdPKPdEEv13rocblas_fill_17rocblas_diagonal_T1_iil,@function
_ZN9rocsolver6v33100L18trti2_kernel_smallILi48EdPKPdEEv13rocblas_fill_17rocblas_diagonal_T1_iil: ; @_ZN9rocsolver6v33100L18trti2_kernel_smallILi48EdPKPdEEv13rocblas_fill_17rocblas_diagonal_T1_iil
; %bb.0:
	s_add_u32 s0, s0, s7
	s_addc_u32 s1, s1, 0
	v_cmp_gt_u32_e32 vcc, 48, v0
	s_and_saveexec_b64 s[8:9], vcc
	s_cbranch_execz .LBB111_930
; %bb.1:
	s_load_dwordx2 s[12:13], s[4:5], 0x10
	s_load_dwordx4 s[8:11], s[4:5], 0x0
	s_ashr_i32 s7, s6, 31
	s_lshl_b64 s[6:7], s[6:7], 3
	v_lshlrev_b32_e32 v99, 3, v0
	s_waitcnt lgkmcnt(0)
	s_ashr_i32 s5, s12, 31
	s_add_u32 s6, s10, s6
	s_addc_u32 s7, s11, s7
	s_load_dwordx2 s[6:7], s[6:7], 0x0
	s_mov_b32 s4, s12
	s_lshl_b64 s[4:5], s[4:5], 3
	s_waitcnt lgkmcnt(0)
	s_add_u32 s4, s6, s4
	s_addc_u32 s5, s7, s5
	v_mov_b32_e32 v2, s5
	v_add_co_u32_e32 v1, vcc, s4, v99
	v_addc_co_u32_e32 v2, vcc, 0, v2, vcc
	flat_load_dwordx2 v[5:6], v[1:2]
	s_mov_b32 s6, s13
	s_ashr_i32 s7, s13, 31
	s_lshl_b64 s[6:7], s[6:7], 3
	v_mov_b32_e32 v4, s7
	v_add_co_u32_e32 v3, vcc, s6, v1
	v_addc_co_u32_e32 v4, vcc, v2, v4, vcc
	s_add_i32 s6, s13, s13
	v_add_u32_e32 v9, s6, v0
	v_ashrrev_i32_e32 v10, 31, v9
	v_mov_b32_e32 v11, s5
	v_add_u32_e32 v12, s13, v9
	v_ashrrev_i32_e32 v13, 31, v12
	v_mov_b32_e32 v14, s5
	v_mov_b32_e32 v15, s5
	;; [unrolled: 1-line block ×44, first 2 shown]
	s_cmpk_lg_i32 s9, 0x84
	s_cselect_b64 s[10:11], -1, 0
	s_cmpk_eq_i32 s9, 0x84
	s_waitcnt vmcnt(0) lgkmcnt(0)
	buffer_store_dword v6, off, s[0:3], 0 offset:4
	buffer_store_dword v5, off, s[0:3], 0
	flat_load_dwordx2 v[7:8], v[3:4]
	v_lshlrev_b64 v[5:6], 3, v[9:10]
	s_waitcnt vmcnt(0) lgkmcnt(0)
	buffer_store_dword v8, off, s[0:3], 0 offset:12
	buffer_store_dword v7, off, s[0:3], 0 offset:8
	v_add_co_u32_e32 v5, vcc, s4, v5
	v_addc_co_u32_e32 v6, vcc, v11, v6, vcc
	flat_load_dwordx2 v[10:11], v[5:6]
	v_lshlrev_b64 v[7:8], 3, v[12:13]
	s_waitcnt vmcnt(0) lgkmcnt(0)
	buffer_store_dword v11, off, s[0:3], 0 offset:20
	buffer_store_dword v10, off, s[0:3], 0 offset:16
	v_add_co_u32_e32 v7, vcc, s4, v7
	v_addc_co_u32_e32 v8, vcc, v14, v8, vcc
	flat_load_dwordx2 v[13:14], v[7:8]
	v_add_u32_e32 v11, s13, v12
	v_ashrrev_i32_e32 v12, 31, v11
	v_lshlrev_b64 v[9:10], 3, v[11:12]
	s_waitcnt vmcnt(0) lgkmcnt(0)
	buffer_store_dword v14, off, s[0:3], 0 offset:28
	buffer_store_dword v13, off, s[0:3], 0 offset:24
	v_add_co_u32_e32 v9, vcc, s4, v9
	v_addc_co_u32_e32 v10, vcc, v15, v10, vcc
	flat_load_dwordx2 v[13:14], v[9:10]
	v_add_u32_e32 v15, s13, v11
	v_ashrrev_i32_e32 v16, 31, v15
	v_lshlrev_b64 v[11:12], 3, v[15:16]
	v_add_u32_e32 v18, s13, v15
	v_add_co_u32_e32 v11, vcc, s4, v11
	v_addc_co_u32_e32 v12, vcc, v17, v12, vcc
	v_ashrrev_i32_e32 v19, 31, v18
	s_waitcnt vmcnt(0) lgkmcnt(0)
	buffer_store_dword v14, off, s[0:3], 0 offset:36
	buffer_store_dword v13, off, s[0:3], 0 offset:32
	flat_load_dwordx2 v[16:17], v[11:12]
	v_lshlrev_b64 v[13:14], 3, v[18:19]
	s_waitcnt vmcnt(0) lgkmcnt(0)
	buffer_store_dword v17, off, s[0:3], 0 offset:44
	buffer_store_dword v16, off, s[0:3], 0 offset:40
	v_add_co_u32_e32 v13, vcc, s4, v13
	v_addc_co_u32_e32 v14, vcc, v20, v14, vcc
	flat_load_dwordx2 v[19:20], v[13:14]
	v_add_u32_e32 v17, s13, v18
	v_ashrrev_i32_e32 v18, 31, v17
	v_lshlrev_b64 v[15:16], 3, v[17:18]
	s_waitcnt vmcnt(0) lgkmcnt(0)
	buffer_store_dword v20, off, s[0:3], 0 offset:52
	buffer_store_dword v19, off, s[0:3], 0 offset:48
	v_add_co_u32_e32 v15, vcc, s4, v15
	v_addc_co_u32_e32 v16, vcc, v21, v16, vcc
	flat_load_dwordx2 v[19:20], v[15:16]
	v_add_u32_e32 v21, s13, v17
	v_ashrrev_i32_e32 v22, 31, v21
	v_lshlrev_b64 v[17:18], 3, v[21:22]
	v_add_u32_e32 v24, s13, v21
	v_add_co_u32_e32 v17, vcc, s4, v17
	v_addc_co_u32_e32 v18, vcc, v23, v18, vcc
	v_ashrrev_i32_e32 v25, 31, v24
	s_waitcnt vmcnt(0) lgkmcnt(0)
	buffer_store_dword v20, off, s[0:3], 0 offset:60
	buffer_store_dword v19, off, s[0:3], 0 offset:56
	;; [unrolled: 27-line block ×7, first 2 shown]
	flat_load_dwordx2 v[52:53], v[47:48]
	v_lshlrev_b64 v[49:50], 3, v[54:55]
	s_waitcnt vmcnt(0) lgkmcnt(0)
	buffer_store_dword v53, off, s[0:3], 0 offset:188
	buffer_store_dword v52, off, s[0:3], 0 offset:184
	v_add_co_u32_e32 v49, vcc, s4, v49
	v_addc_co_u32_e32 v50, vcc, v56, v50, vcc
	flat_load_dwordx2 v[55:56], v[49:50]
	v_add_u32_e32 v53, s13, v54
	v_ashrrev_i32_e32 v54, 31, v53
	v_lshlrev_b64 v[51:52], 3, v[53:54]
	s_waitcnt vmcnt(0) lgkmcnt(0)
	buffer_store_dword v56, off, s[0:3], 0 offset:196
	buffer_store_dword v55, off, s[0:3], 0 offset:192
	v_add_co_u32_e32 v51, vcc, s4, v51
	v_addc_co_u32_e32 v52, vcc, v57, v52, vcc
	flat_load_dwordx2 v[55:56], v[51:52]
	v_add_u32_e32 v57, s13, v53
	v_ashrrev_i32_e32 v58, 31, v57
	v_lshlrev_b64 v[53:54], 3, v[57:58]
	v_add_u32_e32 v60, s13, v57
	v_add_co_u32_e32 v53, vcc, s4, v53
	v_addc_co_u32_e32 v54, vcc, v59, v54, vcc
	s_waitcnt vmcnt(0) lgkmcnt(0)
	buffer_store_dword v56, off, s[0:3], 0 offset:204
	buffer_store_dword v55, off, s[0:3], 0 offset:200
	flat_load_dwordx2 v[58:59], v[53:54]
	v_ashrrev_i32_e32 v61, 31, v60
	v_lshlrev_b64 v[55:56], 3, v[60:61]
	s_waitcnt vmcnt(0) lgkmcnt(0)
	buffer_store_dword v59, off, s[0:3], 0 offset:212
	buffer_store_dword v58, off, s[0:3], 0 offset:208
	v_add_co_u32_e32 v55, vcc, s4, v55
	v_addc_co_u32_e32 v56, vcc, v62, v56, vcc
	flat_load_dwordx2 v[61:62], v[55:56]
	v_add_u32_e32 v59, s13, v60
	v_ashrrev_i32_e32 v60, 31, v59
	v_lshlrev_b64 v[57:58], 3, v[59:60]
	s_waitcnt vmcnt(0) lgkmcnt(0)
	buffer_store_dword v62, off, s[0:3], 0 offset:220
	buffer_store_dword v61, off, s[0:3], 0 offset:216
	v_add_co_u32_e32 v57, vcc, s4, v57
	v_addc_co_u32_e32 v58, vcc, v63, v58, vcc
	flat_load_dwordx2 v[61:62], v[57:58]
	v_add_u32_e32 v63, s13, v59
	;; [unrolled: 9-line block ×20, first 2 shown]
	v_ashrrev_i32_e32 v96, 31, v95
	v_lshlrev_b64 v[95:96], 3, v[95:96]
	s_waitcnt vmcnt(0) lgkmcnt(0)
	buffer_store_dword v98, off, s[0:3], 0 offset:372
	buffer_store_dword v97, off, s[0:3], 0 offset:368
	v_add_co_u32_e32 v95, vcc, s4, v95
	v_addc_co_u32_e32 v96, vcc, v100, v96, vcc
	flat_load_dwordx2 v[100:101], v[95:96]
	v_mov_b32_e32 v97, 0
	v_mov_b32_e32 v98, 0xbff00000
	s_waitcnt vmcnt(0) lgkmcnt(0)
	buffer_store_dword v101, off, s[0:3], 0 offset:380
	buffer_store_dword v100, off, s[0:3], 0 offset:376
	s_cbranch_scc1 .LBB111_3
; %bb.2:
	v_mov_b32_e32 v97, 0
	v_lshl_add_u32 v108, v0, 3, v97
	buffer_load_dword v97, v108, s[0:3], 0 offen
	buffer_load_dword v98, v108, s[0:3], 0 offen offset:4
	s_waitcnt vmcnt(0)
	v_div_scale_f64 v[100:101], s[4:5], v[97:98], v[97:98], 1.0
	v_rcp_f64_e32 v[102:103], v[100:101]
	v_fma_f64 v[104:105], -v[100:101], v[102:103], 1.0
	v_fma_f64 v[102:103], v[102:103], v[104:105], v[102:103]
	v_div_scale_f64 v[104:105], vcc, 1.0, v[97:98], 1.0
	v_fma_f64 v[106:107], -v[100:101], v[102:103], 1.0
	v_fma_f64 v[102:103], v[102:103], v[106:107], v[102:103]
	v_mul_f64 v[106:107], v[104:105], v[102:103]
	v_fma_f64 v[100:101], -v[100:101], v[106:107], v[104:105]
	v_div_fmas_f64 v[100:101], v[100:101], v[102:103], v[106:107]
	v_div_fixup_f64 v[97:98], v[100:101], v[97:98], 1.0
	buffer_store_dword v97, v108, s[0:3], 0 offen
	buffer_store_dword v98, v108, s[0:3], 0 offen offset:4
	v_xor_b32_e32 v98, 0x80000000, v98
.LBB111_3:
	s_cmpk_eq_i32 s8, 0x79
	v_add_u32_e32 v100, 0x180, v99
	v_mov_b32_e32 v101, v99
	s_mov_b64 s[4:5], -1
	ds_write_b64 v99, v[97:98]
	s_cbranch_scc1 .LBB111_467
; %bb.4:
	buffer_load_dword v97, off, s[0:3], 0 offset:368
	buffer_load_dword v98, off, s[0:3], 0 offset:372
	s_movk_i32 s12, 0x48
	s_movk_i32 s13, 0x50
	;; [unrolled: 1-line block ×37, first 2 shown]
	v_cmp_eq_u32_e64 s[4:5], 47, v0
	s_waitcnt vmcnt(0)
	ds_write_b64 v100, v[97:98]
	s_waitcnt lgkmcnt(0)
	; wave barrier
	s_and_saveexec_b64 s[6:7], s[4:5]
	s_cbranch_execz .LBB111_10
; %bb.5:
	s_and_b64 vcc, exec, s[10:11]
	s_cbranch_vccz .LBB111_7
; %bb.6:
	buffer_load_dword v97, v101, s[0:3], 0 offen
	buffer_load_dword v98, v101, s[0:3], 0 offen offset:4
	ds_read_b64 v[102:103], v100
	s_waitcnt vmcnt(0) lgkmcnt(0)
	v_mul_f64 v[97:98], v[97:98], v[102:103]
	s_cbranch_execz .LBB111_8
	s_branch .LBB111_9
.LBB111_7:
                                        ; implicit-def: $vgpr97_vgpr98
.LBB111_8:
	ds_read_b64 v[97:98], v100
.LBB111_9:
	v_mov_b32_e32 v102, 0
	ds_read_b64 v[102:103], v102 offset:368
	s_waitcnt lgkmcnt(0)
	v_mul_f64 v[97:98], v[97:98], v[102:103]
	buffer_store_dword v98, off, s[0:3], 0 offset:372
	buffer_store_dword v97, off, s[0:3], 0 offset:368
.LBB111_10:
	s_or_b64 exec, exec, s[6:7]
	buffer_load_dword v97, off, s[0:3], 0 offset:360
	buffer_load_dword v98, off, s[0:3], 0 offset:364
	s_or_b32 s14, 0, 8
	s_mov_b32 s15, 16
	s_mov_b32 s16, 24
	;; [unrolled: 1-line block ×9, first 2 shown]
	v_cmp_lt_u32_e64 s[6:7], 45, v0
	s_waitcnt vmcnt(0)
	ds_write_b64 v100, v[97:98]
	s_waitcnt lgkmcnt(0)
	; wave barrier
	s_and_saveexec_b64 s[8:9], s[6:7]
	s_cbranch_execz .LBB111_16
; %bb.11:
	s_andn2_b64 vcc, exec, s[10:11]
	s_cbranch_vccnz .LBB111_13
; %bb.12:
	buffer_load_dword v97, v101, s[0:3], 0 offen
	buffer_load_dword v98, v101, s[0:3], 0 offen offset:4
	ds_read_b64 v[102:103], v100
	s_waitcnt vmcnt(0) lgkmcnt(0)
	v_mul_f64 v[97:98], v[97:98], v[102:103]
	s_cbranch_execz .LBB111_14
	s_branch .LBB111_15
.LBB111_13:
                                        ; implicit-def: $vgpr97_vgpr98
.LBB111_14:
	ds_read_b64 v[97:98], v100
.LBB111_15:
	buffer_load_dword v106, off, s[0:3], 0 offset:368
	buffer_load_dword v107, off, s[0:3], 0 offset:372
	v_mov_b32_e32 v102, 0
	ds_read2_b64 v[102:105], v102 offset0:45 offset1:94
	s_waitcnt vmcnt(0) lgkmcnt(0)
	v_fma_f64 v[104:105], v[106:107], v[104:105], v[97:98]
	v_cndmask_b32_e64 v98, v98, v105, s[4:5]
	v_cndmask_b32_e64 v97, v97, v104, s[4:5]
	v_mul_f64 v[97:98], v[97:98], v[102:103]
	buffer_store_dword v98, off, s[0:3], 0 offset:364
	buffer_store_dword v97, off, s[0:3], 0 offset:360
.LBB111_16:
	s_or_b64 exec, exec, s[8:9]
	buffer_load_dword v97, off, s[0:3], 0 offset:352
	buffer_load_dword v98, off, s[0:3], 0 offset:356
	v_cmp_lt_u32_e64 s[4:5], 44, v0
	s_waitcnt vmcnt(0)
	ds_write_b64 v100, v[97:98]
	s_waitcnt lgkmcnt(0)
	; wave barrier
	s_and_saveexec_b64 s[8:9], s[4:5]
	s_cbranch_execz .LBB111_26
; %bb.17:
	s_andn2_b64 vcc, exec, s[10:11]
	s_cbranch_vccnz .LBB111_19
; %bb.18:
	buffer_load_dword v97, v101, s[0:3], 0 offen
	buffer_load_dword v98, v101, s[0:3], 0 offen offset:4
	ds_read_b64 v[102:103], v100
	s_waitcnt vmcnt(0) lgkmcnt(0)
	v_mul_f64 v[97:98], v[97:98], v[102:103]
	s_cbranch_execz .LBB111_20
	s_branch .LBB111_21
.LBB111_19:
                                        ; implicit-def: $vgpr97_vgpr98
.LBB111_20:
	ds_read_b64 v[97:98], v100
.LBB111_21:
	s_and_saveexec_b64 s[12:13], s[6:7]
	s_cbranch_execz .LBB111_25
; %bb.22:
	v_subrev_u32_e32 v102, 45, v0
	s_movk_i32 s60, 0x2e8
	s_mov_b64 s[6:7], 0
.LBB111_23:                             ; =>This Inner Loop Header: Depth=1
	v_mov_b32_e32 v104, s59
	buffer_load_dword v103, v104, s[0:3], 0 offen
	s_nop 0
	buffer_load_dword v104, v104, s[0:3], 0 offen offset:4
	v_mov_b32_e32 v105, s60
	ds_read_b64 v[105:106], v105
	v_add_u32_e32 v102, -1, v102
	s_add_i32 s60, s60, 8
	s_add_i32 s59, s59, 8
	v_cmp_eq_u32_e32 vcc, 0, v102
	s_or_b64 s[6:7], vcc, s[6:7]
	s_waitcnt vmcnt(0) lgkmcnt(0)
	v_fma_f64 v[97:98], v[103:104], v[105:106], v[97:98]
	s_andn2_b64 exec, exec, s[6:7]
	s_cbranch_execnz .LBB111_23
; %bb.24:
	s_or_b64 exec, exec, s[6:7]
.LBB111_25:
	s_or_b64 exec, exec, s[12:13]
	v_mov_b32_e32 v102, 0
	ds_read_b64 v[102:103], v102 offset:352
	s_waitcnt lgkmcnt(0)
	v_mul_f64 v[97:98], v[97:98], v[102:103]
	buffer_store_dword v98, off, s[0:3], 0 offset:356
	buffer_store_dword v97, off, s[0:3], 0 offset:352
.LBB111_26:
	s_or_b64 exec, exec, s[8:9]
	buffer_load_dword v97, off, s[0:3], 0 offset:344
	buffer_load_dword v98, off, s[0:3], 0 offset:348
	v_cmp_lt_u32_e64 s[6:7], 43, v0
	s_waitcnt vmcnt(0)
	ds_write_b64 v100, v[97:98]
	s_waitcnt lgkmcnt(0)
	; wave barrier
	s_and_saveexec_b64 s[8:9], s[6:7]
	s_cbranch_execz .LBB111_36
; %bb.27:
	s_andn2_b64 vcc, exec, s[10:11]
	s_cbranch_vccnz .LBB111_29
; %bb.28:
	buffer_load_dword v97, v101, s[0:3], 0 offen
	buffer_load_dword v98, v101, s[0:3], 0 offen offset:4
	ds_read_b64 v[102:103], v100
	s_waitcnt vmcnt(0) lgkmcnt(0)
	v_mul_f64 v[97:98], v[97:98], v[102:103]
	s_cbranch_execz .LBB111_30
	s_branch .LBB111_31
.LBB111_29:
                                        ; implicit-def: $vgpr97_vgpr98
.LBB111_30:
	ds_read_b64 v[97:98], v100
.LBB111_31:
	s_and_saveexec_b64 s[12:13], s[4:5]
	s_cbranch_execz .LBB111_35
; %bb.32:
	v_subrev_u32_e32 v102, 44, v0
	s_movk_i32 s59, 0x2e0
	s_mov_b64 s[4:5], 0
.LBB111_33:                             ; =>This Inner Loop Header: Depth=1
	v_mov_b32_e32 v104, s58
	buffer_load_dword v103, v104, s[0:3], 0 offen
	s_nop 0
	buffer_load_dword v104, v104, s[0:3], 0 offen offset:4
	v_mov_b32_e32 v105, s59
	ds_read_b64 v[105:106], v105
	v_add_u32_e32 v102, -1, v102
	s_add_i32 s59, s59, 8
	s_add_i32 s58, s58, 8
	v_cmp_eq_u32_e32 vcc, 0, v102
	s_or_b64 s[4:5], vcc, s[4:5]
	s_waitcnt vmcnt(0) lgkmcnt(0)
	v_fma_f64 v[97:98], v[103:104], v[105:106], v[97:98]
	s_andn2_b64 exec, exec, s[4:5]
	s_cbranch_execnz .LBB111_33
; %bb.34:
	s_or_b64 exec, exec, s[4:5]
.LBB111_35:
	s_or_b64 exec, exec, s[12:13]
	v_mov_b32_e32 v102, 0
	ds_read_b64 v[102:103], v102 offset:344
	s_waitcnt lgkmcnt(0)
	v_mul_f64 v[97:98], v[97:98], v[102:103]
	buffer_store_dword v98, off, s[0:3], 0 offset:348
	buffer_store_dword v97, off, s[0:3], 0 offset:344
.LBB111_36:
	;; [unrolled: 59-line block ×8, first 2 shown]
	s_or_b64 exec, exec, s[8:9]
	buffer_load_dword v97, off, s[0:3], 0 offset:288
	buffer_load_dword v98, off, s[0:3], 0 offset:292
	v_cmp_lt_u32_e64 s[8:9], 36, v0
	s_waitcnt vmcnt(0)
	ds_write_b64 v100, v[97:98]
	s_waitcnt lgkmcnt(0)
	; wave barrier
	s_and_saveexec_b64 s[4:5], s[8:9]
	s_cbranch_execz .LBB111_106
; %bb.97:
	s_andn2_b64 vcc, exec, s[10:11]
	s_cbranch_vccnz .LBB111_99
; %bb.98:
	buffer_load_dword v97, v101, s[0:3], 0 offen
	buffer_load_dword v98, v101, s[0:3], 0 offen offset:4
	ds_read_b64 v[102:103], v100
	s_waitcnt vmcnt(0) lgkmcnt(0)
	v_mul_f64 v[97:98], v[97:98], v[102:103]
	s_cbranch_execz .LBB111_100
	s_branch .LBB111_101
.LBB111_99:
                                        ; implicit-def: $vgpr97_vgpr98
.LBB111_100:
	ds_read_b64 v[97:98], v100
.LBB111_101:
	s_and_saveexec_b64 s[12:13], s[6:7]
	s_cbranch_execz .LBB111_105
; %bb.102:
	v_subrev_u32_e32 v102, 37, v0
	s_movk_i32 s52, 0x2a8
	s_mov_b64 s[6:7], 0
.LBB111_103:                            ; =>This Inner Loop Header: Depth=1
	v_mov_b32_e32 v104, s51
	buffer_load_dword v103, v104, s[0:3], 0 offen
	s_nop 0
	buffer_load_dword v104, v104, s[0:3], 0 offen offset:4
	v_mov_b32_e32 v105, s52
	ds_read_b64 v[105:106], v105
	v_add_u32_e32 v102, -1, v102
	s_add_i32 s52, s52, 8
	s_add_i32 s51, s51, 8
	v_cmp_eq_u32_e32 vcc, 0, v102
	s_or_b64 s[6:7], vcc, s[6:7]
	s_waitcnt vmcnt(0) lgkmcnt(0)
	v_fma_f64 v[97:98], v[103:104], v[105:106], v[97:98]
	s_andn2_b64 exec, exec, s[6:7]
	s_cbranch_execnz .LBB111_103
; %bb.104:
	s_or_b64 exec, exec, s[6:7]
.LBB111_105:
	s_or_b64 exec, exec, s[12:13]
	v_mov_b32_e32 v102, 0
	ds_read_b64 v[102:103], v102 offset:288
	s_waitcnt lgkmcnt(0)
	v_mul_f64 v[97:98], v[97:98], v[102:103]
	buffer_store_dword v98, off, s[0:3], 0 offset:292
	buffer_store_dword v97, off, s[0:3], 0 offset:288
.LBB111_106:
	s_or_b64 exec, exec, s[4:5]
	buffer_load_dword v97, off, s[0:3], 0 offset:280
	buffer_load_dword v98, off, s[0:3], 0 offset:284
	v_cmp_lt_u32_e64 s[4:5], 35, v0
	s_waitcnt vmcnt(0)
	ds_write_b64 v100, v[97:98]
	s_waitcnt lgkmcnt(0)
	; wave barrier
	s_and_saveexec_b64 s[6:7], s[4:5]
	s_cbranch_execz .LBB111_116
; %bb.107:
	s_andn2_b64 vcc, exec, s[10:11]
	s_cbranch_vccnz .LBB111_109
; %bb.108:
	buffer_load_dword v97, v101, s[0:3], 0 offen
	buffer_load_dword v98, v101, s[0:3], 0 offen offset:4
	ds_read_b64 v[102:103], v100
	s_waitcnt vmcnt(0) lgkmcnt(0)
	v_mul_f64 v[97:98], v[97:98], v[102:103]
	s_cbranch_execz .LBB111_110
	s_branch .LBB111_111
.LBB111_109:
                                        ; implicit-def: $vgpr97_vgpr98
.LBB111_110:
	ds_read_b64 v[97:98], v100
.LBB111_111:
	s_and_saveexec_b64 s[12:13], s[8:9]
	s_cbranch_execz .LBB111_115
; %bb.112:
	v_subrev_u32_e32 v102, 36, v0
	s_movk_i32 s51, 0x2a0
	s_mov_b64 s[8:9], 0
.LBB111_113:                            ; =>This Inner Loop Header: Depth=1
	v_mov_b32_e32 v105, s50
	buffer_load_dword v103, v105, s[0:3], 0 offen
	buffer_load_dword v104, v105, s[0:3], 0 offen offset:4
	v_mov_b32_e32 v105, s51
	ds_read_b64 v[105:106], v105
	v_add_u32_e32 v102, -1, v102
	s_add_i32 s51, s51, 8
	s_add_i32 s50, s50, 8
	v_cmp_eq_u32_e32 vcc, 0, v102
	s_or_b64 s[8:9], vcc, s[8:9]
	s_waitcnt vmcnt(0) lgkmcnt(0)
	v_fma_f64 v[97:98], v[103:104], v[105:106], v[97:98]
	s_andn2_b64 exec, exec, s[8:9]
	s_cbranch_execnz .LBB111_113
; %bb.114:
	s_or_b64 exec, exec, s[8:9]
.LBB111_115:
	s_or_b64 exec, exec, s[12:13]
	v_mov_b32_e32 v102, 0
	ds_read_b64 v[102:103], v102 offset:280
	s_waitcnt lgkmcnt(0)
	v_mul_f64 v[97:98], v[97:98], v[102:103]
	buffer_store_dword v98, off, s[0:3], 0 offset:284
	buffer_store_dword v97, off, s[0:3], 0 offset:280
.LBB111_116:
	s_or_b64 exec, exec, s[6:7]
	buffer_load_dword v97, off, s[0:3], 0 offset:272
	buffer_load_dword v98, off, s[0:3], 0 offset:276
	v_cmp_lt_u32_e64 s[6:7], 34, v0
	s_waitcnt vmcnt(0)
	ds_write_b64 v100, v[97:98]
	s_waitcnt lgkmcnt(0)
	; wave barrier
	s_and_saveexec_b64 s[8:9], s[6:7]
	s_cbranch_execz .LBB111_126
; %bb.117:
	s_andn2_b64 vcc, exec, s[10:11]
	s_cbranch_vccnz .LBB111_119
; %bb.118:
	buffer_load_dword v97, v101, s[0:3], 0 offen
	buffer_load_dword v98, v101, s[0:3], 0 offen offset:4
	ds_read_b64 v[102:103], v100
	s_waitcnt vmcnt(0) lgkmcnt(0)
	v_mul_f64 v[97:98], v[97:98], v[102:103]
	s_cbranch_execz .LBB111_120
	s_branch .LBB111_121
.LBB111_119:
                                        ; implicit-def: $vgpr97_vgpr98
.LBB111_120:
	ds_read_b64 v[97:98], v100
.LBB111_121:
	s_and_saveexec_b64 s[12:13], s[4:5]
	s_cbranch_execz .LBB111_125
; %bb.122:
	v_subrev_u32_e32 v102, 35, v0
	s_movk_i32 s50, 0x298
	s_mov_b64 s[4:5], 0
.LBB111_123:                            ; =>This Inner Loop Header: Depth=1
	v_mov_b32_e32 v105, s49
	buffer_load_dword v103, v105, s[0:3], 0 offen
	buffer_load_dword v104, v105, s[0:3], 0 offen offset:4
	v_mov_b32_e32 v105, s50
	ds_read_b64 v[105:106], v105
	v_add_u32_e32 v102, -1, v102
	s_add_i32 s50, s50, 8
	s_add_i32 s49, s49, 8
	v_cmp_eq_u32_e32 vcc, 0, v102
	s_or_b64 s[4:5], vcc, s[4:5]
	s_waitcnt vmcnt(0) lgkmcnt(0)
	v_fma_f64 v[97:98], v[103:104], v[105:106], v[97:98]
	s_andn2_b64 exec, exec, s[4:5]
	s_cbranch_execnz .LBB111_123
; %bb.124:
	s_or_b64 exec, exec, s[4:5]
.LBB111_125:
	s_or_b64 exec, exec, s[12:13]
	v_mov_b32_e32 v102, 0
	ds_read_b64 v[102:103], v102 offset:272
	s_waitcnt lgkmcnt(0)
	v_mul_f64 v[97:98], v[97:98], v[102:103]
	buffer_store_dword v98, off, s[0:3], 0 offset:276
	buffer_store_dword v97, off, s[0:3], 0 offset:272
.LBB111_126:
	;; [unrolled: 58-line block ×20, first 2 shown]
	s_or_b64 exec, exec, s[8:9]
	buffer_load_dword v97, off, s[0:3], 0 offset:120
	buffer_load_dword v98, off, s[0:3], 0 offset:124
	v_cmp_lt_u32_e64 s[4:5], 15, v0
	s_waitcnt vmcnt(0)
	ds_write_b64 v100, v[97:98]
	s_waitcnt lgkmcnt(0)
	; wave barrier
	s_and_saveexec_b64 s[8:9], s[4:5]
	s_cbranch_execz .LBB111_316
; %bb.307:
	s_andn2_b64 vcc, exec, s[10:11]
	s_cbranch_vccnz .LBB111_309
; %bb.308:
	buffer_load_dword v97, v101, s[0:3], 0 offen
	buffer_load_dword v98, v101, s[0:3], 0 offen offset:4
	ds_read_b64 v[102:103], v100
	s_waitcnt vmcnt(0) lgkmcnt(0)
	v_mul_f64 v[97:98], v[97:98], v[102:103]
	s_cbranch_execz .LBB111_310
	s_branch .LBB111_311
.LBB111_309:
                                        ; implicit-def: $vgpr97_vgpr98
.LBB111_310:
	ds_read_b64 v[97:98], v100
.LBB111_311:
	s_and_saveexec_b64 s[12:13], s[6:7]
	s_cbranch_execz .LBB111_315
; %bb.312:
	v_add_u32_e32 v102, -16, v0
	s_movk_i32 s30, 0x200
	s_mov_b64 s[6:7], 0
.LBB111_313:                            ; =>This Inner Loop Header: Depth=1
	v_mov_b32_e32 v105, s29
	buffer_load_dword v103, v105, s[0:3], 0 offen
	buffer_load_dword v104, v105, s[0:3], 0 offen offset:4
	v_mov_b32_e32 v105, s30
	ds_read_b64 v[105:106], v105
	v_add_u32_e32 v102, -1, v102
	s_add_i32 s30, s30, 8
	s_add_i32 s29, s29, 8
	v_cmp_eq_u32_e32 vcc, 0, v102
	s_or_b64 s[6:7], vcc, s[6:7]
	s_waitcnt vmcnt(0) lgkmcnt(0)
	v_fma_f64 v[97:98], v[103:104], v[105:106], v[97:98]
	s_andn2_b64 exec, exec, s[6:7]
	s_cbranch_execnz .LBB111_313
; %bb.314:
	s_or_b64 exec, exec, s[6:7]
.LBB111_315:
	s_or_b64 exec, exec, s[12:13]
	v_mov_b32_e32 v102, 0
	ds_read_b64 v[102:103], v102 offset:120
	s_waitcnt lgkmcnt(0)
	v_mul_f64 v[97:98], v[97:98], v[102:103]
	buffer_store_dword v98, off, s[0:3], 0 offset:124
	buffer_store_dword v97, off, s[0:3], 0 offset:120
.LBB111_316:
	s_or_b64 exec, exec, s[8:9]
	buffer_load_dword v97, off, s[0:3], 0 offset:112
	buffer_load_dword v98, off, s[0:3], 0 offset:116
	v_cmp_lt_u32_e64 s[6:7], 14, v0
	s_waitcnt vmcnt(0)
	ds_write_b64 v100, v[97:98]
	s_waitcnt lgkmcnt(0)
	; wave barrier
	s_and_saveexec_b64 s[8:9], s[6:7]
	s_cbranch_execz .LBB111_326
; %bb.317:
	s_andn2_b64 vcc, exec, s[10:11]
	s_cbranch_vccnz .LBB111_319
; %bb.318:
	buffer_load_dword v97, v101, s[0:3], 0 offen
	buffer_load_dword v98, v101, s[0:3], 0 offen offset:4
	ds_read_b64 v[102:103], v100
	s_waitcnt vmcnt(0) lgkmcnt(0)
	v_mul_f64 v[97:98], v[97:98], v[102:103]
	s_cbranch_execz .LBB111_320
	s_branch .LBB111_321
.LBB111_319:
                                        ; implicit-def: $vgpr97_vgpr98
.LBB111_320:
	ds_read_b64 v[97:98], v100
.LBB111_321:
	s_and_saveexec_b64 s[12:13], s[4:5]
	s_cbranch_execz .LBB111_325
; %bb.322:
	v_add_u32_e32 v102, -15, v0
	s_movk_i32 s29, 0x1f8
	s_mov_b64 s[4:5], 0
.LBB111_323:                            ; =>This Inner Loop Header: Depth=1
	v_mov_b32_e32 v105, s28
	buffer_load_dword v103, v105, s[0:3], 0 offen
	buffer_load_dword v104, v105, s[0:3], 0 offen offset:4
	v_mov_b32_e32 v105, s29
	ds_read_b64 v[105:106], v105
	v_add_u32_e32 v102, -1, v102
	s_add_i32 s29, s29, 8
	s_add_i32 s28, s28, 8
	v_cmp_eq_u32_e32 vcc, 0, v102
	s_or_b64 s[4:5], vcc, s[4:5]
	s_waitcnt vmcnt(0) lgkmcnt(0)
	v_fma_f64 v[97:98], v[103:104], v[105:106], v[97:98]
	s_andn2_b64 exec, exec, s[4:5]
	s_cbranch_execnz .LBB111_323
; %bb.324:
	s_or_b64 exec, exec, s[4:5]
.LBB111_325:
	s_or_b64 exec, exec, s[12:13]
	v_mov_b32_e32 v102, 0
	ds_read_b64 v[102:103], v102 offset:112
	s_waitcnt lgkmcnt(0)
	v_mul_f64 v[97:98], v[97:98], v[102:103]
	buffer_store_dword v98, off, s[0:3], 0 offset:116
	buffer_store_dword v97, off, s[0:3], 0 offset:112
.LBB111_326:
	;; [unrolled: 58-line block ×15, first 2 shown]
	s_or_b64 exec, exec, s[8:9]
	buffer_load_dword v97, off, s[0:3], 0
	buffer_load_dword v98, off, s[0:3], 0 offset:4
	v_cmp_ne_u32_e32 vcc, 0, v0
	s_waitcnt vmcnt(0)
	ds_write_b64 v100, v[97:98]
	s_waitcnt lgkmcnt(0)
	; wave barrier
	s_and_saveexec_b64 s[6:7], vcc
	s_cbranch_execz .LBB111_466
; %bb.457:
	s_andn2_b64 vcc, exec, s[10:11]
	s_cbranch_vccnz .LBB111_459
; %bb.458:
	buffer_load_dword v97, v101, s[0:3], 0 offen
	buffer_load_dword v98, v101, s[0:3], 0 offen offset:4
	ds_read_b64 v[102:103], v100
	s_waitcnt vmcnt(0) lgkmcnt(0)
	v_mul_f64 v[97:98], v[97:98], v[102:103]
	s_cbranch_execz .LBB111_460
	s_branch .LBB111_461
.LBB111_459:
                                        ; implicit-def: $vgpr97_vgpr98
.LBB111_460:
	ds_read_b64 v[97:98], v100
.LBB111_461:
	s_and_saveexec_b64 s[8:9], s[4:5]
	s_cbranch_execz .LBB111_465
; %bb.462:
	v_add_u32_e32 v102, -1, v0
	s_movk_i32 s12, 0x188
	s_mov_b64 s[4:5], 0
.LBB111_463:                            ; =>This Inner Loop Header: Depth=1
	v_mov_b32_e32 v105, s14
	buffer_load_dword v103, v105, s[0:3], 0 offen
	buffer_load_dword v104, v105, s[0:3], 0 offen offset:4
	v_mov_b32_e32 v105, s12
	ds_read_b64 v[105:106], v105
	v_add_u32_e32 v102, -1, v102
	s_add_i32 s12, s12, 8
	s_add_i32 s14, s14, 8
	v_cmp_eq_u32_e32 vcc, 0, v102
	s_or_b64 s[4:5], vcc, s[4:5]
	s_waitcnt vmcnt(0) lgkmcnt(0)
	v_fma_f64 v[97:98], v[103:104], v[105:106], v[97:98]
	s_andn2_b64 exec, exec, s[4:5]
	s_cbranch_execnz .LBB111_463
; %bb.464:
	s_or_b64 exec, exec, s[4:5]
.LBB111_465:
	s_or_b64 exec, exec, s[8:9]
	v_mov_b32_e32 v102, 0
	ds_read_b64 v[102:103], v102
	s_waitcnt lgkmcnt(0)
	v_mul_f64 v[97:98], v[97:98], v[102:103]
	buffer_store_dword v98, off, s[0:3], 0 offset:4
	buffer_store_dword v97, off, s[0:3], 0
.LBB111_466:
	s_or_b64 exec, exec, s[6:7]
	s_mov_b64 s[4:5], 0
.LBB111_467:
	s_and_b64 vcc, exec, s[4:5]
	s_cbranch_vccz .LBB111_929
; %bb.468:
	buffer_load_dword v97, off, s[0:3], 0 offset:8
	buffer_load_dword v98, off, s[0:3], 0 offset:12
	v_cmp_eq_u32_e64 s[6:7], 0, v0
	s_waitcnt vmcnt(0)
	ds_write_b64 v100, v[97:98]
	s_waitcnt lgkmcnt(0)
	; wave barrier
	s_and_saveexec_b64 s[4:5], s[6:7]
	s_cbranch_execz .LBB111_474
; %bb.469:
	s_and_b64 vcc, exec, s[10:11]
	s_cbranch_vccz .LBB111_471
; %bb.470:
	buffer_load_dword v97, v101, s[0:3], 0 offen
	buffer_load_dword v98, v101, s[0:3], 0 offen offset:4
	ds_read_b64 v[102:103], v100
	s_waitcnt vmcnt(0) lgkmcnt(0)
	v_mul_f64 v[97:98], v[97:98], v[102:103]
	s_cbranch_execz .LBB111_472
	s_branch .LBB111_473
.LBB111_471:
                                        ; implicit-def: $vgpr97_vgpr98
.LBB111_472:
	ds_read_b64 v[97:98], v100
.LBB111_473:
	v_mov_b32_e32 v102, 0
	ds_read_b64 v[102:103], v102 offset:8
	s_waitcnt lgkmcnt(0)
	v_mul_f64 v[97:98], v[97:98], v[102:103]
	buffer_store_dword v98, off, s[0:3], 0 offset:12
	buffer_store_dword v97, off, s[0:3], 0 offset:8
.LBB111_474:
	s_or_b64 exec, exec, s[4:5]
	buffer_load_dword v97, off, s[0:3], 0 offset:16
	buffer_load_dword v98, off, s[0:3], 0 offset:20
	v_cndmask_b32_e64 v102, 0, 1, s[10:11]
	v_cmp_gt_u32_e32 vcc, 2, v0
	v_cmp_ne_u32_e64 s[4:5], 1, v102
	s_waitcnt vmcnt(0)
	ds_write_b64 v100, v[97:98]
	s_waitcnt lgkmcnt(0)
	; wave barrier
	s_and_saveexec_b64 s[8:9], vcc
	s_cbranch_execz .LBB111_480
; %bb.475:
	s_and_b64 vcc, exec, s[4:5]
	s_cbranch_vccnz .LBB111_477
; %bb.476:
	buffer_load_dword v97, v101, s[0:3], 0 offen
	buffer_load_dword v98, v101, s[0:3], 0 offen offset:4
	ds_read_b64 v[102:103], v100
	s_waitcnt vmcnt(0) lgkmcnt(0)
	v_mul_f64 v[97:98], v[97:98], v[102:103]
	s_cbranch_execz .LBB111_478
	s_branch .LBB111_479
.LBB111_477:
                                        ; implicit-def: $vgpr97_vgpr98
.LBB111_478:
	ds_read_b64 v[97:98], v100
.LBB111_479:
	buffer_load_dword v106, off, s[0:3], 0 offset:8
	buffer_load_dword v107, off, s[0:3], 0 offset:12
	v_mov_b32_e32 v102, 0
	ds_read2_b64 v[102:105], v102 offset0:2 offset1:49
	s_waitcnt vmcnt(0) lgkmcnt(0)
	v_fma_f64 v[104:105], v[106:107], v[104:105], v[97:98]
	v_cndmask_b32_e64 v98, v98, v105, s[6:7]
	v_cndmask_b32_e64 v97, v97, v104, s[6:7]
	v_mul_f64 v[97:98], v[97:98], v[102:103]
	buffer_store_dword v98, off, s[0:3], 0 offset:20
	buffer_store_dword v97, off, s[0:3], 0 offset:16
.LBB111_480:
	s_or_b64 exec, exec, s[8:9]
	buffer_load_dword v97, off, s[0:3], 0 offset:24
	buffer_load_dword v98, off, s[0:3], 0 offset:28
	v_cmp_gt_u32_e32 vcc, 3, v0
	s_waitcnt vmcnt(0)
	ds_write_b64 v100, v[97:98]
	s_waitcnt lgkmcnt(0)
	; wave barrier
	s_and_saveexec_b64 s[8:9], vcc
	s_cbranch_execz .LBB111_488
; %bb.481:
	s_and_b64 vcc, exec, s[4:5]
	s_cbranch_vccnz .LBB111_483
; %bb.482:
	buffer_load_dword v97, v101, s[0:3], 0 offen
	buffer_load_dword v98, v101, s[0:3], 0 offen offset:4
	ds_read_b64 v[102:103], v100
	s_waitcnt vmcnt(0) lgkmcnt(0)
	v_mul_f64 v[97:98], v[97:98], v[102:103]
	s_cbranch_execz .LBB111_484
	s_branch .LBB111_485
.LBB111_483:
                                        ; implicit-def: $vgpr97_vgpr98
.LBB111_484:
	ds_read_b64 v[97:98], v100
.LBB111_485:
	v_cmp_ne_u32_e32 vcc, 2, v0
	s_and_saveexec_b64 s[10:11], vcc
	s_cbranch_execz .LBB111_487
; %bb.486:
	buffer_load_dword v102, v101, s[0:3], 0 offen offset:8
	buffer_load_dword v103, v101, s[0:3], 0 offen offset:12
	buffer_load_dword v104, off, s[0:3], 0 offset:16
	buffer_load_dword v105, off, s[0:3], 0 offset:20
	ds_read_b64 v[106:107], v100 offset:8
	v_mov_b32_e32 v108, 0
	ds_read_b64 v[108:109], v108 offset:400
	s_waitcnt vmcnt(2) lgkmcnt(1)
	v_fma_f64 v[97:98], v[102:103], v[106:107], v[97:98]
	s_waitcnt vmcnt(0) lgkmcnt(0)
	v_fma_f64 v[102:103], v[104:105], v[108:109], v[97:98]
	v_cndmask_b32_e64 v98, v98, v103, s[6:7]
	v_cndmask_b32_e64 v97, v97, v102, s[6:7]
.LBB111_487:
	s_or_b64 exec, exec, s[10:11]
	v_mov_b32_e32 v102, 0
	ds_read_b64 v[102:103], v102 offset:24
	s_waitcnt lgkmcnt(0)
	v_mul_f64 v[97:98], v[97:98], v[102:103]
	buffer_store_dword v98, off, s[0:3], 0 offset:28
	buffer_store_dword v97, off, s[0:3], 0 offset:24
.LBB111_488:
	s_or_b64 exec, exec, s[8:9]
	buffer_load_dword v97, off, s[0:3], 0 offset:32
	buffer_load_dword v98, off, s[0:3], 0 offset:36
	v_cmp_gt_u32_e32 vcc, 4, v0
	s_waitcnt vmcnt(0)
	ds_write_b64 v100, v[97:98]
	s_waitcnt lgkmcnt(0)
	; wave barrier
	s_and_saveexec_b64 s[6:7], vcc
	s_cbranch_execz .LBB111_498
; %bb.489:
	s_and_b64 vcc, exec, s[4:5]
	s_cbranch_vccnz .LBB111_491
; %bb.490:
	buffer_load_dword v97, v101, s[0:3], 0 offen
	buffer_load_dword v98, v101, s[0:3], 0 offen offset:4
	ds_read_b64 v[102:103], v100
	s_waitcnt vmcnt(0) lgkmcnt(0)
	v_mul_f64 v[97:98], v[97:98], v[102:103]
	s_cbranch_execz .LBB111_492
	s_branch .LBB111_493
.LBB111_491:
                                        ; implicit-def: $vgpr97_vgpr98
.LBB111_492:
	ds_read_b64 v[97:98], v100
.LBB111_493:
	v_cmp_ne_u32_e32 vcc, 3, v0
	s_and_saveexec_b64 s[8:9], vcc
	s_cbranch_execz .LBB111_497
; %bb.494:
	s_mov_b32 s10, 0
	v_add_u32_e32 v102, 0x188, v99
	v_add3_u32 v103, v99, s10, 8
	s_mov_b64 s[10:11], 0
	v_mov_b32_e32 v104, v0
.LBB111_495:                            ; =>This Inner Loop Header: Depth=1
	buffer_load_dword v105, v103, s[0:3], 0 offen
	buffer_load_dword v106, v103, s[0:3], 0 offen offset:4
	ds_read_b64 v[107:108], v102
	v_add_u32_e32 v104, 1, v104
	v_cmp_lt_u32_e32 vcc, 2, v104
	v_add_u32_e32 v102, 8, v102
	s_or_b64 s[10:11], vcc, s[10:11]
	v_add_u32_e32 v103, 8, v103
	s_waitcnt vmcnt(0) lgkmcnt(0)
	v_fma_f64 v[97:98], v[105:106], v[107:108], v[97:98]
	s_andn2_b64 exec, exec, s[10:11]
	s_cbranch_execnz .LBB111_495
; %bb.496:
	s_or_b64 exec, exec, s[10:11]
.LBB111_497:
	s_or_b64 exec, exec, s[8:9]
	v_mov_b32_e32 v102, 0
	ds_read_b64 v[102:103], v102 offset:32
	s_waitcnt lgkmcnt(0)
	v_mul_f64 v[97:98], v[97:98], v[102:103]
	buffer_store_dword v98, off, s[0:3], 0 offset:36
	buffer_store_dword v97, off, s[0:3], 0 offset:32
.LBB111_498:
	s_or_b64 exec, exec, s[6:7]
	buffer_load_dword v97, off, s[0:3], 0 offset:40
	buffer_load_dword v98, off, s[0:3], 0 offset:44
	v_cmp_gt_u32_e32 vcc, 5, v0
	s_waitcnt vmcnt(0)
	ds_write_b64 v100, v[97:98]
	s_waitcnt lgkmcnt(0)
	; wave barrier
	s_and_saveexec_b64 s[6:7], vcc
	s_cbranch_execz .LBB111_508
; %bb.499:
	s_and_b64 vcc, exec, s[4:5]
	s_cbranch_vccnz .LBB111_501
; %bb.500:
	buffer_load_dword v97, v101, s[0:3], 0 offen
	buffer_load_dword v98, v101, s[0:3], 0 offen offset:4
	ds_read_b64 v[102:103], v100
	s_waitcnt vmcnt(0) lgkmcnt(0)
	v_mul_f64 v[97:98], v[97:98], v[102:103]
	s_cbranch_execz .LBB111_502
	s_branch .LBB111_503
.LBB111_501:
                                        ; implicit-def: $vgpr97_vgpr98
.LBB111_502:
	ds_read_b64 v[97:98], v100
.LBB111_503:
	v_cmp_ne_u32_e32 vcc, 4, v0
	s_and_saveexec_b64 s[8:9], vcc
	s_cbranch_execz .LBB111_507
; %bb.504:
	s_mov_b32 s10, 0
	v_add_u32_e32 v102, 0x188, v99
	v_add3_u32 v103, v99, s10, 8
	s_mov_b64 s[10:11], 0
	v_mov_b32_e32 v104, v0
.LBB111_505:                            ; =>This Inner Loop Header: Depth=1
	buffer_load_dword v105, v103, s[0:3], 0 offen
	buffer_load_dword v106, v103, s[0:3], 0 offen offset:4
	ds_read_b64 v[107:108], v102
	v_add_u32_e32 v104, 1, v104
	v_cmp_lt_u32_e32 vcc, 3, v104
	v_add_u32_e32 v102, 8, v102
	s_or_b64 s[10:11], vcc, s[10:11]
	v_add_u32_e32 v103, 8, v103
	s_waitcnt vmcnt(0) lgkmcnt(0)
	v_fma_f64 v[97:98], v[105:106], v[107:108], v[97:98]
	s_andn2_b64 exec, exec, s[10:11]
	s_cbranch_execnz .LBB111_505
; %bb.506:
	s_or_b64 exec, exec, s[10:11]
.LBB111_507:
	s_or_b64 exec, exec, s[8:9]
	v_mov_b32_e32 v102, 0
	ds_read_b64 v[102:103], v102 offset:40
	s_waitcnt lgkmcnt(0)
	v_mul_f64 v[97:98], v[97:98], v[102:103]
	buffer_store_dword v98, off, s[0:3], 0 offset:44
	buffer_store_dword v97, off, s[0:3], 0 offset:40
.LBB111_508:
	;; [unrolled: 59-line block ×42, first 2 shown]
	s_or_b64 exec, exec, s[6:7]
	buffer_load_dword v97, off, s[0:3], 0 offset:368
	buffer_load_dword v98, off, s[0:3], 0 offset:372
	v_cmp_gt_u32_e64 s[6:7], 46, v0
	s_waitcnt vmcnt(0)
	ds_write_b64 v100, v[97:98]
	s_waitcnt lgkmcnt(0)
	; wave barrier
	s_and_saveexec_b64 s[8:9], s[6:7]
	s_cbranch_execz .LBB111_918
; %bb.909:
	s_and_b64 vcc, exec, s[4:5]
	s_cbranch_vccnz .LBB111_911
; %bb.910:
	buffer_load_dword v97, v101, s[0:3], 0 offen
	buffer_load_dword v98, v101, s[0:3], 0 offen offset:4
	ds_read_b64 v[102:103], v100
	s_waitcnt vmcnt(0) lgkmcnt(0)
	v_mul_f64 v[97:98], v[97:98], v[102:103]
	s_cbranch_execz .LBB111_912
	s_branch .LBB111_913
.LBB111_911:
                                        ; implicit-def: $vgpr97_vgpr98
.LBB111_912:
	ds_read_b64 v[97:98], v100
.LBB111_913:
	v_cmp_ne_u32_e32 vcc, 45, v0
	s_and_saveexec_b64 s[10:11], vcc
	s_cbranch_execz .LBB111_917
; %bb.914:
	s_mov_b32 s12, 0
	v_add_u32_e32 v102, 0x188, v99
	v_add3_u32 v103, v99, s12, 8
	s_mov_b64 s[12:13], 0
	v_mov_b32_e32 v104, v0
.LBB111_915:                            ; =>This Inner Loop Header: Depth=1
	buffer_load_dword v105, v103, s[0:3], 0 offen
	buffer_load_dword v106, v103, s[0:3], 0 offen offset:4
	ds_read_b64 v[107:108], v102
	v_add_u32_e32 v104, 1, v104
	v_cmp_lt_u32_e32 vcc, 44, v104
	v_add_u32_e32 v102, 8, v102
	s_or_b64 s[12:13], vcc, s[12:13]
	v_add_u32_e32 v103, 8, v103
	s_waitcnt vmcnt(0) lgkmcnt(0)
	v_fma_f64 v[97:98], v[105:106], v[107:108], v[97:98]
	s_andn2_b64 exec, exec, s[12:13]
	s_cbranch_execnz .LBB111_915
; %bb.916:
	s_or_b64 exec, exec, s[12:13]
.LBB111_917:
	s_or_b64 exec, exec, s[10:11]
	v_mov_b32_e32 v102, 0
	ds_read_b64 v[102:103], v102 offset:368
	s_waitcnt lgkmcnt(0)
	v_mul_f64 v[97:98], v[97:98], v[102:103]
	buffer_store_dword v98, off, s[0:3], 0 offset:372
	buffer_store_dword v97, off, s[0:3], 0 offset:368
.LBB111_918:
	s_or_b64 exec, exec, s[8:9]
	buffer_load_dword v97, off, s[0:3], 0 offset:376
	buffer_load_dword v98, off, s[0:3], 0 offset:380
	v_cmp_ne_u32_e32 vcc, 47, v0
	s_waitcnt vmcnt(0)
	ds_write_b64 v100, v[97:98]
	s_waitcnt lgkmcnt(0)
	; wave barrier
	s_and_saveexec_b64 s[8:9], vcc
	s_cbranch_execz .LBB111_928
; %bb.919:
	s_and_b64 vcc, exec, s[4:5]
	s_cbranch_vccnz .LBB111_921
; %bb.920:
	buffer_load_dword v97, v101, s[0:3], 0 offen
	buffer_load_dword v98, v101, s[0:3], 0 offen offset:4
	ds_read_b64 v[101:102], v100
	s_waitcnt vmcnt(0) lgkmcnt(0)
	v_mul_f64 v[97:98], v[97:98], v[101:102]
	s_cbranch_execz .LBB111_922
	s_branch .LBB111_923
.LBB111_921:
                                        ; implicit-def: $vgpr97_vgpr98
.LBB111_922:
	ds_read_b64 v[97:98], v100
.LBB111_923:
	s_and_saveexec_b64 s[4:5], s[6:7]
	s_cbranch_execz .LBB111_927
; %bb.924:
	s_mov_b32 s6, 0
	v_add_u32_e32 v100, 0x188, v99
	v_add3_u32 v99, v99, s6, 8
	s_mov_b64 s[6:7], 0
.LBB111_925:                            ; =>This Inner Loop Header: Depth=1
	buffer_load_dword v101, v99, s[0:3], 0 offen
	buffer_load_dword v102, v99, s[0:3], 0 offen offset:4
	ds_read_b64 v[103:104], v100
	v_add_u32_e32 v0, 1, v0
	v_cmp_lt_u32_e32 vcc, 45, v0
	v_add_u32_e32 v100, 8, v100
	s_or_b64 s[6:7], vcc, s[6:7]
	v_add_u32_e32 v99, 8, v99
	s_waitcnt vmcnt(0) lgkmcnt(0)
	v_fma_f64 v[97:98], v[101:102], v[103:104], v[97:98]
	s_andn2_b64 exec, exec, s[6:7]
	s_cbranch_execnz .LBB111_925
; %bb.926:
	s_or_b64 exec, exec, s[6:7]
.LBB111_927:
	s_or_b64 exec, exec, s[4:5]
	v_mov_b32_e32 v0, 0
	ds_read_b64 v[99:100], v0 offset:376
	s_waitcnt lgkmcnt(0)
	v_mul_f64 v[97:98], v[97:98], v[99:100]
	buffer_store_dword v98, off, s[0:3], 0 offset:380
	buffer_store_dword v97, off, s[0:3], 0 offset:376
.LBB111_928:
	s_or_b64 exec, exec, s[8:9]
.LBB111_929:
	buffer_load_dword v97, off, s[0:3], 0
	buffer_load_dword v98, off, s[0:3], 0 offset:4
	s_waitcnt vmcnt(0)
	flat_store_dwordx2 v[1:2], v[97:98]
	buffer_load_dword v0, off, s[0:3], 0 offset:8
	s_nop 0
	buffer_load_dword v1, off, s[0:3], 0 offset:12
	s_waitcnt vmcnt(0)
	flat_store_dwordx2 v[3:4], v[0:1]
	buffer_load_dword v0, off, s[0:3], 0 offset:16
	s_nop 0
	;; [unrolled: 5-line block ×47, first 2 shown]
	buffer_load_dword v1, off, s[0:3], 0 offset:380
	s_waitcnt vmcnt(0)
	flat_store_dwordx2 v[95:96], v[0:1]
.LBB111_930:
	s_endpgm
	.section	.rodata,"a",@progbits
	.p2align	6, 0x0
	.amdhsa_kernel _ZN9rocsolver6v33100L18trti2_kernel_smallILi48EdPKPdEEv13rocblas_fill_17rocblas_diagonal_T1_iil
		.amdhsa_group_segment_fixed_size 768
		.amdhsa_private_segment_fixed_size 400
		.amdhsa_kernarg_size 32
		.amdhsa_user_sgpr_count 6
		.amdhsa_user_sgpr_private_segment_buffer 1
		.amdhsa_user_sgpr_dispatch_ptr 0
		.amdhsa_user_sgpr_queue_ptr 0
		.amdhsa_user_sgpr_kernarg_segment_ptr 1
		.amdhsa_user_sgpr_dispatch_id 0
		.amdhsa_user_sgpr_flat_scratch_init 0
		.amdhsa_user_sgpr_private_segment_size 0
		.amdhsa_uses_dynamic_stack 0
		.amdhsa_system_sgpr_private_segment_wavefront_offset 1
		.amdhsa_system_sgpr_workgroup_id_x 1
		.amdhsa_system_sgpr_workgroup_id_y 0
		.amdhsa_system_sgpr_workgroup_id_z 0
		.amdhsa_system_sgpr_workgroup_info 0
		.amdhsa_system_vgpr_workitem_id 0
		.amdhsa_next_free_vgpr 110
		.amdhsa_next_free_sgpr 61
		.amdhsa_reserve_vcc 1
		.amdhsa_reserve_flat_scratch 0
		.amdhsa_float_round_mode_32 0
		.amdhsa_float_round_mode_16_64 0
		.amdhsa_float_denorm_mode_32 3
		.amdhsa_float_denorm_mode_16_64 3
		.amdhsa_dx10_clamp 1
		.amdhsa_ieee_mode 1
		.amdhsa_fp16_overflow 0
		.amdhsa_exception_fp_ieee_invalid_op 0
		.amdhsa_exception_fp_denorm_src 0
		.amdhsa_exception_fp_ieee_div_zero 0
		.amdhsa_exception_fp_ieee_overflow 0
		.amdhsa_exception_fp_ieee_underflow 0
		.amdhsa_exception_fp_ieee_inexact 0
		.amdhsa_exception_int_div_zero 0
	.end_amdhsa_kernel
	.section	.text._ZN9rocsolver6v33100L18trti2_kernel_smallILi48EdPKPdEEv13rocblas_fill_17rocblas_diagonal_T1_iil,"axG",@progbits,_ZN9rocsolver6v33100L18trti2_kernel_smallILi48EdPKPdEEv13rocblas_fill_17rocblas_diagonal_T1_iil,comdat
.Lfunc_end111:
	.size	_ZN9rocsolver6v33100L18trti2_kernel_smallILi48EdPKPdEEv13rocblas_fill_17rocblas_diagonal_T1_iil, .Lfunc_end111-_ZN9rocsolver6v33100L18trti2_kernel_smallILi48EdPKPdEEv13rocblas_fill_17rocblas_diagonal_T1_iil
                                        ; -- End function
	.set _ZN9rocsolver6v33100L18trti2_kernel_smallILi48EdPKPdEEv13rocblas_fill_17rocblas_diagonal_T1_iil.num_vgpr, 110
	.set _ZN9rocsolver6v33100L18trti2_kernel_smallILi48EdPKPdEEv13rocblas_fill_17rocblas_diagonal_T1_iil.num_agpr, 0
	.set _ZN9rocsolver6v33100L18trti2_kernel_smallILi48EdPKPdEEv13rocblas_fill_17rocblas_diagonal_T1_iil.numbered_sgpr, 61
	.set _ZN9rocsolver6v33100L18trti2_kernel_smallILi48EdPKPdEEv13rocblas_fill_17rocblas_diagonal_T1_iil.num_named_barrier, 0
	.set _ZN9rocsolver6v33100L18trti2_kernel_smallILi48EdPKPdEEv13rocblas_fill_17rocblas_diagonal_T1_iil.private_seg_size, 400
	.set _ZN9rocsolver6v33100L18trti2_kernel_smallILi48EdPKPdEEv13rocblas_fill_17rocblas_diagonal_T1_iil.uses_vcc, 1
	.set _ZN9rocsolver6v33100L18trti2_kernel_smallILi48EdPKPdEEv13rocblas_fill_17rocblas_diagonal_T1_iil.uses_flat_scratch, 0
	.set _ZN9rocsolver6v33100L18trti2_kernel_smallILi48EdPKPdEEv13rocblas_fill_17rocblas_diagonal_T1_iil.has_dyn_sized_stack, 0
	.set _ZN9rocsolver6v33100L18trti2_kernel_smallILi48EdPKPdEEv13rocblas_fill_17rocblas_diagonal_T1_iil.has_recursion, 0
	.set _ZN9rocsolver6v33100L18trti2_kernel_smallILi48EdPKPdEEv13rocblas_fill_17rocblas_diagonal_T1_iil.has_indirect_call, 0
	.section	.AMDGPU.csdata,"",@progbits
; Kernel info:
; codeLenInByte = 28460
; TotalNumSgprs: 65
; NumVgprs: 110
; ScratchSize: 400
; MemoryBound: 0
; FloatMode: 240
; IeeeMode: 1
; LDSByteSize: 768 bytes/workgroup (compile time only)
; SGPRBlocks: 8
; VGPRBlocks: 27
; NumSGPRsForWavesPerEU: 65
; NumVGPRsForWavesPerEU: 110
; Occupancy: 2
; WaveLimiterHint : 1
; COMPUTE_PGM_RSRC2:SCRATCH_EN: 1
; COMPUTE_PGM_RSRC2:USER_SGPR: 6
; COMPUTE_PGM_RSRC2:TRAP_HANDLER: 0
; COMPUTE_PGM_RSRC2:TGID_X_EN: 1
; COMPUTE_PGM_RSRC2:TGID_Y_EN: 0
; COMPUTE_PGM_RSRC2:TGID_Z_EN: 0
; COMPUTE_PGM_RSRC2:TIDIG_COMP_CNT: 0
	.section	.text._ZN9rocsolver6v33100L18trti2_kernel_smallILi49EdPKPdEEv13rocblas_fill_17rocblas_diagonal_T1_iil,"axG",@progbits,_ZN9rocsolver6v33100L18trti2_kernel_smallILi49EdPKPdEEv13rocblas_fill_17rocblas_diagonal_T1_iil,comdat
	.globl	_ZN9rocsolver6v33100L18trti2_kernel_smallILi49EdPKPdEEv13rocblas_fill_17rocblas_diagonal_T1_iil ; -- Begin function _ZN9rocsolver6v33100L18trti2_kernel_smallILi49EdPKPdEEv13rocblas_fill_17rocblas_diagonal_T1_iil
	.p2align	8
	.type	_ZN9rocsolver6v33100L18trti2_kernel_smallILi49EdPKPdEEv13rocblas_fill_17rocblas_diagonal_T1_iil,@function
_ZN9rocsolver6v33100L18trti2_kernel_smallILi49EdPKPdEEv13rocblas_fill_17rocblas_diagonal_T1_iil: ; @_ZN9rocsolver6v33100L18trti2_kernel_smallILi49EdPKPdEEv13rocblas_fill_17rocblas_diagonal_T1_iil
; %bb.0:
	s_add_u32 s0, s0, s7
	s_addc_u32 s1, s1, 0
	v_cmp_gt_u32_e32 vcc, 49, v0
	s_and_saveexec_b64 s[8:9], vcc
	s_cbranch_execz .LBB112_950
; %bb.1:
	s_load_dwordx2 s[12:13], s[4:5], 0x10
	s_load_dwordx4 s[8:11], s[4:5], 0x0
	s_ashr_i32 s7, s6, 31
	s_lshl_b64 s[6:7], s[6:7], 3
	v_lshlrev_b32_e32 v101, 3, v0
	s_waitcnt lgkmcnt(0)
	s_ashr_i32 s5, s12, 31
	s_add_u32 s6, s10, s6
	s_addc_u32 s7, s11, s7
	s_load_dwordx2 s[6:7], s[6:7], 0x0
	s_mov_b32 s4, s12
	s_lshl_b64 s[4:5], s[4:5], 3
	s_waitcnt lgkmcnt(0)
	s_add_u32 s4, s6, s4
	s_addc_u32 s5, s7, s5
	v_mov_b32_e32 v2, s5
	v_add_co_u32_e32 v1, vcc, s4, v101
	v_addc_co_u32_e32 v2, vcc, 0, v2, vcc
	flat_load_dwordx2 v[5:6], v[1:2]
	s_mov_b32 s6, s13
	s_ashr_i32 s7, s13, 31
	s_lshl_b64 s[6:7], s[6:7], 3
	v_mov_b32_e32 v4, s7
	v_add_co_u32_e32 v3, vcc, s6, v1
	v_addc_co_u32_e32 v4, vcc, v2, v4, vcc
	s_add_i32 s6, s13, s13
	v_add_u32_e32 v9, s6, v0
	v_ashrrev_i32_e32 v10, 31, v9
	v_mov_b32_e32 v11, s5
	v_add_u32_e32 v12, s13, v9
	v_ashrrev_i32_e32 v13, 31, v12
	v_mov_b32_e32 v14, s5
	v_mov_b32_e32 v15, s5
	;; [unrolled: 1-line block ×45, first 2 shown]
	s_cmpk_lg_i32 s9, 0x84
	s_cselect_b64 s[10:11], -1, 0
	s_cmpk_eq_i32 s9, 0x84
	s_waitcnt vmcnt(0) lgkmcnt(0)
	buffer_store_dword v6, off, s[0:3], 0 offset:4
	buffer_store_dword v5, off, s[0:3], 0
	flat_load_dwordx2 v[7:8], v[3:4]
	v_lshlrev_b64 v[5:6], 3, v[9:10]
	s_waitcnt vmcnt(0) lgkmcnt(0)
	buffer_store_dword v8, off, s[0:3], 0 offset:12
	buffer_store_dword v7, off, s[0:3], 0 offset:8
	v_add_co_u32_e32 v5, vcc, s4, v5
	v_addc_co_u32_e32 v6, vcc, v11, v6, vcc
	flat_load_dwordx2 v[10:11], v[5:6]
	v_lshlrev_b64 v[7:8], 3, v[12:13]
	s_waitcnt vmcnt(0) lgkmcnt(0)
	buffer_store_dword v11, off, s[0:3], 0 offset:20
	buffer_store_dword v10, off, s[0:3], 0 offset:16
	v_add_co_u32_e32 v7, vcc, s4, v7
	v_addc_co_u32_e32 v8, vcc, v14, v8, vcc
	flat_load_dwordx2 v[13:14], v[7:8]
	v_add_u32_e32 v11, s13, v12
	v_ashrrev_i32_e32 v12, 31, v11
	v_lshlrev_b64 v[9:10], 3, v[11:12]
	s_waitcnt vmcnt(0) lgkmcnt(0)
	buffer_store_dword v14, off, s[0:3], 0 offset:28
	buffer_store_dword v13, off, s[0:3], 0 offset:24
	v_add_co_u32_e32 v9, vcc, s4, v9
	v_addc_co_u32_e32 v10, vcc, v15, v10, vcc
	flat_load_dwordx2 v[13:14], v[9:10]
	v_add_u32_e32 v15, s13, v11
	v_ashrrev_i32_e32 v16, 31, v15
	v_lshlrev_b64 v[11:12], 3, v[15:16]
	v_add_u32_e32 v18, s13, v15
	v_add_co_u32_e32 v11, vcc, s4, v11
	v_addc_co_u32_e32 v12, vcc, v17, v12, vcc
	v_ashrrev_i32_e32 v19, 31, v18
	s_waitcnt vmcnt(0) lgkmcnt(0)
	buffer_store_dword v14, off, s[0:3], 0 offset:36
	buffer_store_dword v13, off, s[0:3], 0 offset:32
	flat_load_dwordx2 v[16:17], v[11:12]
	v_lshlrev_b64 v[13:14], 3, v[18:19]
	s_waitcnt vmcnt(0) lgkmcnt(0)
	buffer_store_dword v17, off, s[0:3], 0 offset:44
	buffer_store_dword v16, off, s[0:3], 0 offset:40
	v_add_co_u32_e32 v13, vcc, s4, v13
	v_addc_co_u32_e32 v14, vcc, v20, v14, vcc
	flat_load_dwordx2 v[19:20], v[13:14]
	v_add_u32_e32 v17, s13, v18
	v_ashrrev_i32_e32 v18, 31, v17
	v_lshlrev_b64 v[15:16], 3, v[17:18]
	s_waitcnt vmcnt(0) lgkmcnt(0)
	buffer_store_dword v20, off, s[0:3], 0 offset:52
	buffer_store_dword v19, off, s[0:3], 0 offset:48
	v_add_co_u32_e32 v15, vcc, s4, v15
	v_addc_co_u32_e32 v16, vcc, v21, v16, vcc
	flat_load_dwordx2 v[19:20], v[15:16]
	v_add_u32_e32 v21, s13, v17
	v_ashrrev_i32_e32 v22, 31, v21
	v_lshlrev_b64 v[17:18], 3, v[21:22]
	v_add_u32_e32 v24, s13, v21
	v_add_co_u32_e32 v17, vcc, s4, v17
	v_addc_co_u32_e32 v18, vcc, v23, v18, vcc
	v_ashrrev_i32_e32 v25, 31, v24
	s_waitcnt vmcnt(0) lgkmcnt(0)
	buffer_store_dword v20, off, s[0:3], 0 offset:60
	buffer_store_dword v19, off, s[0:3], 0 offset:56
	;; [unrolled: 27-line block ×7, first 2 shown]
	flat_load_dwordx2 v[52:53], v[47:48]
	v_lshlrev_b64 v[49:50], 3, v[54:55]
	s_waitcnt vmcnt(0) lgkmcnt(0)
	buffer_store_dword v53, off, s[0:3], 0 offset:188
	buffer_store_dword v52, off, s[0:3], 0 offset:184
	v_add_co_u32_e32 v49, vcc, s4, v49
	v_addc_co_u32_e32 v50, vcc, v56, v50, vcc
	flat_load_dwordx2 v[55:56], v[49:50]
	v_add_u32_e32 v53, s13, v54
	v_ashrrev_i32_e32 v54, 31, v53
	v_lshlrev_b64 v[51:52], 3, v[53:54]
	s_waitcnt vmcnt(0) lgkmcnt(0)
	buffer_store_dword v56, off, s[0:3], 0 offset:196
	buffer_store_dword v55, off, s[0:3], 0 offset:192
	v_add_co_u32_e32 v51, vcc, s4, v51
	v_addc_co_u32_e32 v52, vcc, v57, v52, vcc
	flat_load_dwordx2 v[55:56], v[51:52]
	v_add_u32_e32 v57, s13, v53
	v_ashrrev_i32_e32 v58, 31, v57
	v_lshlrev_b64 v[53:54], 3, v[57:58]
	v_add_u32_e32 v60, s13, v57
	v_add_co_u32_e32 v53, vcc, s4, v53
	v_addc_co_u32_e32 v54, vcc, v59, v54, vcc
	s_waitcnt vmcnt(0) lgkmcnt(0)
	buffer_store_dword v56, off, s[0:3], 0 offset:204
	buffer_store_dword v55, off, s[0:3], 0 offset:200
	flat_load_dwordx2 v[58:59], v[53:54]
	v_ashrrev_i32_e32 v61, 31, v60
	v_lshlrev_b64 v[55:56], 3, v[60:61]
	s_waitcnt vmcnt(0) lgkmcnt(0)
	buffer_store_dword v59, off, s[0:3], 0 offset:212
	buffer_store_dword v58, off, s[0:3], 0 offset:208
	v_add_co_u32_e32 v55, vcc, s4, v55
	v_addc_co_u32_e32 v56, vcc, v62, v56, vcc
	flat_load_dwordx2 v[61:62], v[55:56]
	v_add_u32_e32 v59, s13, v60
	v_ashrrev_i32_e32 v60, 31, v59
	v_lshlrev_b64 v[57:58], 3, v[59:60]
	s_waitcnt vmcnt(0) lgkmcnt(0)
	buffer_store_dword v62, off, s[0:3], 0 offset:220
	buffer_store_dword v61, off, s[0:3], 0 offset:216
	v_add_co_u32_e32 v57, vcc, s4, v57
	v_addc_co_u32_e32 v58, vcc, v63, v58, vcc
	flat_load_dwordx2 v[61:62], v[57:58]
	v_add_u32_e32 v63, s13, v59
	;; [unrolled: 9-line block ×21, first 2 shown]
	v_ashrrev_i32_e32 v98, 31, v97
	v_lshlrev_b64 v[97:98], 3, v[97:98]
	v_mov_b32_e32 v100, s5
	v_add_co_u32_e32 v97, vcc, s4, v97
	v_addc_co_u32_e32 v98, vcc, v100, v98, vcc
	s_waitcnt vmcnt(0) lgkmcnt(0)
	buffer_store_dword v103, off, s[0:3], 0 offset:380
	buffer_store_dword v102, off, s[0:3], 0 offset:376
	flat_load_dwordx2 v[102:103], v[97:98]
	v_mov_b32_e32 v99, 0
	v_mov_b32_e32 v100, 0xbff00000
	s_waitcnt vmcnt(0) lgkmcnt(0)
	buffer_store_dword v103, off, s[0:3], 0 offset:388
	buffer_store_dword v102, off, s[0:3], 0 offset:384
	s_cbranch_scc1 .LBB112_3
; %bb.2:
	v_mov_b32_e32 v99, 0
	v_lshl_add_u32 v110, v0, 3, v99
	buffer_load_dword v99, v110, s[0:3], 0 offen
	buffer_load_dword v100, v110, s[0:3], 0 offen offset:4
	s_waitcnt vmcnt(0)
	v_div_scale_f64 v[102:103], s[4:5], v[99:100], v[99:100], 1.0
	v_rcp_f64_e32 v[104:105], v[102:103]
	v_fma_f64 v[106:107], -v[102:103], v[104:105], 1.0
	v_fma_f64 v[104:105], v[104:105], v[106:107], v[104:105]
	v_div_scale_f64 v[106:107], vcc, 1.0, v[99:100], 1.0
	v_fma_f64 v[108:109], -v[102:103], v[104:105], 1.0
	v_fma_f64 v[104:105], v[104:105], v[108:109], v[104:105]
	v_mul_f64 v[108:109], v[106:107], v[104:105]
	v_fma_f64 v[102:103], -v[102:103], v[108:109], v[106:107]
	v_div_fmas_f64 v[102:103], v[102:103], v[104:105], v[108:109]
	v_div_fixup_f64 v[99:100], v[102:103], v[99:100], 1.0
	buffer_store_dword v99, v110, s[0:3], 0 offen
	buffer_store_dword v100, v110, s[0:3], 0 offen offset:4
	v_xor_b32_e32 v100, 0x80000000, v100
.LBB112_3:
	s_cmpk_eq_i32 s8, 0x79
	v_add_u32_e32 v102, 0x190, v101
	v_mov_b32_e32 v103, v101
	s_mov_b64 s[4:5], -1
	ds_write_b64 v101, v[99:100]
	s_cbranch_scc1 .LBB112_477
; %bb.4:
	buffer_load_dword v99, off, s[0:3], 0 offset:376
	buffer_load_dword v100, off, s[0:3], 0 offset:380
	s_movk_i32 s12, 0x48
	s_movk_i32 s13, 0x50
	;; [unrolled: 1-line block ×38, first 2 shown]
	v_cmp_eq_u32_e64 s[4:5], 48, v0
	s_waitcnt vmcnt(0)
	ds_write_b64 v102, v[99:100]
	s_waitcnt lgkmcnt(0)
	; wave barrier
	s_and_saveexec_b64 s[6:7], s[4:5]
	s_cbranch_execz .LBB112_10
; %bb.5:
	s_and_b64 vcc, exec, s[10:11]
	s_cbranch_vccz .LBB112_7
; %bb.6:
	buffer_load_dword v99, v103, s[0:3], 0 offen
	buffer_load_dword v100, v103, s[0:3], 0 offen offset:4
	ds_read_b64 v[104:105], v102
	s_waitcnt vmcnt(0) lgkmcnt(0)
	v_mul_f64 v[99:100], v[99:100], v[104:105]
	s_cbranch_execz .LBB112_8
	s_branch .LBB112_9
.LBB112_7:
                                        ; implicit-def: $vgpr99_vgpr100
.LBB112_8:
	ds_read_b64 v[99:100], v102
.LBB112_9:
	v_mov_b32_e32 v104, 0
	ds_read_b64 v[104:105], v104 offset:376
	s_waitcnt lgkmcnt(0)
	v_mul_f64 v[99:100], v[99:100], v[104:105]
	buffer_store_dword v100, off, s[0:3], 0 offset:380
	buffer_store_dword v99, off, s[0:3], 0 offset:376
.LBB112_10:
	s_or_b64 exec, exec, s[6:7]
	buffer_load_dword v99, off, s[0:3], 0 offset:368
	buffer_load_dword v100, off, s[0:3], 0 offset:372
	s_or_b32 s14, 0, 8
	s_mov_b32 s15, 16
	s_mov_b32 s16, 24
	;; [unrolled: 1-line block ×9, first 2 shown]
	v_cmp_lt_u32_e64 s[6:7], 46, v0
	s_waitcnt vmcnt(0)
	ds_write_b64 v102, v[99:100]
	s_waitcnt lgkmcnt(0)
	; wave barrier
	s_and_saveexec_b64 s[8:9], s[6:7]
	s_cbranch_execz .LBB112_16
; %bb.11:
	s_andn2_b64 vcc, exec, s[10:11]
	s_cbranch_vccnz .LBB112_13
; %bb.12:
	buffer_load_dword v99, v103, s[0:3], 0 offen
	buffer_load_dword v100, v103, s[0:3], 0 offen offset:4
	ds_read_b64 v[104:105], v102
	s_waitcnt vmcnt(0) lgkmcnt(0)
	v_mul_f64 v[99:100], v[99:100], v[104:105]
	s_cbranch_execz .LBB112_14
	s_branch .LBB112_15
.LBB112_13:
                                        ; implicit-def: $vgpr99_vgpr100
.LBB112_14:
	ds_read_b64 v[99:100], v102
.LBB112_15:
	buffer_load_dword v108, off, s[0:3], 0 offset:376
	buffer_load_dword v109, off, s[0:3], 0 offset:380
	v_mov_b32_e32 v104, 0
	ds_read2_b64 v[104:107], v104 offset0:46 offset1:97
	s_waitcnt vmcnt(0) lgkmcnt(0)
	v_fma_f64 v[106:107], v[108:109], v[106:107], v[99:100]
	v_cndmask_b32_e64 v100, v100, v107, s[4:5]
	v_cndmask_b32_e64 v99, v99, v106, s[4:5]
	v_mul_f64 v[99:100], v[99:100], v[104:105]
	buffer_store_dword v100, off, s[0:3], 0 offset:372
	buffer_store_dword v99, off, s[0:3], 0 offset:368
.LBB112_16:
	s_or_b64 exec, exec, s[8:9]
	buffer_load_dword v99, off, s[0:3], 0 offset:360
	buffer_load_dword v100, off, s[0:3], 0 offset:364
	v_cmp_lt_u32_e64 s[4:5], 45, v0
	s_waitcnt vmcnt(0)
	ds_write_b64 v102, v[99:100]
	s_waitcnt lgkmcnt(0)
	; wave barrier
	s_and_saveexec_b64 s[8:9], s[4:5]
	s_cbranch_execz .LBB112_26
; %bb.17:
	s_andn2_b64 vcc, exec, s[10:11]
	s_cbranch_vccnz .LBB112_19
; %bb.18:
	buffer_load_dword v99, v103, s[0:3], 0 offen
	buffer_load_dword v100, v103, s[0:3], 0 offen offset:4
	ds_read_b64 v[104:105], v102
	s_waitcnt vmcnt(0) lgkmcnt(0)
	v_mul_f64 v[99:100], v[99:100], v[104:105]
	s_cbranch_execz .LBB112_20
	s_branch .LBB112_21
.LBB112_19:
                                        ; implicit-def: $vgpr99_vgpr100
.LBB112_20:
	ds_read_b64 v[99:100], v102
.LBB112_21:
	s_and_saveexec_b64 s[12:13], s[6:7]
	s_cbranch_execz .LBB112_25
; %bb.22:
	v_subrev_u32_e32 v104, 46, v0
	s_movk_i32 s61, 0x300
	s_mov_b64 s[6:7], 0
.LBB112_23:                             ; =>This Inner Loop Header: Depth=1
	v_mov_b32_e32 v106, s60
	buffer_load_dword v105, v106, s[0:3], 0 offen
	s_nop 0
	buffer_load_dword v106, v106, s[0:3], 0 offen offset:4
	v_mov_b32_e32 v107, s61
	ds_read_b64 v[107:108], v107
	v_add_u32_e32 v104, -1, v104
	s_add_i32 s61, s61, 8
	s_add_i32 s60, s60, 8
	v_cmp_eq_u32_e32 vcc, 0, v104
	s_or_b64 s[6:7], vcc, s[6:7]
	s_waitcnt vmcnt(0) lgkmcnt(0)
	v_fma_f64 v[99:100], v[105:106], v[107:108], v[99:100]
	s_andn2_b64 exec, exec, s[6:7]
	s_cbranch_execnz .LBB112_23
; %bb.24:
	s_or_b64 exec, exec, s[6:7]
.LBB112_25:
	s_or_b64 exec, exec, s[12:13]
	v_mov_b32_e32 v104, 0
	ds_read_b64 v[104:105], v104 offset:360
	s_waitcnt lgkmcnt(0)
	v_mul_f64 v[99:100], v[99:100], v[104:105]
	buffer_store_dword v100, off, s[0:3], 0 offset:364
	buffer_store_dword v99, off, s[0:3], 0 offset:360
.LBB112_26:
	s_or_b64 exec, exec, s[8:9]
	buffer_load_dword v99, off, s[0:3], 0 offset:352
	buffer_load_dword v100, off, s[0:3], 0 offset:356
	v_cmp_lt_u32_e64 s[6:7], 44, v0
	s_waitcnt vmcnt(0)
	ds_write_b64 v102, v[99:100]
	s_waitcnt lgkmcnt(0)
	; wave barrier
	s_and_saveexec_b64 s[8:9], s[6:7]
	s_cbranch_execz .LBB112_36
; %bb.27:
	s_andn2_b64 vcc, exec, s[10:11]
	s_cbranch_vccnz .LBB112_29
; %bb.28:
	buffer_load_dword v99, v103, s[0:3], 0 offen
	buffer_load_dword v100, v103, s[0:3], 0 offen offset:4
	ds_read_b64 v[104:105], v102
	s_waitcnt vmcnt(0) lgkmcnt(0)
	v_mul_f64 v[99:100], v[99:100], v[104:105]
	s_cbranch_execz .LBB112_30
	s_branch .LBB112_31
.LBB112_29:
                                        ; implicit-def: $vgpr99_vgpr100
.LBB112_30:
	ds_read_b64 v[99:100], v102
.LBB112_31:
	s_and_saveexec_b64 s[12:13], s[4:5]
	s_cbranch_execz .LBB112_35
; %bb.32:
	v_subrev_u32_e32 v104, 45, v0
	s_movk_i32 s60, 0x2f8
	s_mov_b64 s[4:5], 0
.LBB112_33:                             ; =>This Inner Loop Header: Depth=1
	v_mov_b32_e32 v106, s59
	buffer_load_dword v105, v106, s[0:3], 0 offen
	s_nop 0
	buffer_load_dword v106, v106, s[0:3], 0 offen offset:4
	v_mov_b32_e32 v107, s60
	ds_read_b64 v[107:108], v107
	v_add_u32_e32 v104, -1, v104
	s_add_i32 s60, s60, 8
	s_add_i32 s59, s59, 8
	v_cmp_eq_u32_e32 vcc, 0, v104
	s_or_b64 s[4:5], vcc, s[4:5]
	s_waitcnt vmcnt(0) lgkmcnt(0)
	v_fma_f64 v[99:100], v[105:106], v[107:108], v[99:100]
	s_andn2_b64 exec, exec, s[4:5]
	s_cbranch_execnz .LBB112_33
; %bb.34:
	s_or_b64 exec, exec, s[4:5]
.LBB112_35:
	s_or_b64 exec, exec, s[12:13]
	v_mov_b32_e32 v104, 0
	ds_read_b64 v[104:105], v104 offset:352
	s_waitcnt lgkmcnt(0)
	v_mul_f64 v[99:100], v[99:100], v[104:105]
	buffer_store_dword v100, off, s[0:3], 0 offset:356
	buffer_store_dword v99, off, s[0:3], 0 offset:352
.LBB112_36:
	;; [unrolled: 59-line block ×8, first 2 shown]
	s_or_b64 exec, exec, s[8:9]
	buffer_load_dword v99, off, s[0:3], 0 offset:296
	buffer_load_dword v100, off, s[0:3], 0 offset:300
	v_cmp_lt_u32_e64 s[4:5], 37, v0
	s_waitcnt vmcnt(0)
	ds_write_b64 v102, v[99:100]
	s_waitcnt lgkmcnt(0)
	; wave barrier
	s_and_saveexec_b64 s[8:9], s[4:5]
	s_cbranch_execz .LBB112_106
; %bb.97:
	s_andn2_b64 vcc, exec, s[10:11]
	s_cbranch_vccnz .LBB112_99
; %bb.98:
	buffer_load_dword v99, v103, s[0:3], 0 offen
	buffer_load_dword v100, v103, s[0:3], 0 offen offset:4
	ds_read_b64 v[104:105], v102
	s_waitcnt vmcnt(0) lgkmcnt(0)
	v_mul_f64 v[99:100], v[99:100], v[104:105]
	s_cbranch_execz .LBB112_100
	s_branch .LBB112_101
.LBB112_99:
                                        ; implicit-def: $vgpr99_vgpr100
.LBB112_100:
	ds_read_b64 v[99:100], v102
.LBB112_101:
	s_and_saveexec_b64 s[12:13], s[6:7]
	s_cbranch_execz .LBB112_105
; %bb.102:
	v_subrev_u32_e32 v104, 38, v0
	s_movk_i32 s53, 0x2c0
	s_mov_b64 s[6:7], 0
.LBB112_103:                            ; =>This Inner Loop Header: Depth=1
	v_mov_b32_e32 v106, s52
	buffer_load_dword v105, v106, s[0:3], 0 offen
	s_nop 0
	buffer_load_dword v106, v106, s[0:3], 0 offen offset:4
	v_mov_b32_e32 v107, s53
	ds_read_b64 v[107:108], v107
	v_add_u32_e32 v104, -1, v104
	s_add_i32 s53, s53, 8
	s_add_i32 s52, s52, 8
	v_cmp_eq_u32_e32 vcc, 0, v104
	s_or_b64 s[6:7], vcc, s[6:7]
	s_waitcnt vmcnt(0) lgkmcnt(0)
	v_fma_f64 v[99:100], v[105:106], v[107:108], v[99:100]
	s_andn2_b64 exec, exec, s[6:7]
	s_cbranch_execnz .LBB112_103
; %bb.104:
	s_or_b64 exec, exec, s[6:7]
.LBB112_105:
	s_or_b64 exec, exec, s[12:13]
	v_mov_b32_e32 v104, 0
	ds_read_b64 v[104:105], v104 offset:296
	s_waitcnt lgkmcnt(0)
	v_mul_f64 v[99:100], v[99:100], v[104:105]
	buffer_store_dword v100, off, s[0:3], 0 offset:300
	buffer_store_dword v99, off, s[0:3], 0 offset:296
.LBB112_106:
	s_or_b64 exec, exec, s[8:9]
	buffer_load_dword v99, off, s[0:3], 0 offset:288
	buffer_load_dword v100, off, s[0:3], 0 offset:292
	v_cmp_lt_u32_e64 s[6:7], 36, v0
	s_waitcnt vmcnt(0)
	ds_write_b64 v102, v[99:100]
	s_waitcnt lgkmcnt(0)
	; wave barrier
	s_and_saveexec_b64 s[8:9], s[6:7]
	s_cbranch_execz .LBB112_116
; %bb.107:
	s_andn2_b64 vcc, exec, s[10:11]
	s_cbranch_vccnz .LBB112_109
; %bb.108:
	buffer_load_dword v99, v103, s[0:3], 0 offen
	buffer_load_dword v100, v103, s[0:3], 0 offen offset:4
	ds_read_b64 v[104:105], v102
	s_waitcnt vmcnt(0) lgkmcnt(0)
	v_mul_f64 v[99:100], v[99:100], v[104:105]
	s_cbranch_execz .LBB112_110
	s_branch .LBB112_111
.LBB112_109:
                                        ; implicit-def: $vgpr99_vgpr100
.LBB112_110:
	ds_read_b64 v[99:100], v102
.LBB112_111:
	s_and_saveexec_b64 s[12:13], s[4:5]
	s_cbranch_execz .LBB112_115
; %bb.112:
	v_subrev_u32_e32 v104, 37, v0
	s_movk_i32 s52, 0x2b8
	s_mov_b64 s[4:5], 0
.LBB112_113:                            ; =>This Inner Loop Header: Depth=1
	v_mov_b32_e32 v106, s51
	buffer_load_dword v105, v106, s[0:3], 0 offen
	s_nop 0
	buffer_load_dword v106, v106, s[0:3], 0 offen offset:4
	v_mov_b32_e32 v107, s52
	ds_read_b64 v[107:108], v107
	v_add_u32_e32 v104, -1, v104
	s_add_i32 s52, s52, 8
	s_add_i32 s51, s51, 8
	v_cmp_eq_u32_e32 vcc, 0, v104
	s_or_b64 s[4:5], vcc, s[4:5]
	s_waitcnt vmcnt(0) lgkmcnt(0)
	v_fma_f64 v[99:100], v[105:106], v[107:108], v[99:100]
	s_andn2_b64 exec, exec, s[4:5]
	s_cbranch_execnz .LBB112_113
; %bb.114:
	s_or_b64 exec, exec, s[4:5]
.LBB112_115:
	s_or_b64 exec, exec, s[12:13]
	v_mov_b32_e32 v104, 0
	ds_read_b64 v[104:105], v104 offset:288
	s_waitcnt lgkmcnt(0)
	v_mul_f64 v[99:100], v[99:100], v[104:105]
	buffer_store_dword v100, off, s[0:3], 0 offset:292
	buffer_store_dword v99, off, s[0:3], 0 offset:288
.LBB112_116:
	s_or_b64 exec, exec, s[8:9]
	buffer_load_dword v99, off, s[0:3], 0 offset:280
	buffer_load_dword v100, off, s[0:3], 0 offset:284
	v_cmp_lt_u32_e64 s[4:5], 35, v0
	s_waitcnt vmcnt(0)
	ds_write_b64 v102, v[99:100]
	s_waitcnt lgkmcnt(0)
	; wave barrier
	s_and_saveexec_b64 s[8:9], s[4:5]
	s_cbranch_execz .LBB112_126
; %bb.117:
	s_andn2_b64 vcc, exec, s[10:11]
	s_cbranch_vccnz .LBB112_119
; %bb.118:
	buffer_load_dword v99, v103, s[0:3], 0 offen
	buffer_load_dword v100, v103, s[0:3], 0 offen offset:4
	ds_read_b64 v[104:105], v102
	s_waitcnt vmcnt(0) lgkmcnt(0)
	v_mul_f64 v[99:100], v[99:100], v[104:105]
	s_cbranch_execz .LBB112_120
	s_branch .LBB112_121
.LBB112_119:
                                        ; implicit-def: $vgpr99_vgpr100
.LBB112_120:
	ds_read_b64 v[99:100], v102
.LBB112_121:
	s_and_saveexec_b64 s[12:13], s[6:7]
	s_cbranch_execz .LBB112_125
; %bb.122:
	v_subrev_u32_e32 v104, 36, v0
	s_movk_i32 s51, 0x2b0
	s_mov_b64 s[6:7], 0
.LBB112_123:                            ; =>This Inner Loop Header: Depth=1
	v_mov_b32_e32 v107, s50
	buffer_load_dword v105, v107, s[0:3], 0 offen
	buffer_load_dword v106, v107, s[0:3], 0 offen offset:4
	v_mov_b32_e32 v107, s51
	ds_read_b64 v[107:108], v107
	v_add_u32_e32 v104, -1, v104
	s_add_i32 s51, s51, 8
	s_add_i32 s50, s50, 8
	v_cmp_eq_u32_e32 vcc, 0, v104
	s_or_b64 s[6:7], vcc, s[6:7]
	s_waitcnt vmcnt(0) lgkmcnt(0)
	v_fma_f64 v[99:100], v[105:106], v[107:108], v[99:100]
	s_andn2_b64 exec, exec, s[6:7]
	s_cbranch_execnz .LBB112_123
; %bb.124:
	s_or_b64 exec, exec, s[6:7]
.LBB112_125:
	s_or_b64 exec, exec, s[12:13]
	v_mov_b32_e32 v104, 0
	ds_read_b64 v[104:105], v104 offset:280
	s_waitcnt lgkmcnt(0)
	v_mul_f64 v[99:100], v[99:100], v[104:105]
	buffer_store_dword v100, off, s[0:3], 0 offset:284
	buffer_store_dword v99, off, s[0:3], 0 offset:280
.LBB112_126:
	s_or_b64 exec, exec, s[8:9]
	buffer_load_dword v99, off, s[0:3], 0 offset:272
	buffer_load_dword v100, off, s[0:3], 0 offset:276
	v_cmp_lt_u32_e64 s[6:7], 34, v0
	s_waitcnt vmcnt(0)
	ds_write_b64 v102, v[99:100]
	s_waitcnt lgkmcnt(0)
	; wave barrier
	s_and_saveexec_b64 s[8:9], s[6:7]
	s_cbranch_execz .LBB112_136
; %bb.127:
	s_andn2_b64 vcc, exec, s[10:11]
	s_cbranch_vccnz .LBB112_129
; %bb.128:
	buffer_load_dword v99, v103, s[0:3], 0 offen
	buffer_load_dword v100, v103, s[0:3], 0 offen offset:4
	ds_read_b64 v[104:105], v102
	s_waitcnt vmcnt(0) lgkmcnt(0)
	v_mul_f64 v[99:100], v[99:100], v[104:105]
	s_cbranch_execz .LBB112_130
	s_branch .LBB112_131
.LBB112_129:
                                        ; implicit-def: $vgpr99_vgpr100
.LBB112_130:
	ds_read_b64 v[99:100], v102
.LBB112_131:
	s_and_saveexec_b64 s[12:13], s[4:5]
	s_cbranch_execz .LBB112_135
; %bb.132:
	v_subrev_u32_e32 v104, 35, v0
	s_movk_i32 s50, 0x2a8
	s_mov_b64 s[4:5], 0
.LBB112_133:                            ; =>This Inner Loop Header: Depth=1
	v_mov_b32_e32 v107, s49
	buffer_load_dword v105, v107, s[0:3], 0 offen
	buffer_load_dword v106, v107, s[0:3], 0 offen offset:4
	v_mov_b32_e32 v107, s50
	ds_read_b64 v[107:108], v107
	v_add_u32_e32 v104, -1, v104
	s_add_i32 s50, s50, 8
	s_add_i32 s49, s49, 8
	v_cmp_eq_u32_e32 vcc, 0, v104
	s_or_b64 s[4:5], vcc, s[4:5]
	s_waitcnt vmcnt(0) lgkmcnt(0)
	v_fma_f64 v[99:100], v[105:106], v[107:108], v[99:100]
	s_andn2_b64 exec, exec, s[4:5]
	s_cbranch_execnz .LBB112_133
; %bb.134:
	s_or_b64 exec, exec, s[4:5]
.LBB112_135:
	s_or_b64 exec, exec, s[12:13]
	v_mov_b32_e32 v104, 0
	ds_read_b64 v[104:105], v104 offset:272
	s_waitcnt lgkmcnt(0)
	v_mul_f64 v[99:100], v[99:100], v[104:105]
	buffer_store_dword v100, off, s[0:3], 0 offset:276
	buffer_store_dword v99, off, s[0:3], 0 offset:272
.LBB112_136:
	;; [unrolled: 58-line block ×20, first 2 shown]
	s_or_b64 exec, exec, s[8:9]
	buffer_load_dword v99, off, s[0:3], 0 offset:120
	buffer_load_dword v100, off, s[0:3], 0 offset:124
	v_cmp_lt_u32_e64 s[4:5], 15, v0
	s_waitcnt vmcnt(0)
	ds_write_b64 v102, v[99:100]
	s_waitcnt lgkmcnt(0)
	; wave barrier
	s_and_saveexec_b64 s[8:9], s[4:5]
	s_cbranch_execz .LBB112_326
; %bb.317:
	s_andn2_b64 vcc, exec, s[10:11]
	s_cbranch_vccnz .LBB112_319
; %bb.318:
	buffer_load_dword v99, v103, s[0:3], 0 offen
	buffer_load_dword v100, v103, s[0:3], 0 offen offset:4
	ds_read_b64 v[104:105], v102
	s_waitcnt vmcnt(0) lgkmcnt(0)
	v_mul_f64 v[99:100], v[99:100], v[104:105]
	s_cbranch_execz .LBB112_320
	s_branch .LBB112_321
.LBB112_319:
                                        ; implicit-def: $vgpr99_vgpr100
.LBB112_320:
	ds_read_b64 v[99:100], v102
.LBB112_321:
	s_and_saveexec_b64 s[12:13], s[6:7]
	s_cbranch_execz .LBB112_325
; %bb.322:
	v_add_u32_e32 v104, -16, v0
	s_movk_i32 s30, 0x210
	s_mov_b64 s[6:7], 0
.LBB112_323:                            ; =>This Inner Loop Header: Depth=1
	v_mov_b32_e32 v107, s29
	buffer_load_dword v105, v107, s[0:3], 0 offen
	buffer_load_dword v106, v107, s[0:3], 0 offen offset:4
	v_mov_b32_e32 v107, s30
	ds_read_b64 v[107:108], v107
	v_add_u32_e32 v104, -1, v104
	s_add_i32 s30, s30, 8
	s_add_i32 s29, s29, 8
	v_cmp_eq_u32_e32 vcc, 0, v104
	s_or_b64 s[6:7], vcc, s[6:7]
	s_waitcnt vmcnt(0) lgkmcnt(0)
	v_fma_f64 v[99:100], v[105:106], v[107:108], v[99:100]
	s_andn2_b64 exec, exec, s[6:7]
	s_cbranch_execnz .LBB112_323
; %bb.324:
	s_or_b64 exec, exec, s[6:7]
.LBB112_325:
	s_or_b64 exec, exec, s[12:13]
	v_mov_b32_e32 v104, 0
	ds_read_b64 v[104:105], v104 offset:120
	s_waitcnt lgkmcnt(0)
	v_mul_f64 v[99:100], v[99:100], v[104:105]
	buffer_store_dword v100, off, s[0:3], 0 offset:124
	buffer_store_dword v99, off, s[0:3], 0 offset:120
.LBB112_326:
	s_or_b64 exec, exec, s[8:9]
	buffer_load_dword v99, off, s[0:3], 0 offset:112
	buffer_load_dword v100, off, s[0:3], 0 offset:116
	v_cmp_lt_u32_e64 s[6:7], 14, v0
	s_waitcnt vmcnt(0)
	ds_write_b64 v102, v[99:100]
	s_waitcnt lgkmcnt(0)
	; wave barrier
	s_and_saveexec_b64 s[8:9], s[6:7]
	s_cbranch_execz .LBB112_336
; %bb.327:
	s_andn2_b64 vcc, exec, s[10:11]
	s_cbranch_vccnz .LBB112_329
; %bb.328:
	buffer_load_dword v99, v103, s[0:3], 0 offen
	buffer_load_dword v100, v103, s[0:3], 0 offen offset:4
	ds_read_b64 v[104:105], v102
	s_waitcnt vmcnt(0) lgkmcnt(0)
	v_mul_f64 v[99:100], v[99:100], v[104:105]
	s_cbranch_execz .LBB112_330
	s_branch .LBB112_331
.LBB112_329:
                                        ; implicit-def: $vgpr99_vgpr100
.LBB112_330:
	ds_read_b64 v[99:100], v102
.LBB112_331:
	s_and_saveexec_b64 s[12:13], s[4:5]
	s_cbranch_execz .LBB112_335
; %bb.332:
	v_add_u32_e32 v104, -15, v0
	s_movk_i32 s29, 0x208
	s_mov_b64 s[4:5], 0
.LBB112_333:                            ; =>This Inner Loop Header: Depth=1
	v_mov_b32_e32 v107, s28
	buffer_load_dword v105, v107, s[0:3], 0 offen
	buffer_load_dword v106, v107, s[0:3], 0 offen offset:4
	v_mov_b32_e32 v107, s29
	ds_read_b64 v[107:108], v107
	v_add_u32_e32 v104, -1, v104
	s_add_i32 s29, s29, 8
	s_add_i32 s28, s28, 8
	v_cmp_eq_u32_e32 vcc, 0, v104
	s_or_b64 s[4:5], vcc, s[4:5]
	s_waitcnt vmcnt(0) lgkmcnt(0)
	v_fma_f64 v[99:100], v[105:106], v[107:108], v[99:100]
	s_andn2_b64 exec, exec, s[4:5]
	s_cbranch_execnz .LBB112_333
; %bb.334:
	s_or_b64 exec, exec, s[4:5]
.LBB112_335:
	s_or_b64 exec, exec, s[12:13]
	v_mov_b32_e32 v104, 0
	ds_read_b64 v[104:105], v104 offset:112
	s_waitcnt lgkmcnt(0)
	v_mul_f64 v[99:100], v[99:100], v[104:105]
	buffer_store_dword v100, off, s[0:3], 0 offset:116
	buffer_store_dword v99, off, s[0:3], 0 offset:112
.LBB112_336:
	;; [unrolled: 58-line block ×15, first 2 shown]
	s_or_b64 exec, exec, s[8:9]
	buffer_load_dword v99, off, s[0:3], 0
	buffer_load_dword v100, off, s[0:3], 0 offset:4
	v_cmp_ne_u32_e32 vcc, 0, v0
	s_waitcnt vmcnt(0)
	ds_write_b64 v102, v[99:100]
	s_waitcnt lgkmcnt(0)
	; wave barrier
	s_and_saveexec_b64 s[6:7], vcc
	s_cbranch_execz .LBB112_476
; %bb.467:
	s_andn2_b64 vcc, exec, s[10:11]
	s_cbranch_vccnz .LBB112_469
; %bb.468:
	buffer_load_dword v99, v103, s[0:3], 0 offen
	buffer_load_dword v100, v103, s[0:3], 0 offen offset:4
	ds_read_b64 v[104:105], v102
	s_waitcnt vmcnt(0) lgkmcnt(0)
	v_mul_f64 v[99:100], v[99:100], v[104:105]
	s_cbranch_execz .LBB112_470
	s_branch .LBB112_471
.LBB112_469:
                                        ; implicit-def: $vgpr99_vgpr100
.LBB112_470:
	ds_read_b64 v[99:100], v102
.LBB112_471:
	s_and_saveexec_b64 s[8:9], s[4:5]
	s_cbranch_execz .LBB112_475
; %bb.472:
	v_add_u32_e32 v104, -1, v0
	s_movk_i32 s12, 0x198
	s_mov_b64 s[4:5], 0
.LBB112_473:                            ; =>This Inner Loop Header: Depth=1
	v_mov_b32_e32 v107, s14
	buffer_load_dword v105, v107, s[0:3], 0 offen
	buffer_load_dword v106, v107, s[0:3], 0 offen offset:4
	v_mov_b32_e32 v107, s12
	ds_read_b64 v[107:108], v107
	v_add_u32_e32 v104, -1, v104
	s_add_i32 s12, s12, 8
	s_add_i32 s14, s14, 8
	v_cmp_eq_u32_e32 vcc, 0, v104
	s_or_b64 s[4:5], vcc, s[4:5]
	s_waitcnt vmcnt(0) lgkmcnt(0)
	v_fma_f64 v[99:100], v[105:106], v[107:108], v[99:100]
	s_andn2_b64 exec, exec, s[4:5]
	s_cbranch_execnz .LBB112_473
; %bb.474:
	s_or_b64 exec, exec, s[4:5]
.LBB112_475:
	s_or_b64 exec, exec, s[8:9]
	v_mov_b32_e32 v104, 0
	ds_read_b64 v[104:105], v104
	s_waitcnt lgkmcnt(0)
	v_mul_f64 v[99:100], v[99:100], v[104:105]
	buffer_store_dword v100, off, s[0:3], 0 offset:4
	buffer_store_dword v99, off, s[0:3], 0
.LBB112_476:
	s_or_b64 exec, exec, s[6:7]
	s_mov_b64 s[4:5], 0
.LBB112_477:
	s_and_b64 vcc, exec, s[4:5]
	s_cbranch_vccz .LBB112_949
; %bb.478:
	buffer_load_dword v99, off, s[0:3], 0 offset:8
	buffer_load_dword v100, off, s[0:3], 0 offset:12
	v_cmp_eq_u32_e64 s[6:7], 0, v0
	s_waitcnt vmcnt(0)
	ds_write_b64 v102, v[99:100]
	s_waitcnt lgkmcnt(0)
	; wave barrier
	s_and_saveexec_b64 s[4:5], s[6:7]
	s_cbranch_execz .LBB112_484
; %bb.479:
	s_and_b64 vcc, exec, s[10:11]
	s_cbranch_vccz .LBB112_481
; %bb.480:
	buffer_load_dword v99, v103, s[0:3], 0 offen
	buffer_load_dword v100, v103, s[0:3], 0 offen offset:4
	ds_read_b64 v[104:105], v102
	s_waitcnt vmcnt(0) lgkmcnt(0)
	v_mul_f64 v[99:100], v[99:100], v[104:105]
	s_cbranch_execz .LBB112_482
	s_branch .LBB112_483
.LBB112_481:
                                        ; implicit-def: $vgpr99_vgpr100
.LBB112_482:
	ds_read_b64 v[99:100], v102
.LBB112_483:
	v_mov_b32_e32 v104, 0
	ds_read_b64 v[104:105], v104 offset:8
	s_waitcnt lgkmcnt(0)
	v_mul_f64 v[99:100], v[99:100], v[104:105]
	buffer_store_dword v100, off, s[0:3], 0 offset:12
	buffer_store_dword v99, off, s[0:3], 0 offset:8
.LBB112_484:
	s_or_b64 exec, exec, s[4:5]
	buffer_load_dword v99, off, s[0:3], 0 offset:16
	buffer_load_dword v100, off, s[0:3], 0 offset:20
	v_cndmask_b32_e64 v104, 0, 1, s[10:11]
	v_cmp_gt_u32_e32 vcc, 2, v0
	v_cmp_ne_u32_e64 s[4:5], 1, v104
	s_waitcnt vmcnt(0)
	ds_write_b64 v102, v[99:100]
	s_waitcnt lgkmcnt(0)
	; wave barrier
	s_and_saveexec_b64 s[8:9], vcc
	s_cbranch_execz .LBB112_490
; %bb.485:
	s_and_b64 vcc, exec, s[4:5]
	s_cbranch_vccnz .LBB112_487
; %bb.486:
	buffer_load_dword v99, v103, s[0:3], 0 offen
	buffer_load_dword v100, v103, s[0:3], 0 offen offset:4
	ds_read_b64 v[104:105], v102
	s_waitcnt vmcnt(0) lgkmcnt(0)
	v_mul_f64 v[99:100], v[99:100], v[104:105]
	s_cbranch_execz .LBB112_488
	s_branch .LBB112_489
.LBB112_487:
                                        ; implicit-def: $vgpr99_vgpr100
.LBB112_488:
	ds_read_b64 v[99:100], v102
.LBB112_489:
	buffer_load_dword v108, off, s[0:3], 0 offset:8
	buffer_load_dword v109, off, s[0:3], 0 offset:12
	v_mov_b32_e32 v104, 0
	ds_read2_b64 v[104:107], v104 offset0:2 offset1:51
	s_waitcnt vmcnt(0) lgkmcnt(0)
	v_fma_f64 v[106:107], v[108:109], v[106:107], v[99:100]
	v_cndmask_b32_e64 v100, v100, v107, s[6:7]
	v_cndmask_b32_e64 v99, v99, v106, s[6:7]
	v_mul_f64 v[99:100], v[99:100], v[104:105]
	buffer_store_dword v100, off, s[0:3], 0 offset:20
	buffer_store_dword v99, off, s[0:3], 0 offset:16
.LBB112_490:
	s_or_b64 exec, exec, s[8:9]
	buffer_load_dword v99, off, s[0:3], 0 offset:24
	buffer_load_dword v100, off, s[0:3], 0 offset:28
	v_cmp_gt_u32_e32 vcc, 3, v0
	s_waitcnt vmcnt(0)
	ds_write_b64 v102, v[99:100]
	s_waitcnt lgkmcnt(0)
	; wave barrier
	s_and_saveexec_b64 s[8:9], vcc
	s_cbranch_execz .LBB112_498
; %bb.491:
	s_and_b64 vcc, exec, s[4:5]
	s_cbranch_vccnz .LBB112_493
; %bb.492:
	buffer_load_dword v99, v103, s[0:3], 0 offen
	buffer_load_dword v100, v103, s[0:3], 0 offen offset:4
	ds_read_b64 v[104:105], v102
	s_waitcnt vmcnt(0) lgkmcnt(0)
	v_mul_f64 v[99:100], v[99:100], v[104:105]
	s_cbranch_execz .LBB112_494
	s_branch .LBB112_495
.LBB112_493:
                                        ; implicit-def: $vgpr99_vgpr100
.LBB112_494:
	ds_read_b64 v[99:100], v102
.LBB112_495:
	v_cmp_ne_u32_e32 vcc, 2, v0
	s_and_saveexec_b64 s[10:11], vcc
	s_cbranch_execz .LBB112_497
; %bb.496:
	buffer_load_dword v104, v103, s[0:3], 0 offen offset:8
	buffer_load_dword v105, v103, s[0:3], 0 offen offset:12
	buffer_load_dword v106, off, s[0:3], 0 offset:16
	buffer_load_dword v107, off, s[0:3], 0 offset:20
	ds_read_b64 v[108:109], v102 offset:8
	v_mov_b32_e32 v110, 0
	ds_read_b64 v[110:111], v110 offset:416
	s_waitcnt vmcnt(2) lgkmcnt(1)
	v_fma_f64 v[99:100], v[104:105], v[108:109], v[99:100]
	s_waitcnt vmcnt(0) lgkmcnt(0)
	v_fma_f64 v[104:105], v[106:107], v[110:111], v[99:100]
	v_cndmask_b32_e64 v100, v100, v105, s[6:7]
	v_cndmask_b32_e64 v99, v99, v104, s[6:7]
.LBB112_497:
	s_or_b64 exec, exec, s[10:11]
	v_mov_b32_e32 v104, 0
	ds_read_b64 v[104:105], v104 offset:24
	s_waitcnt lgkmcnt(0)
	v_mul_f64 v[99:100], v[99:100], v[104:105]
	buffer_store_dword v100, off, s[0:3], 0 offset:28
	buffer_store_dword v99, off, s[0:3], 0 offset:24
.LBB112_498:
	s_or_b64 exec, exec, s[8:9]
	buffer_load_dword v99, off, s[0:3], 0 offset:32
	buffer_load_dword v100, off, s[0:3], 0 offset:36
	v_cmp_gt_u32_e32 vcc, 4, v0
	s_waitcnt vmcnt(0)
	ds_write_b64 v102, v[99:100]
	s_waitcnt lgkmcnt(0)
	; wave barrier
	s_and_saveexec_b64 s[6:7], vcc
	s_cbranch_execz .LBB112_508
; %bb.499:
	s_and_b64 vcc, exec, s[4:5]
	s_cbranch_vccnz .LBB112_501
; %bb.500:
	buffer_load_dword v99, v103, s[0:3], 0 offen
	buffer_load_dword v100, v103, s[0:3], 0 offen offset:4
	ds_read_b64 v[104:105], v102
	s_waitcnt vmcnt(0) lgkmcnt(0)
	v_mul_f64 v[99:100], v[99:100], v[104:105]
	s_cbranch_execz .LBB112_502
	s_branch .LBB112_503
.LBB112_501:
                                        ; implicit-def: $vgpr99_vgpr100
.LBB112_502:
	ds_read_b64 v[99:100], v102
.LBB112_503:
	v_cmp_ne_u32_e32 vcc, 3, v0
	s_and_saveexec_b64 s[8:9], vcc
	s_cbranch_execz .LBB112_507
; %bb.504:
	s_mov_b32 s10, 0
	v_add_u32_e32 v104, 0x198, v101
	v_add3_u32 v105, v101, s10, 8
	s_mov_b64 s[10:11], 0
	v_mov_b32_e32 v106, v0
.LBB112_505:                            ; =>This Inner Loop Header: Depth=1
	buffer_load_dword v107, v105, s[0:3], 0 offen
	buffer_load_dword v108, v105, s[0:3], 0 offen offset:4
	ds_read_b64 v[109:110], v104
	v_add_u32_e32 v106, 1, v106
	v_cmp_lt_u32_e32 vcc, 2, v106
	v_add_u32_e32 v104, 8, v104
	s_or_b64 s[10:11], vcc, s[10:11]
	v_add_u32_e32 v105, 8, v105
	s_waitcnt vmcnt(0) lgkmcnt(0)
	v_fma_f64 v[99:100], v[107:108], v[109:110], v[99:100]
	s_andn2_b64 exec, exec, s[10:11]
	s_cbranch_execnz .LBB112_505
; %bb.506:
	s_or_b64 exec, exec, s[10:11]
.LBB112_507:
	s_or_b64 exec, exec, s[8:9]
	v_mov_b32_e32 v104, 0
	ds_read_b64 v[104:105], v104 offset:32
	s_waitcnt lgkmcnt(0)
	v_mul_f64 v[99:100], v[99:100], v[104:105]
	buffer_store_dword v100, off, s[0:3], 0 offset:36
	buffer_store_dword v99, off, s[0:3], 0 offset:32
.LBB112_508:
	s_or_b64 exec, exec, s[6:7]
	buffer_load_dword v99, off, s[0:3], 0 offset:40
	buffer_load_dword v100, off, s[0:3], 0 offset:44
	v_cmp_gt_u32_e32 vcc, 5, v0
	s_waitcnt vmcnt(0)
	ds_write_b64 v102, v[99:100]
	s_waitcnt lgkmcnt(0)
	; wave barrier
	s_and_saveexec_b64 s[6:7], vcc
	s_cbranch_execz .LBB112_518
; %bb.509:
	s_and_b64 vcc, exec, s[4:5]
	s_cbranch_vccnz .LBB112_511
; %bb.510:
	buffer_load_dword v99, v103, s[0:3], 0 offen
	buffer_load_dword v100, v103, s[0:3], 0 offen offset:4
	ds_read_b64 v[104:105], v102
	s_waitcnt vmcnt(0) lgkmcnt(0)
	v_mul_f64 v[99:100], v[99:100], v[104:105]
	s_cbranch_execz .LBB112_512
	s_branch .LBB112_513
.LBB112_511:
                                        ; implicit-def: $vgpr99_vgpr100
.LBB112_512:
	ds_read_b64 v[99:100], v102
.LBB112_513:
	v_cmp_ne_u32_e32 vcc, 4, v0
	s_and_saveexec_b64 s[8:9], vcc
	s_cbranch_execz .LBB112_517
; %bb.514:
	s_mov_b32 s10, 0
	v_add_u32_e32 v104, 0x198, v101
	v_add3_u32 v105, v101, s10, 8
	s_mov_b64 s[10:11], 0
	v_mov_b32_e32 v106, v0
.LBB112_515:                            ; =>This Inner Loop Header: Depth=1
	buffer_load_dword v107, v105, s[0:3], 0 offen
	buffer_load_dword v108, v105, s[0:3], 0 offen offset:4
	ds_read_b64 v[109:110], v104
	v_add_u32_e32 v106, 1, v106
	v_cmp_lt_u32_e32 vcc, 3, v106
	v_add_u32_e32 v104, 8, v104
	s_or_b64 s[10:11], vcc, s[10:11]
	v_add_u32_e32 v105, 8, v105
	s_waitcnt vmcnt(0) lgkmcnt(0)
	v_fma_f64 v[99:100], v[107:108], v[109:110], v[99:100]
	s_andn2_b64 exec, exec, s[10:11]
	s_cbranch_execnz .LBB112_515
; %bb.516:
	s_or_b64 exec, exec, s[10:11]
.LBB112_517:
	s_or_b64 exec, exec, s[8:9]
	v_mov_b32_e32 v104, 0
	ds_read_b64 v[104:105], v104 offset:40
	s_waitcnt lgkmcnt(0)
	v_mul_f64 v[99:100], v[99:100], v[104:105]
	buffer_store_dword v100, off, s[0:3], 0 offset:44
	buffer_store_dword v99, off, s[0:3], 0 offset:40
.LBB112_518:
	;; [unrolled: 59-line block ×43, first 2 shown]
	s_or_b64 exec, exec, s[6:7]
	buffer_load_dword v99, off, s[0:3], 0 offset:376
	buffer_load_dword v100, off, s[0:3], 0 offset:380
	v_cmp_gt_u32_e64 s[6:7], 47, v0
	s_waitcnt vmcnt(0)
	ds_write_b64 v102, v[99:100]
	s_waitcnt lgkmcnt(0)
	; wave barrier
	s_and_saveexec_b64 s[8:9], s[6:7]
	s_cbranch_execz .LBB112_938
; %bb.929:
	s_and_b64 vcc, exec, s[4:5]
	s_cbranch_vccnz .LBB112_931
; %bb.930:
	buffer_load_dword v99, v103, s[0:3], 0 offen
	buffer_load_dword v100, v103, s[0:3], 0 offen offset:4
	ds_read_b64 v[104:105], v102
	s_waitcnt vmcnt(0) lgkmcnt(0)
	v_mul_f64 v[99:100], v[99:100], v[104:105]
	s_cbranch_execz .LBB112_932
	s_branch .LBB112_933
.LBB112_931:
                                        ; implicit-def: $vgpr99_vgpr100
.LBB112_932:
	ds_read_b64 v[99:100], v102
.LBB112_933:
	v_cmp_ne_u32_e32 vcc, 46, v0
	s_and_saveexec_b64 s[10:11], vcc
	s_cbranch_execz .LBB112_937
; %bb.934:
	s_mov_b32 s12, 0
	v_add_u32_e32 v104, 0x198, v101
	v_add3_u32 v105, v101, s12, 8
	s_mov_b64 s[12:13], 0
	v_mov_b32_e32 v106, v0
.LBB112_935:                            ; =>This Inner Loop Header: Depth=1
	buffer_load_dword v107, v105, s[0:3], 0 offen
	buffer_load_dword v108, v105, s[0:3], 0 offen offset:4
	ds_read_b64 v[109:110], v104
	v_add_u32_e32 v106, 1, v106
	v_cmp_lt_u32_e32 vcc, 45, v106
	v_add_u32_e32 v104, 8, v104
	s_or_b64 s[12:13], vcc, s[12:13]
	v_add_u32_e32 v105, 8, v105
	s_waitcnt vmcnt(0) lgkmcnt(0)
	v_fma_f64 v[99:100], v[107:108], v[109:110], v[99:100]
	s_andn2_b64 exec, exec, s[12:13]
	s_cbranch_execnz .LBB112_935
; %bb.936:
	s_or_b64 exec, exec, s[12:13]
.LBB112_937:
	s_or_b64 exec, exec, s[10:11]
	v_mov_b32_e32 v104, 0
	ds_read_b64 v[104:105], v104 offset:376
	s_waitcnt lgkmcnt(0)
	v_mul_f64 v[99:100], v[99:100], v[104:105]
	buffer_store_dword v100, off, s[0:3], 0 offset:380
	buffer_store_dword v99, off, s[0:3], 0 offset:376
.LBB112_938:
	s_or_b64 exec, exec, s[8:9]
	buffer_load_dword v99, off, s[0:3], 0 offset:384
	buffer_load_dword v100, off, s[0:3], 0 offset:388
	v_cmp_ne_u32_e32 vcc, 48, v0
	s_waitcnt vmcnt(0)
	ds_write_b64 v102, v[99:100]
	s_waitcnt lgkmcnt(0)
	; wave barrier
	s_and_saveexec_b64 s[8:9], vcc
	s_cbranch_execz .LBB112_948
; %bb.939:
	s_and_b64 vcc, exec, s[4:5]
	s_cbranch_vccnz .LBB112_941
; %bb.940:
	buffer_load_dword v99, v103, s[0:3], 0 offen
	buffer_load_dword v100, v103, s[0:3], 0 offen offset:4
	ds_read_b64 v[103:104], v102
	s_waitcnt vmcnt(0) lgkmcnt(0)
	v_mul_f64 v[99:100], v[99:100], v[103:104]
	s_cbranch_execz .LBB112_942
	s_branch .LBB112_943
.LBB112_941:
                                        ; implicit-def: $vgpr99_vgpr100
.LBB112_942:
	ds_read_b64 v[99:100], v102
.LBB112_943:
	s_and_saveexec_b64 s[4:5], s[6:7]
	s_cbranch_execz .LBB112_947
; %bb.944:
	s_mov_b32 s6, 0
	v_add_u32_e32 v102, 0x198, v101
	v_add3_u32 v101, v101, s6, 8
	s_mov_b64 s[6:7], 0
.LBB112_945:                            ; =>This Inner Loop Header: Depth=1
	buffer_load_dword v103, v101, s[0:3], 0 offen
	buffer_load_dword v104, v101, s[0:3], 0 offen offset:4
	ds_read_b64 v[105:106], v102
	v_add_u32_e32 v0, 1, v0
	v_cmp_lt_u32_e32 vcc, 46, v0
	v_add_u32_e32 v102, 8, v102
	s_or_b64 s[6:7], vcc, s[6:7]
	v_add_u32_e32 v101, 8, v101
	s_waitcnt vmcnt(0) lgkmcnt(0)
	v_fma_f64 v[99:100], v[103:104], v[105:106], v[99:100]
	s_andn2_b64 exec, exec, s[6:7]
	s_cbranch_execnz .LBB112_945
; %bb.946:
	s_or_b64 exec, exec, s[6:7]
.LBB112_947:
	s_or_b64 exec, exec, s[4:5]
	v_mov_b32_e32 v0, 0
	ds_read_b64 v[101:102], v0 offset:384
	s_waitcnt lgkmcnt(0)
	v_mul_f64 v[99:100], v[99:100], v[101:102]
	buffer_store_dword v100, off, s[0:3], 0 offset:388
	buffer_store_dword v99, off, s[0:3], 0 offset:384
.LBB112_948:
	s_or_b64 exec, exec, s[8:9]
.LBB112_949:
	buffer_load_dword v99, off, s[0:3], 0
	buffer_load_dword v100, off, s[0:3], 0 offset:4
	s_waitcnt vmcnt(0)
	flat_store_dwordx2 v[1:2], v[99:100]
	buffer_load_dword v0, off, s[0:3], 0 offset:8
	s_nop 0
	buffer_load_dword v1, off, s[0:3], 0 offset:12
	s_waitcnt vmcnt(0)
	flat_store_dwordx2 v[3:4], v[0:1]
	buffer_load_dword v0, off, s[0:3], 0 offset:16
	s_nop 0
	;; [unrolled: 5-line block ×48, first 2 shown]
	buffer_load_dword v1, off, s[0:3], 0 offset:388
	s_waitcnt vmcnt(0)
	flat_store_dwordx2 v[97:98], v[0:1]
.LBB112_950:
	s_endpgm
	.section	.rodata,"a",@progbits
	.p2align	6, 0x0
	.amdhsa_kernel _ZN9rocsolver6v33100L18trti2_kernel_smallILi49EdPKPdEEv13rocblas_fill_17rocblas_diagonal_T1_iil
		.amdhsa_group_segment_fixed_size 792
		.amdhsa_private_segment_fixed_size 400
		.amdhsa_kernarg_size 32
		.amdhsa_user_sgpr_count 6
		.amdhsa_user_sgpr_private_segment_buffer 1
		.amdhsa_user_sgpr_dispatch_ptr 0
		.amdhsa_user_sgpr_queue_ptr 0
		.amdhsa_user_sgpr_kernarg_segment_ptr 1
		.amdhsa_user_sgpr_dispatch_id 0
		.amdhsa_user_sgpr_flat_scratch_init 0
		.amdhsa_user_sgpr_private_segment_size 0
		.amdhsa_uses_dynamic_stack 0
		.amdhsa_system_sgpr_private_segment_wavefront_offset 1
		.amdhsa_system_sgpr_workgroup_id_x 1
		.amdhsa_system_sgpr_workgroup_id_y 0
		.amdhsa_system_sgpr_workgroup_id_z 0
		.amdhsa_system_sgpr_workgroup_info 0
		.amdhsa_system_vgpr_workitem_id 0
		.amdhsa_next_free_vgpr 112
		.amdhsa_next_free_sgpr 62
		.amdhsa_reserve_vcc 1
		.amdhsa_reserve_flat_scratch 0
		.amdhsa_float_round_mode_32 0
		.amdhsa_float_round_mode_16_64 0
		.amdhsa_float_denorm_mode_32 3
		.amdhsa_float_denorm_mode_16_64 3
		.amdhsa_dx10_clamp 1
		.amdhsa_ieee_mode 1
		.amdhsa_fp16_overflow 0
		.amdhsa_exception_fp_ieee_invalid_op 0
		.amdhsa_exception_fp_denorm_src 0
		.amdhsa_exception_fp_ieee_div_zero 0
		.amdhsa_exception_fp_ieee_overflow 0
		.amdhsa_exception_fp_ieee_underflow 0
		.amdhsa_exception_fp_ieee_inexact 0
		.amdhsa_exception_int_div_zero 0
	.end_amdhsa_kernel
	.section	.text._ZN9rocsolver6v33100L18trti2_kernel_smallILi49EdPKPdEEv13rocblas_fill_17rocblas_diagonal_T1_iil,"axG",@progbits,_ZN9rocsolver6v33100L18trti2_kernel_smallILi49EdPKPdEEv13rocblas_fill_17rocblas_diagonal_T1_iil,comdat
.Lfunc_end112:
	.size	_ZN9rocsolver6v33100L18trti2_kernel_smallILi49EdPKPdEEv13rocblas_fill_17rocblas_diagonal_T1_iil, .Lfunc_end112-_ZN9rocsolver6v33100L18trti2_kernel_smallILi49EdPKPdEEv13rocblas_fill_17rocblas_diagonal_T1_iil
                                        ; -- End function
	.set _ZN9rocsolver6v33100L18trti2_kernel_smallILi49EdPKPdEEv13rocblas_fill_17rocblas_diagonal_T1_iil.num_vgpr, 112
	.set _ZN9rocsolver6v33100L18trti2_kernel_smallILi49EdPKPdEEv13rocblas_fill_17rocblas_diagonal_T1_iil.num_agpr, 0
	.set _ZN9rocsolver6v33100L18trti2_kernel_smallILi49EdPKPdEEv13rocblas_fill_17rocblas_diagonal_T1_iil.numbered_sgpr, 62
	.set _ZN9rocsolver6v33100L18trti2_kernel_smallILi49EdPKPdEEv13rocblas_fill_17rocblas_diagonal_T1_iil.num_named_barrier, 0
	.set _ZN9rocsolver6v33100L18trti2_kernel_smallILi49EdPKPdEEv13rocblas_fill_17rocblas_diagonal_T1_iil.private_seg_size, 400
	.set _ZN9rocsolver6v33100L18trti2_kernel_smallILi49EdPKPdEEv13rocblas_fill_17rocblas_diagonal_T1_iil.uses_vcc, 1
	.set _ZN9rocsolver6v33100L18trti2_kernel_smallILi49EdPKPdEEv13rocblas_fill_17rocblas_diagonal_T1_iil.uses_flat_scratch, 0
	.set _ZN9rocsolver6v33100L18trti2_kernel_smallILi49EdPKPdEEv13rocblas_fill_17rocblas_diagonal_T1_iil.has_dyn_sized_stack, 0
	.set _ZN9rocsolver6v33100L18trti2_kernel_smallILi49EdPKPdEEv13rocblas_fill_17rocblas_diagonal_T1_iil.has_recursion, 0
	.set _ZN9rocsolver6v33100L18trti2_kernel_smallILi49EdPKPdEEv13rocblas_fill_17rocblas_diagonal_T1_iil.has_indirect_call, 0
	.section	.AMDGPU.csdata,"",@progbits
; Kernel info:
; codeLenInByte = 29072
; TotalNumSgprs: 66
; NumVgprs: 112
; ScratchSize: 400
; MemoryBound: 0
; FloatMode: 240
; IeeeMode: 1
; LDSByteSize: 792 bytes/workgroup (compile time only)
; SGPRBlocks: 8
; VGPRBlocks: 27
; NumSGPRsForWavesPerEU: 66
; NumVGPRsForWavesPerEU: 112
; Occupancy: 2
; WaveLimiterHint : 1
; COMPUTE_PGM_RSRC2:SCRATCH_EN: 1
; COMPUTE_PGM_RSRC2:USER_SGPR: 6
; COMPUTE_PGM_RSRC2:TRAP_HANDLER: 0
; COMPUTE_PGM_RSRC2:TGID_X_EN: 1
; COMPUTE_PGM_RSRC2:TGID_Y_EN: 0
; COMPUTE_PGM_RSRC2:TGID_Z_EN: 0
; COMPUTE_PGM_RSRC2:TIDIG_COMP_CNT: 0
	.section	.text._ZN9rocsolver6v33100L18trti2_kernel_smallILi50EdPKPdEEv13rocblas_fill_17rocblas_diagonal_T1_iil,"axG",@progbits,_ZN9rocsolver6v33100L18trti2_kernel_smallILi50EdPKPdEEv13rocblas_fill_17rocblas_diagonal_T1_iil,comdat
	.globl	_ZN9rocsolver6v33100L18trti2_kernel_smallILi50EdPKPdEEv13rocblas_fill_17rocblas_diagonal_T1_iil ; -- Begin function _ZN9rocsolver6v33100L18trti2_kernel_smallILi50EdPKPdEEv13rocblas_fill_17rocblas_diagonal_T1_iil
	.p2align	8
	.type	_ZN9rocsolver6v33100L18trti2_kernel_smallILi50EdPKPdEEv13rocblas_fill_17rocblas_diagonal_T1_iil,@function
_ZN9rocsolver6v33100L18trti2_kernel_smallILi50EdPKPdEEv13rocblas_fill_17rocblas_diagonal_T1_iil: ; @_ZN9rocsolver6v33100L18trti2_kernel_smallILi50EdPKPdEEv13rocblas_fill_17rocblas_diagonal_T1_iil
; %bb.0:
	s_add_u32 s0, s0, s7
	s_addc_u32 s1, s1, 0
	v_cmp_gt_u32_e32 vcc, 50, v0
	s_and_saveexec_b64 s[8:9], vcc
	s_cbranch_execz .LBB113_970
; %bb.1:
	s_load_dwordx2 s[12:13], s[4:5], 0x10
	s_load_dwordx4 s[8:11], s[4:5], 0x0
	s_ashr_i32 s7, s6, 31
	s_lshl_b64 s[6:7], s[6:7], 3
	v_lshlrev_b32_e32 v103, 3, v0
	s_waitcnt lgkmcnt(0)
	s_ashr_i32 s5, s12, 31
	s_add_u32 s6, s10, s6
	s_addc_u32 s7, s11, s7
	s_load_dwordx2 s[6:7], s[6:7], 0x0
	s_mov_b32 s4, s12
	s_lshl_b64 s[4:5], s[4:5], 3
	s_waitcnt lgkmcnt(0)
	s_add_u32 s4, s6, s4
	s_addc_u32 s5, s7, s5
	v_mov_b32_e32 v2, s5
	v_add_co_u32_e32 v1, vcc, s4, v103
	v_addc_co_u32_e32 v2, vcc, 0, v2, vcc
	flat_load_dwordx2 v[5:6], v[1:2]
	s_mov_b32 s6, s13
	s_ashr_i32 s7, s13, 31
	s_lshl_b64 s[6:7], s[6:7], 3
	v_mov_b32_e32 v4, s7
	v_add_co_u32_e32 v3, vcc, s6, v1
	v_addc_co_u32_e32 v4, vcc, v2, v4, vcc
	s_add_i32 s6, s13, s13
	v_add_u32_e32 v9, s6, v0
	v_ashrrev_i32_e32 v10, 31, v9
	v_mov_b32_e32 v11, s5
	v_add_u32_e32 v12, s13, v9
	v_ashrrev_i32_e32 v13, 31, v12
	v_mov_b32_e32 v14, s5
	v_mov_b32_e32 v15, s5
	;; [unrolled: 1-line block ×46, first 2 shown]
	s_cmpk_lg_i32 s9, 0x84
	s_cselect_b64 s[10:11], -1, 0
	s_cmpk_eq_i32 s9, 0x84
	s_waitcnt vmcnt(0) lgkmcnt(0)
	buffer_store_dword v6, off, s[0:3], 0 offset:4
	buffer_store_dword v5, off, s[0:3], 0
	flat_load_dwordx2 v[7:8], v[3:4]
	v_lshlrev_b64 v[5:6], 3, v[9:10]
	s_waitcnt vmcnt(0) lgkmcnt(0)
	buffer_store_dword v8, off, s[0:3], 0 offset:12
	buffer_store_dword v7, off, s[0:3], 0 offset:8
	v_add_co_u32_e32 v5, vcc, s4, v5
	v_addc_co_u32_e32 v6, vcc, v11, v6, vcc
	flat_load_dwordx2 v[10:11], v[5:6]
	v_lshlrev_b64 v[7:8], 3, v[12:13]
	s_waitcnt vmcnt(0) lgkmcnt(0)
	buffer_store_dword v11, off, s[0:3], 0 offset:20
	buffer_store_dword v10, off, s[0:3], 0 offset:16
	v_add_co_u32_e32 v7, vcc, s4, v7
	v_addc_co_u32_e32 v8, vcc, v14, v8, vcc
	flat_load_dwordx2 v[13:14], v[7:8]
	v_add_u32_e32 v11, s13, v12
	v_ashrrev_i32_e32 v12, 31, v11
	v_lshlrev_b64 v[9:10], 3, v[11:12]
	s_waitcnt vmcnt(0) lgkmcnt(0)
	buffer_store_dword v14, off, s[0:3], 0 offset:28
	buffer_store_dword v13, off, s[0:3], 0 offset:24
	v_add_co_u32_e32 v9, vcc, s4, v9
	v_addc_co_u32_e32 v10, vcc, v15, v10, vcc
	flat_load_dwordx2 v[13:14], v[9:10]
	v_add_u32_e32 v15, s13, v11
	v_ashrrev_i32_e32 v16, 31, v15
	v_lshlrev_b64 v[11:12], 3, v[15:16]
	v_add_u32_e32 v18, s13, v15
	v_add_co_u32_e32 v11, vcc, s4, v11
	v_addc_co_u32_e32 v12, vcc, v17, v12, vcc
	v_ashrrev_i32_e32 v19, 31, v18
	s_waitcnt vmcnt(0) lgkmcnt(0)
	buffer_store_dword v14, off, s[0:3], 0 offset:36
	buffer_store_dword v13, off, s[0:3], 0 offset:32
	flat_load_dwordx2 v[16:17], v[11:12]
	v_lshlrev_b64 v[13:14], 3, v[18:19]
	s_waitcnt vmcnt(0) lgkmcnt(0)
	buffer_store_dword v17, off, s[0:3], 0 offset:44
	buffer_store_dword v16, off, s[0:3], 0 offset:40
	v_add_co_u32_e32 v13, vcc, s4, v13
	v_addc_co_u32_e32 v14, vcc, v20, v14, vcc
	flat_load_dwordx2 v[19:20], v[13:14]
	v_add_u32_e32 v17, s13, v18
	v_ashrrev_i32_e32 v18, 31, v17
	v_lshlrev_b64 v[15:16], 3, v[17:18]
	s_waitcnt vmcnt(0) lgkmcnt(0)
	buffer_store_dword v20, off, s[0:3], 0 offset:52
	buffer_store_dword v19, off, s[0:3], 0 offset:48
	v_add_co_u32_e32 v15, vcc, s4, v15
	v_addc_co_u32_e32 v16, vcc, v21, v16, vcc
	flat_load_dwordx2 v[19:20], v[15:16]
	v_add_u32_e32 v21, s13, v17
	v_ashrrev_i32_e32 v22, 31, v21
	v_lshlrev_b64 v[17:18], 3, v[21:22]
	v_add_u32_e32 v24, s13, v21
	v_add_co_u32_e32 v17, vcc, s4, v17
	v_addc_co_u32_e32 v18, vcc, v23, v18, vcc
	v_ashrrev_i32_e32 v25, 31, v24
	s_waitcnt vmcnt(0) lgkmcnt(0)
	buffer_store_dword v20, off, s[0:3], 0 offset:60
	buffer_store_dword v19, off, s[0:3], 0 offset:56
	;; [unrolled: 27-line block ×7, first 2 shown]
	flat_load_dwordx2 v[52:53], v[47:48]
	v_lshlrev_b64 v[49:50], 3, v[54:55]
	s_waitcnt vmcnt(0) lgkmcnt(0)
	buffer_store_dword v53, off, s[0:3], 0 offset:188
	buffer_store_dword v52, off, s[0:3], 0 offset:184
	v_add_co_u32_e32 v49, vcc, s4, v49
	v_addc_co_u32_e32 v50, vcc, v56, v50, vcc
	flat_load_dwordx2 v[55:56], v[49:50]
	v_add_u32_e32 v53, s13, v54
	v_ashrrev_i32_e32 v54, 31, v53
	v_lshlrev_b64 v[51:52], 3, v[53:54]
	s_waitcnt vmcnt(0) lgkmcnt(0)
	buffer_store_dword v56, off, s[0:3], 0 offset:196
	buffer_store_dword v55, off, s[0:3], 0 offset:192
	v_add_co_u32_e32 v51, vcc, s4, v51
	v_addc_co_u32_e32 v52, vcc, v57, v52, vcc
	flat_load_dwordx2 v[55:56], v[51:52]
	v_add_u32_e32 v57, s13, v53
	v_ashrrev_i32_e32 v58, 31, v57
	v_lshlrev_b64 v[53:54], 3, v[57:58]
	v_add_u32_e32 v60, s13, v57
	v_add_co_u32_e32 v53, vcc, s4, v53
	v_addc_co_u32_e32 v54, vcc, v59, v54, vcc
	s_waitcnt vmcnt(0) lgkmcnt(0)
	buffer_store_dword v56, off, s[0:3], 0 offset:204
	buffer_store_dword v55, off, s[0:3], 0 offset:200
	flat_load_dwordx2 v[58:59], v[53:54]
	v_ashrrev_i32_e32 v61, 31, v60
	v_lshlrev_b64 v[55:56], 3, v[60:61]
	s_waitcnt vmcnt(0) lgkmcnt(0)
	buffer_store_dword v59, off, s[0:3], 0 offset:212
	buffer_store_dword v58, off, s[0:3], 0 offset:208
	v_add_co_u32_e32 v55, vcc, s4, v55
	v_addc_co_u32_e32 v56, vcc, v62, v56, vcc
	flat_load_dwordx2 v[61:62], v[55:56]
	v_add_u32_e32 v59, s13, v60
	v_ashrrev_i32_e32 v60, 31, v59
	v_lshlrev_b64 v[57:58], 3, v[59:60]
	s_waitcnt vmcnt(0) lgkmcnt(0)
	buffer_store_dword v62, off, s[0:3], 0 offset:220
	buffer_store_dword v61, off, s[0:3], 0 offset:216
	v_add_co_u32_e32 v57, vcc, s4, v57
	v_addc_co_u32_e32 v58, vcc, v63, v58, vcc
	flat_load_dwordx2 v[61:62], v[57:58]
	v_add_u32_e32 v63, s13, v59
	;; [unrolled: 9-line block ×22, first 2 shown]
	v_ashrrev_i32_e32 v100, 31, v99
	v_lshlrev_b64 v[99:100], 3, v[99:100]
	v_mov_b32_e32 v105, s5
	v_add_co_u32_e32 v99, vcc, s4, v99
	v_addc_co_u32_e32 v100, vcc, v105, v100, vcc
	s_waitcnt vmcnt(0) lgkmcnt(0)
	buffer_store_dword v102, off, s[0:3], 0 offset:388
	buffer_store_dword v101, off, s[0:3], 0 offset:384
	flat_load_dwordx2 v[104:105], v[99:100]
	v_mov_b32_e32 v101, 0
	v_mov_b32_e32 v102, 0xbff00000
	s_waitcnt vmcnt(0) lgkmcnt(0)
	buffer_store_dword v105, off, s[0:3], 0 offset:396
	buffer_store_dword v104, off, s[0:3], 0 offset:392
	s_cbranch_scc1 .LBB113_3
; %bb.2:
	v_mov_b32_e32 v101, 0
	v_lshl_add_u32 v112, v0, 3, v101
	buffer_load_dword v101, v112, s[0:3], 0 offen
	buffer_load_dword v102, v112, s[0:3], 0 offen offset:4
	s_waitcnt vmcnt(0)
	v_div_scale_f64 v[104:105], s[4:5], v[101:102], v[101:102], 1.0
	v_rcp_f64_e32 v[106:107], v[104:105]
	v_fma_f64 v[108:109], -v[104:105], v[106:107], 1.0
	v_fma_f64 v[106:107], v[106:107], v[108:109], v[106:107]
	v_div_scale_f64 v[108:109], vcc, 1.0, v[101:102], 1.0
	v_fma_f64 v[110:111], -v[104:105], v[106:107], 1.0
	v_fma_f64 v[106:107], v[106:107], v[110:111], v[106:107]
	v_mul_f64 v[110:111], v[108:109], v[106:107]
	v_fma_f64 v[104:105], -v[104:105], v[110:111], v[108:109]
	v_div_fmas_f64 v[104:105], v[104:105], v[106:107], v[110:111]
	v_div_fixup_f64 v[101:102], v[104:105], v[101:102], 1.0
	buffer_store_dword v101, v112, s[0:3], 0 offen
	buffer_store_dword v102, v112, s[0:3], 0 offen offset:4
	v_xor_b32_e32 v102, 0x80000000, v102
.LBB113_3:
	s_cmpk_eq_i32 s8, 0x79
	v_add_u32_e32 v104, 0x190, v103
	v_mov_b32_e32 v105, v103
	s_mov_b64 s[4:5], -1
	ds_write_b64 v103, v[101:102]
	s_cbranch_scc1 .LBB113_487
; %bb.4:
	buffer_load_dword v101, off, s[0:3], 0 offset:384
	buffer_load_dword v102, off, s[0:3], 0 offset:388
	s_movk_i32 s12, 0x48
	s_movk_i32 s13, 0x50
	;; [unrolled: 1-line block ×39, first 2 shown]
	v_cmp_eq_u32_e64 s[4:5], 49, v0
	s_waitcnt vmcnt(0)
	ds_write_b64 v104, v[101:102]
	s_waitcnt lgkmcnt(0)
	; wave barrier
	s_and_saveexec_b64 s[6:7], s[4:5]
	s_cbranch_execz .LBB113_10
; %bb.5:
	s_and_b64 vcc, exec, s[10:11]
	s_cbranch_vccz .LBB113_7
; %bb.6:
	buffer_load_dword v101, v105, s[0:3], 0 offen
	buffer_load_dword v102, v105, s[0:3], 0 offen offset:4
	ds_read_b64 v[106:107], v104
	s_waitcnt vmcnt(0) lgkmcnt(0)
	v_mul_f64 v[101:102], v[101:102], v[106:107]
	s_cbranch_execz .LBB113_8
	s_branch .LBB113_9
.LBB113_7:
                                        ; implicit-def: $vgpr101_vgpr102
.LBB113_8:
	ds_read_b64 v[101:102], v104
.LBB113_9:
	v_mov_b32_e32 v106, 0
	ds_read_b64 v[106:107], v106 offset:384
	s_waitcnt lgkmcnt(0)
	v_mul_f64 v[101:102], v[101:102], v[106:107]
	buffer_store_dword v102, off, s[0:3], 0 offset:388
	buffer_store_dword v101, off, s[0:3], 0 offset:384
.LBB113_10:
	s_or_b64 exec, exec, s[6:7]
	buffer_load_dword v101, off, s[0:3], 0 offset:376
	buffer_load_dword v102, off, s[0:3], 0 offset:380
	s_or_b32 s14, 0, 8
	s_mov_b32 s15, 16
	s_mov_b32 s16, 24
	;; [unrolled: 1-line block ×9, first 2 shown]
	v_cmp_lt_u32_e64 s[6:7], 47, v0
	s_waitcnt vmcnt(0)
	ds_write_b64 v104, v[101:102]
	s_waitcnt lgkmcnt(0)
	; wave barrier
	s_and_saveexec_b64 s[8:9], s[6:7]
	s_cbranch_execz .LBB113_16
; %bb.11:
	s_andn2_b64 vcc, exec, s[10:11]
	s_cbranch_vccnz .LBB113_13
; %bb.12:
	buffer_load_dword v101, v105, s[0:3], 0 offen
	buffer_load_dword v102, v105, s[0:3], 0 offen offset:4
	ds_read_b64 v[106:107], v104
	s_waitcnt vmcnt(0) lgkmcnt(0)
	v_mul_f64 v[101:102], v[101:102], v[106:107]
	s_cbranch_execz .LBB113_14
	s_branch .LBB113_15
.LBB113_13:
                                        ; implicit-def: $vgpr101_vgpr102
.LBB113_14:
	ds_read_b64 v[101:102], v104
.LBB113_15:
	buffer_load_dword v110, off, s[0:3], 0 offset:384
	buffer_load_dword v111, off, s[0:3], 0 offset:388
	v_mov_b32_e32 v106, 0
	ds_read2_b64 v[106:109], v106 offset0:47 offset1:98
	s_waitcnt vmcnt(0) lgkmcnt(0)
	v_fma_f64 v[108:109], v[110:111], v[108:109], v[101:102]
	v_cndmask_b32_e64 v102, v102, v109, s[4:5]
	v_cndmask_b32_e64 v101, v101, v108, s[4:5]
	v_mul_f64 v[101:102], v[101:102], v[106:107]
	buffer_store_dword v102, off, s[0:3], 0 offset:380
	buffer_store_dword v101, off, s[0:3], 0 offset:376
.LBB113_16:
	s_or_b64 exec, exec, s[8:9]
	buffer_load_dword v101, off, s[0:3], 0 offset:368
	buffer_load_dword v102, off, s[0:3], 0 offset:372
	v_cmp_lt_u32_e64 s[4:5], 46, v0
	s_waitcnt vmcnt(0)
	ds_write_b64 v104, v[101:102]
	s_waitcnt lgkmcnt(0)
	; wave barrier
	s_and_saveexec_b64 s[8:9], s[4:5]
	s_cbranch_execz .LBB113_26
; %bb.17:
	s_andn2_b64 vcc, exec, s[10:11]
	s_cbranch_vccnz .LBB113_19
; %bb.18:
	buffer_load_dword v101, v105, s[0:3], 0 offen
	buffer_load_dword v102, v105, s[0:3], 0 offen offset:4
	ds_read_b64 v[106:107], v104
	s_waitcnt vmcnt(0) lgkmcnt(0)
	v_mul_f64 v[101:102], v[101:102], v[106:107]
	s_cbranch_execz .LBB113_20
	s_branch .LBB113_21
.LBB113_19:
                                        ; implicit-def: $vgpr101_vgpr102
.LBB113_20:
	ds_read_b64 v[101:102], v104
.LBB113_21:
	s_and_saveexec_b64 s[12:13], s[6:7]
	s_cbranch_execz .LBB113_25
; %bb.22:
	v_subrev_u32_e32 v106, 47, v0
	s_movk_i32 s62, 0x308
	s_mov_b64 s[6:7], 0
.LBB113_23:                             ; =>This Inner Loop Header: Depth=1
	v_mov_b32_e32 v108, s61
	buffer_load_dword v107, v108, s[0:3], 0 offen
	s_nop 0
	buffer_load_dword v108, v108, s[0:3], 0 offen offset:4
	v_mov_b32_e32 v109, s62
	ds_read_b64 v[109:110], v109
	v_add_u32_e32 v106, -1, v106
	s_add_i32 s62, s62, 8
	s_add_i32 s61, s61, 8
	v_cmp_eq_u32_e32 vcc, 0, v106
	s_or_b64 s[6:7], vcc, s[6:7]
	s_waitcnt vmcnt(0) lgkmcnt(0)
	v_fma_f64 v[101:102], v[107:108], v[109:110], v[101:102]
	s_andn2_b64 exec, exec, s[6:7]
	s_cbranch_execnz .LBB113_23
; %bb.24:
	s_or_b64 exec, exec, s[6:7]
.LBB113_25:
	s_or_b64 exec, exec, s[12:13]
	v_mov_b32_e32 v106, 0
	ds_read_b64 v[106:107], v106 offset:368
	s_waitcnt lgkmcnt(0)
	v_mul_f64 v[101:102], v[101:102], v[106:107]
	buffer_store_dword v102, off, s[0:3], 0 offset:372
	buffer_store_dword v101, off, s[0:3], 0 offset:368
.LBB113_26:
	s_or_b64 exec, exec, s[8:9]
	buffer_load_dword v101, off, s[0:3], 0 offset:360
	buffer_load_dword v102, off, s[0:3], 0 offset:364
	v_cmp_lt_u32_e64 s[6:7], 45, v0
	s_waitcnt vmcnt(0)
	ds_write_b64 v104, v[101:102]
	s_waitcnt lgkmcnt(0)
	; wave barrier
	s_and_saveexec_b64 s[8:9], s[6:7]
	s_cbranch_execz .LBB113_36
; %bb.27:
	s_andn2_b64 vcc, exec, s[10:11]
	s_cbranch_vccnz .LBB113_29
; %bb.28:
	buffer_load_dword v101, v105, s[0:3], 0 offen
	buffer_load_dword v102, v105, s[0:3], 0 offen offset:4
	ds_read_b64 v[106:107], v104
	s_waitcnt vmcnt(0) lgkmcnt(0)
	v_mul_f64 v[101:102], v[101:102], v[106:107]
	s_cbranch_execz .LBB113_30
	s_branch .LBB113_31
.LBB113_29:
                                        ; implicit-def: $vgpr101_vgpr102
.LBB113_30:
	ds_read_b64 v[101:102], v104
.LBB113_31:
	s_and_saveexec_b64 s[12:13], s[4:5]
	s_cbranch_execz .LBB113_35
; %bb.32:
	v_subrev_u32_e32 v106, 46, v0
	s_movk_i32 s61, 0x300
	s_mov_b64 s[4:5], 0
.LBB113_33:                             ; =>This Inner Loop Header: Depth=1
	v_mov_b32_e32 v108, s60
	buffer_load_dword v107, v108, s[0:3], 0 offen
	s_nop 0
	buffer_load_dword v108, v108, s[0:3], 0 offen offset:4
	v_mov_b32_e32 v109, s61
	ds_read_b64 v[109:110], v109
	v_add_u32_e32 v106, -1, v106
	s_add_i32 s61, s61, 8
	s_add_i32 s60, s60, 8
	v_cmp_eq_u32_e32 vcc, 0, v106
	s_or_b64 s[4:5], vcc, s[4:5]
	s_waitcnt vmcnt(0) lgkmcnt(0)
	v_fma_f64 v[101:102], v[107:108], v[109:110], v[101:102]
	s_andn2_b64 exec, exec, s[4:5]
	s_cbranch_execnz .LBB113_33
; %bb.34:
	s_or_b64 exec, exec, s[4:5]
.LBB113_35:
	s_or_b64 exec, exec, s[12:13]
	v_mov_b32_e32 v106, 0
	ds_read_b64 v[106:107], v106 offset:360
	s_waitcnt lgkmcnt(0)
	v_mul_f64 v[101:102], v[101:102], v[106:107]
	buffer_store_dword v102, off, s[0:3], 0 offset:364
	buffer_store_dword v101, off, s[0:3], 0 offset:360
.LBB113_36:
	;; [unrolled: 59-line block ×8, first 2 shown]
	s_or_b64 exec, exec, s[8:9]
	buffer_load_dword v101, off, s[0:3], 0 offset:304
	buffer_load_dword v102, off, s[0:3], 0 offset:308
	v_cmp_lt_u32_e64 s[4:5], 38, v0
	s_waitcnt vmcnt(0)
	ds_write_b64 v104, v[101:102]
	s_waitcnt lgkmcnt(0)
	; wave barrier
	s_and_saveexec_b64 s[8:9], s[4:5]
	s_cbranch_execz .LBB113_106
; %bb.97:
	s_andn2_b64 vcc, exec, s[10:11]
	s_cbranch_vccnz .LBB113_99
; %bb.98:
	buffer_load_dword v101, v105, s[0:3], 0 offen
	buffer_load_dword v102, v105, s[0:3], 0 offen offset:4
	ds_read_b64 v[106:107], v104
	s_waitcnt vmcnt(0) lgkmcnt(0)
	v_mul_f64 v[101:102], v[101:102], v[106:107]
	s_cbranch_execz .LBB113_100
	s_branch .LBB113_101
.LBB113_99:
                                        ; implicit-def: $vgpr101_vgpr102
.LBB113_100:
	ds_read_b64 v[101:102], v104
.LBB113_101:
	s_and_saveexec_b64 s[12:13], s[6:7]
	s_cbranch_execz .LBB113_105
; %bb.102:
	v_subrev_u32_e32 v106, 39, v0
	s_movk_i32 s54, 0x2c8
	s_mov_b64 s[6:7], 0
.LBB113_103:                            ; =>This Inner Loop Header: Depth=1
	v_mov_b32_e32 v108, s53
	buffer_load_dword v107, v108, s[0:3], 0 offen
	s_nop 0
	buffer_load_dword v108, v108, s[0:3], 0 offen offset:4
	v_mov_b32_e32 v109, s54
	ds_read_b64 v[109:110], v109
	v_add_u32_e32 v106, -1, v106
	s_add_i32 s54, s54, 8
	s_add_i32 s53, s53, 8
	v_cmp_eq_u32_e32 vcc, 0, v106
	s_or_b64 s[6:7], vcc, s[6:7]
	s_waitcnt vmcnt(0) lgkmcnt(0)
	v_fma_f64 v[101:102], v[107:108], v[109:110], v[101:102]
	s_andn2_b64 exec, exec, s[6:7]
	s_cbranch_execnz .LBB113_103
; %bb.104:
	s_or_b64 exec, exec, s[6:7]
.LBB113_105:
	s_or_b64 exec, exec, s[12:13]
	v_mov_b32_e32 v106, 0
	ds_read_b64 v[106:107], v106 offset:304
	s_waitcnt lgkmcnt(0)
	v_mul_f64 v[101:102], v[101:102], v[106:107]
	buffer_store_dword v102, off, s[0:3], 0 offset:308
	buffer_store_dword v101, off, s[0:3], 0 offset:304
.LBB113_106:
	s_or_b64 exec, exec, s[8:9]
	buffer_load_dword v101, off, s[0:3], 0 offset:296
	buffer_load_dword v102, off, s[0:3], 0 offset:300
	v_cmp_lt_u32_e64 s[6:7], 37, v0
	s_waitcnt vmcnt(0)
	ds_write_b64 v104, v[101:102]
	s_waitcnt lgkmcnt(0)
	; wave barrier
	s_and_saveexec_b64 s[8:9], s[6:7]
	s_cbranch_execz .LBB113_116
; %bb.107:
	s_andn2_b64 vcc, exec, s[10:11]
	s_cbranch_vccnz .LBB113_109
; %bb.108:
	buffer_load_dword v101, v105, s[0:3], 0 offen
	buffer_load_dword v102, v105, s[0:3], 0 offen offset:4
	ds_read_b64 v[106:107], v104
	s_waitcnt vmcnt(0) lgkmcnt(0)
	v_mul_f64 v[101:102], v[101:102], v[106:107]
	s_cbranch_execz .LBB113_110
	s_branch .LBB113_111
.LBB113_109:
                                        ; implicit-def: $vgpr101_vgpr102
.LBB113_110:
	ds_read_b64 v[101:102], v104
.LBB113_111:
	s_and_saveexec_b64 s[12:13], s[4:5]
	s_cbranch_execz .LBB113_115
; %bb.112:
	v_subrev_u32_e32 v106, 38, v0
	s_movk_i32 s53, 0x2c0
	s_mov_b64 s[4:5], 0
.LBB113_113:                            ; =>This Inner Loop Header: Depth=1
	v_mov_b32_e32 v108, s52
	buffer_load_dword v107, v108, s[0:3], 0 offen
	s_nop 0
	buffer_load_dword v108, v108, s[0:3], 0 offen offset:4
	v_mov_b32_e32 v109, s53
	ds_read_b64 v[109:110], v109
	v_add_u32_e32 v106, -1, v106
	s_add_i32 s53, s53, 8
	s_add_i32 s52, s52, 8
	v_cmp_eq_u32_e32 vcc, 0, v106
	s_or_b64 s[4:5], vcc, s[4:5]
	s_waitcnt vmcnt(0) lgkmcnt(0)
	v_fma_f64 v[101:102], v[107:108], v[109:110], v[101:102]
	s_andn2_b64 exec, exec, s[4:5]
	s_cbranch_execnz .LBB113_113
; %bb.114:
	s_or_b64 exec, exec, s[4:5]
.LBB113_115:
	s_or_b64 exec, exec, s[12:13]
	v_mov_b32_e32 v106, 0
	ds_read_b64 v[106:107], v106 offset:296
	s_waitcnt lgkmcnt(0)
	v_mul_f64 v[101:102], v[101:102], v[106:107]
	buffer_store_dword v102, off, s[0:3], 0 offset:300
	buffer_store_dword v101, off, s[0:3], 0 offset:296
.LBB113_116:
	s_or_b64 exec, exec, s[8:9]
	buffer_load_dword v101, off, s[0:3], 0 offset:288
	buffer_load_dword v102, off, s[0:3], 0 offset:292
	v_cmp_lt_u32_e64 s[8:9], 36, v0
	s_waitcnt vmcnt(0)
	ds_write_b64 v104, v[101:102]
	s_waitcnt lgkmcnt(0)
	; wave barrier
	s_and_saveexec_b64 s[4:5], s[8:9]
	s_cbranch_execz .LBB113_126
; %bb.117:
	s_andn2_b64 vcc, exec, s[10:11]
	s_cbranch_vccnz .LBB113_119
; %bb.118:
	buffer_load_dword v101, v105, s[0:3], 0 offen
	buffer_load_dword v102, v105, s[0:3], 0 offen offset:4
	ds_read_b64 v[106:107], v104
	s_waitcnt vmcnt(0) lgkmcnt(0)
	v_mul_f64 v[101:102], v[101:102], v[106:107]
	s_cbranch_execz .LBB113_120
	s_branch .LBB113_121
.LBB113_119:
                                        ; implicit-def: $vgpr101_vgpr102
.LBB113_120:
	ds_read_b64 v[101:102], v104
.LBB113_121:
	s_and_saveexec_b64 s[12:13], s[6:7]
	s_cbranch_execz .LBB113_125
; %bb.122:
	v_subrev_u32_e32 v106, 37, v0
	s_movk_i32 s52, 0x2b8
	s_mov_b64 s[6:7], 0
.LBB113_123:                            ; =>This Inner Loop Header: Depth=1
	v_mov_b32_e32 v108, s51
	buffer_load_dword v107, v108, s[0:3], 0 offen
	s_nop 0
	buffer_load_dword v108, v108, s[0:3], 0 offen offset:4
	v_mov_b32_e32 v109, s52
	ds_read_b64 v[109:110], v109
	v_add_u32_e32 v106, -1, v106
	s_add_i32 s52, s52, 8
	s_add_i32 s51, s51, 8
	v_cmp_eq_u32_e32 vcc, 0, v106
	s_or_b64 s[6:7], vcc, s[6:7]
	s_waitcnt vmcnt(0) lgkmcnt(0)
	v_fma_f64 v[101:102], v[107:108], v[109:110], v[101:102]
	s_andn2_b64 exec, exec, s[6:7]
	s_cbranch_execnz .LBB113_123
; %bb.124:
	s_or_b64 exec, exec, s[6:7]
.LBB113_125:
	s_or_b64 exec, exec, s[12:13]
	v_mov_b32_e32 v106, 0
	ds_read_b64 v[106:107], v106 offset:288
	s_waitcnt lgkmcnt(0)
	v_mul_f64 v[101:102], v[101:102], v[106:107]
	buffer_store_dword v102, off, s[0:3], 0 offset:292
	buffer_store_dword v101, off, s[0:3], 0 offset:288
.LBB113_126:
	s_or_b64 exec, exec, s[4:5]
	buffer_load_dword v101, off, s[0:3], 0 offset:280
	buffer_load_dword v102, off, s[0:3], 0 offset:284
	v_cmp_lt_u32_e64 s[4:5], 35, v0
	s_waitcnt vmcnt(0)
	ds_write_b64 v104, v[101:102]
	s_waitcnt lgkmcnt(0)
	; wave barrier
	s_and_saveexec_b64 s[6:7], s[4:5]
	s_cbranch_execz .LBB113_136
; %bb.127:
	s_andn2_b64 vcc, exec, s[10:11]
	s_cbranch_vccnz .LBB113_129
; %bb.128:
	buffer_load_dword v101, v105, s[0:3], 0 offen
	buffer_load_dword v102, v105, s[0:3], 0 offen offset:4
	ds_read_b64 v[106:107], v104
	s_waitcnt vmcnt(0) lgkmcnt(0)
	v_mul_f64 v[101:102], v[101:102], v[106:107]
	s_cbranch_execz .LBB113_130
	s_branch .LBB113_131
.LBB113_129:
                                        ; implicit-def: $vgpr101_vgpr102
.LBB113_130:
	ds_read_b64 v[101:102], v104
.LBB113_131:
	s_and_saveexec_b64 s[12:13], s[8:9]
	s_cbranch_execz .LBB113_135
; %bb.132:
	v_subrev_u32_e32 v106, 36, v0
	s_movk_i32 s51, 0x2b0
	s_mov_b64 s[8:9], 0
.LBB113_133:                            ; =>This Inner Loop Header: Depth=1
	v_mov_b32_e32 v109, s50
	buffer_load_dword v107, v109, s[0:3], 0 offen
	buffer_load_dword v108, v109, s[0:3], 0 offen offset:4
	v_mov_b32_e32 v109, s51
	ds_read_b64 v[109:110], v109
	v_add_u32_e32 v106, -1, v106
	s_add_i32 s51, s51, 8
	s_add_i32 s50, s50, 8
	v_cmp_eq_u32_e32 vcc, 0, v106
	s_or_b64 s[8:9], vcc, s[8:9]
	s_waitcnt vmcnt(0) lgkmcnt(0)
	v_fma_f64 v[101:102], v[107:108], v[109:110], v[101:102]
	s_andn2_b64 exec, exec, s[8:9]
	s_cbranch_execnz .LBB113_133
; %bb.134:
	s_or_b64 exec, exec, s[8:9]
.LBB113_135:
	s_or_b64 exec, exec, s[12:13]
	v_mov_b32_e32 v106, 0
	ds_read_b64 v[106:107], v106 offset:280
	s_waitcnt lgkmcnt(0)
	v_mul_f64 v[101:102], v[101:102], v[106:107]
	buffer_store_dword v102, off, s[0:3], 0 offset:284
	buffer_store_dword v101, off, s[0:3], 0 offset:280
.LBB113_136:
	s_or_b64 exec, exec, s[6:7]
	buffer_load_dword v101, off, s[0:3], 0 offset:272
	buffer_load_dword v102, off, s[0:3], 0 offset:276
	v_cmp_lt_u32_e64 s[6:7], 34, v0
	s_waitcnt vmcnt(0)
	ds_write_b64 v104, v[101:102]
	s_waitcnt lgkmcnt(0)
	; wave barrier
	s_and_saveexec_b64 s[8:9], s[6:7]
	s_cbranch_execz .LBB113_146
; %bb.137:
	s_andn2_b64 vcc, exec, s[10:11]
	s_cbranch_vccnz .LBB113_139
; %bb.138:
	buffer_load_dword v101, v105, s[0:3], 0 offen
	buffer_load_dword v102, v105, s[0:3], 0 offen offset:4
	ds_read_b64 v[106:107], v104
	s_waitcnt vmcnt(0) lgkmcnt(0)
	v_mul_f64 v[101:102], v[101:102], v[106:107]
	s_cbranch_execz .LBB113_140
	s_branch .LBB113_141
.LBB113_139:
                                        ; implicit-def: $vgpr101_vgpr102
.LBB113_140:
	ds_read_b64 v[101:102], v104
.LBB113_141:
	s_and_saveexec_b64 s[12:13], s[4:5]
	s_cbranch_execz .LBB113_145
; %bb.142:
	v_subrev_u32_e32 v106, 35, v0
	s_movk_i32 s50, 0x2a8
	s_mov_b64 s[4:5], 0
.LBB113_143:                            ; =>This Inner Loop Header: Depth=1
	v_mov_b32_e32 v109, s49
	buffer_load_dword v107, v109, s[0:3], 0 offen
	buffer_load_dword v108, v109, s[0:3], 0 offen offset:4
	v_mov_b32_e32 v109, s50
	ds_read_b64 v[109:110], v109
	v_add_u32_e32 v106, -1, v106
	s_add_i32 s50, s50, 8
	s_add_i32 s49, s49, 8
	v_cmp_eq_u32_e32 vcc, 0, v106
	s_or_b64 s[4:5], vcc, s[4:5]
	s_waitcnt vmcnt(0) lgkmcnt(0)
	v_fma_f64 v[101:102], v[107:108], v[109:110], v[101:102]
	s_andn2_b64 exec, exec, s[4:5]
	s_cbranch_execnz .LBB113_143
; %bb.144:
	s_or_b64 exec, exec, s[4:5]
.LBB113_145:
	s_or_b64 exec, exec, s[12:13]
	v_mov_b32_e32 v106, 0
	ds_read_b64 v[106:107], v106 offset:272
	s_waitcnt lgkmcnt(0)
	v_mul_f64 v[101:102], v[101:102], v[106:107]
	buffer_store_dword v102, off, s[0:3], 0 offset:276
	buffer_store_dword v101, off, s[0:3], 0 offset:272
.LBB113_146:
	;; [unrolled: 58-line block ×20, first 2 shown]
	s_or_b64 exec, exec, s[8:9]
	buffer_load_dword v101, off, s[0:3], 0 offset:120
	buffer_load_dword v102, off, s[0:3], 0 offset:124
	v_cmp_lt_u32_e64 s[4:5], 15, v0
	s_waitcnt vmcnt(0)
	ds_write_b64 v104, v[101:102]
	s_waitcnt lgkmcnt(0)
	; wave barrier
	s_and_saveexec_b64 s[8:9], s[4:5]
	s_cbranch_execz .LBB113_336
; %bb.327:
	s_andn2_b64 vcc, exec, s[10:11]
	s_cbranch_vccnz .LBB113_329
; %bb.328:
	buffer_load_dword v101, v105, s[0:3], 0 offen
	buffer_load_dword v102, v105, s[0:3], 0 offen offset:4
	ds_read_b64 v[106:107], v104
	s_waitcnt vmcnt(0) lgkmcnt(0)
	v_mul_f64 v[101:102], v[101:102], v[106:107]
	s_cbranch_execz .LBB113_330
	s_branch .LBB113_331
.LBB113_329:
                                        ; implicit-def: $vgpr101_vgpr102
.LBB113_330:
	ds_read_b64 v[101:102], v104
.LBB113_331:
	s_and_saveexec_b64 s[12:13], s[6:7]
	s_cbranch_execz .LBB113_335
; %bb.332:
	v_add_u32_e32 v106, -16, v0
	s_movk_i32 s30, 0x210
	s_mov_b64 s[6:7], 0
.LBB113_333:                            ; =>This Inner Loop Header: Depth=1
	v_mov_b32_e32 v109, s29
	buffer_load_dword v107, v109, s[0:3], 0 offen
	buffer_load_dword v108, v109, s[0:3], 0 offen offset:4
	v_mov_b32_e32 v109, s30
	ds_read_b64 v[109:110], v109
	v_add_u32_e32 v106, -1, v106
	s_add_i32 s30, s30, 8
	s_add_i32 s29, s29, 8
	v_cmp_eq_u32_e32 vcc, 0, v106
	s_or_b64 s[6:7], vcc, s[6:7]
	s_waitcnt vmcnt(0) lgkmcnt(0)
	v_fma_f64 v[101:102], v[107:108], v[109:110], v[101:102]
	s_andn2_b64 exec, exec, s[6:7]
	s_cbranch_execnz .LBB113_333
; %bb.334:
	s_or_b64 exec, exec, s[6:7]
.LBB113_335:
	s_or_b64 exec, exec, s[12:13]
	v_mov_b32_e32 v106, 0
	ds_read_b64 v[106:107], v106 offset:120
	s_waitcnt lgkmcnt(0)
	v_mul_f64 v[101:102], v[101:102], v[106:107]
	buffer_store_dword v102, off, s[0:3], 0 offset:124
	buffer_store_dword v101, off, s[0:3], 0 offset:120
.LBB113_336:
	s_or_b64 exec, exec, s[8:9]
	buffer_load_dword v101, off, s[0:3], 0 offset:112
	buffer_load_dword v102, off, s[0:3], 0 offset:116
	v_cmp_lt_u32_e64 s[6:7], 14, v0
	s_waitcnt vmcnt(0)
	ds_write_b64 v104, v[101:102]
	s_waitcnt lgkmcnt(0)
	; wave barrier
	s_and_saveexec_b64 s[8:9], s[6:7]
	s_cbranch_execz .LBB113_346
; %bb.337:
	s_andn2_b64 vcc, exec, s[10:11]
	s_cbranch_vccnz .LBB113_339
; %bb.338:
	buffer_load_dword v101, v105, s[0:3], 0 offen
	buffer_load_dword v102, v105, s[0:3], 0 offen offset:4
	ds_read_b64 v[106:107], v104
	s_waitcnt vmcnt(0) lgkmcnt(0)
	v_mul_f64 v[101:102], v[101:102], v[106:107]
	s_cbranch_execz .LBB113_340
	s_branch .LBB113_341
.LBB113_339:
                                        ; implicit-def: $vgpr101_vgpr102
.LBB113_340:
	ds_read_b64 v[101:102], v104
.LBB113_341:
	s_and_saveexec_b64 s[12:13], s[4:5]
	s_cbranch_execz .LBB113_345
; %bb.342:
	v_add_u32_e32 v106, -15, v0
	s_movk_i32 s29, 0x208
	s_mov_b64 s[4:5], 0
.LBB113_343:                            ; =>This Inner Loop Header: Depth=1
	v_mov_b32_e32 v109, s28
	buffer_load_dword v107, v109, s[0:3], 0 offen
	buffer_load_dword v108, v109, s[0:3], 0 offen offset:4
	v_mov_b32_e32 v109, s29
	ds_read_b64 v[109:110], v109
	v_add_u32_e32 v106, -1, v106
	s_add_i32 s29, s29, 8
	s_add_i32 s28, s28, 8
	v_cmp_eq_u32_e32 vcc, 0, v106
	s_or_b64 s[4:5], vcc, s[4:5]
	s_waitcnt vmcnt(0) lgkmcnt(0)
	v_fma_f64 v[101:102], v[107:108], v[109:110], v[101:102]
	s_andn2_b64 exec, exec, s[4:5]
	s_cbranch_execnz .LBB113_343
; %bb.344:
	s_or_b64 exec, exec, s[4:5]
.LBB113_345:
	s_or_b64 exec, exec, s[12:13]
	v_mov_b32_e32 v106, 0
	ds_read_b64 v[106:107], v106 offset:112
	s_waitcnt lgkmcnt(0)
	v_mul_f64 v[101:102], v[101:102], v[106:107]
	buffer_store_dword v102, off, s[0:3], 0 offset:116
	buffer_store_dword v101, off, s[0:3], 0 offset:112
.LBB113_346:
	;; [unrolled: 58-line block ×15, first 2 shown]
	s_or_b64 exec, exec, s[8:9]
	buffer_load_dword v101, off, s[0:3], 0
	buffer_load_dword v102, off, s[0:3], 0 offset:4
	v_cmp_ne_u32_e32 vcc, 0, v0
	s_waitcnt vmcnt(0)
	ds_write_b64 v104, v[101:102]
	s_waitcnt lgkmcnt(0)
	; wave barrier
	s_and_saveexec_b64 s[6:7], vcc
	s_cbranch_execz .LBB113_486
; %bb.477:
	s_andn2_b64 vcc, exec, s[10:11]
	s_cbranch_vccnz .LBB113_479
; %bb.478:
	buffer_load_dword v101, v105, s[0:3], 0 offen
	buffer_load_dword v102, v105, s[0:3], 0 offen offset:4
	ds_read_b64 v[106:107], v104
	s_waitcnt vmcnt(0) lgkmcnt(0)
	v_mul_f64 v[101:102], v[101:102], v[106:107]
	s_cbranch_execz .LBB113_480
	s_branch .LBB113_481
.LBB113_479:
                                        ; implicit-def: $vgpr101_vgpr102
.LBB113_480:
	ds_read_b64 v[101:102], v104
.LBB113_481:
	s_and_saveexec_b64 s[8:9], s[4:5]
	s_cbranch_execz .LBB113_485
; %bb.482:
	v_add_u32_e32 v106, -1, v0
	s_movk_i32 s12, 0x198
	s_mov_b64 s[4:5], 0
.LBB113_483:                            ; =>This Inner Loop Header: Depth=1
	v_mov_b32_e32 v109, s14
	buffer_load_dword v107, v109, s[0:3], 0 offen
	buffer_load_dword v108, v109, s[0:3], 0 offen offset:4
	v_mov_b32_e32 v109, s12
	ds_read_b64 v[109:110], v109
	v_add_u32_e32 v106, -1, v106
	s_add_i32 s12, s12, 8
	s_add_i32 s14, s14, 8
	v_cmp_eq_u32_e32 vcc, 0, v106
	s_or_b64 s[4:5], vcc, s[4:5]
	s_waitcnt vmcnt(0) lgkmcnt(0)
	v_fma_f64 v[101:102], v[107:108], v[109:110], v[101:102]
	s_andn2_b64 exec, exec, s[4:5]
	s_cbranch_execnz .LBB113_483
; %bb.484:
	s_or_b64 exec, exec, s[4:5]
.LBB113_485:
	s_or_b64 exec, exec, s[8:9]
	v_mov_b32_e32 v106, 0
	ds_read_b64 v[106:107], v106
	s_waitcnt lgkmcnt(0)
	v_mul_f64 v[101:102], v[101:102], v[106:107]
	buffer_store_dword v102, off, s[0:3], 0 offset:4
	buffer_store_dword v101, off, s[0:3], 0
.LBB113_486:
	s_or_b64 exec, exec, s[6:7]
	s_mov_b64 s[4:5], 0
.LBB113_487:
	s_and_b64 vcc, exec, s[4:5]
	s_cbranch_vccz .LBB113_969
; %bb.488:
	buffer_load_dword v101, off, s[0:3], 0 offset:8
	buffer_load_dword v102, off, s[0:3], 0 offset:12
	v_cmp_eq_u32_e64 s[6:7], 0, v0
	s_waitcnt vmcnt(0)
	ds_write_b64 v104, v[101:102]
	s_waitcnt lgkmcnt(0)
	; wave barrier
	s_and_saveexec_b64 s[4:5], s[6:7]
	s_cbranch_execz .LBB113_494
; %bb.489:
	s_and_b64 vcc, exec, s[10:11]
	s_cbranch_vccz .LBB113_491
; %bb.490:
	buffer_load_dword v101, v105, s[0:3], 0 offen
	buffer_load_dword v102, v105, s[0:3], 0 offen offset:4
	ds_read_b64 v[106:107], v104
	s_waitcnt vmcnt(0) lgkmcnt(0)
	v_mul_f64 v[101:102], v[101:102], v[106:107]
	s_cbranch_execz .LBB113_492
	s_branch .LBB113_493
.LBB113_491:
                                        ; implicit-def: $vgpr101_vgpr102
.LBB113_492:
	ds_read_b64 v[101:102], v104
.LBB113_493:
	v_mov_b32_e32 v106, 0
	ds_read_b64 v[106:107], v106 offset:8
	s_waitcnt lgkmcnt(0)
	v_mul_f64 v[101:102], v[101:102], v[106:107]
	buffer_store_dword v102, off, s[0:3], 0 offset:12
	buffer_store_dword v101, off, s[0:3], 0 offset:8
.LBB113_494:
	s_or_b64 exec, exec, s[4:5]
	buffer_load_dword v101, off, s[0:3], 0 offset:16
	buffer_load_dword v102, off, s[0:3], 0 offset:20
	v_cndmask_b32_e64 v106, 0, 1, s[10:11]
	v_cmp_gt_u32_e32 vcc, 2, v0
	v_cmp_ne_u32_e64 s[4:5], 1, v106
	s_waitcnt vmcnt(0)
	ds_write_b64 v104, v[101:102]
	s_waitcnt lgkmcnt(0)
	; wave barrier
	s_and_saveexec_b64 s[8:9], vcc
	s_cbranch_execz .LBB113_500
; %bb.495:
	s_and_b64 vcc, exec, s[4:5]
	s_cbranch_vccnz .LBB113_497
; %bb.496:
	buffer_load_dword v101, v105, s[0:3], 0 offen
	buffer_load_dword v102, v105, s[0:3], 0 offen offset:4
	ds_read_b64 v[106:107], v104
	s_waitcnt vmcnt(0) lgkmcnt(0)
	v_mul_f64 v[101:102], v[101:102], v[106:107]
	s_cbranch_execz .LBB113_498
	s_branch .LBB113_499
.LBB113_497:
                                        ; implicit-def: $vgpr101_vgpr102
.LBB113_498:
	ds_read_b64 v[101:102], v104
.LBB113_499:
	buffer_load_dword v110, off, s[0:3], 0 offset:8
	buffer_load_dword v111, off, s[0:3], 0 offset:12
	v_mov_b32_e32 v106, 0
	ds_read2_b64 v[106:109], v106 offset0:2 offset1:51
	s_waitcnt vmcnt(0) lgkmcnt(0)
	v_fma_f64 v[108:109], v[110:111], v[108:109], v[101:102]
	v_cndmask_b32_e64 v102, v102, v109, s[6:7]
	v_cndmask_b32_e64 v101, v101, v108, s[6:7]
	v_mul_f64 v[101:102], v[101:102], v[106:107]
	buffer_store_dword v102, off, s[0:3], 0 offset:20
	buffer_store_dword v101, off, s[0:3], 0 offset:16
.LBB113_500:
	s_or_b64 exec, exec, s[8:9]
	buffer_load_dword v101, off, s[0:3], 0 offset:24
	buffer_load_dword v102, off, s[0:3], 0 offset:28
	v_cmp_gt_u32_e32 vcc, 3, v0
	s_waitcnt vmcnt(0)
	ds_write_b64 v104, v[101:102]
	s_waitcnt lgkmcnt(0)
	; wave barrier
	s_and_saveexec_b64 s[8:9], vcc
	s_cbranch_execz .LBB113_508
; %bb.501:
	s_and_b64 vcc, exec, s[4:5]
	s_cbranch_vccnz .LBB113_503
; %bb.502:
	buffer_load_dword v101, v105, s[0:3], 0 offen
	buffer_load_dword v102, v105, s[0:3], 0 offen offset:4
	ds_read_b64 v[106:107], v104
	s_waitcnt vmcnt(0) lgkmcnt(0)
	v_mul_f64 v[101:102], v[101:102], v[106:107]
	s_cbranch_execz .LBB113_504
	s_branch .LBB113_505
.LBB113_503:
                                        ; implicit-def: $vgpr101_vgpr102
.LBB113_504:
	ds_read_b64 v[101:102], v104
.LBB113_505:
	v_cmp_ne_u32_e32 vcc, 2, v0
	s_and_saveexec_b64 s[10:11], vcc
	s_cbranch_execz .LBB113_507
; %bb.506:
	buffer_load_dword v106, v105, s[0:3], 0 offen offset:8
	buffer_load_dword v107, v105, s[0:3], 0 offen offset:12
	buffer_load_dword v108, off, s[0:3], 0 offset:16
	buffer_load_dword v109, off, s[0:3], 0 offset:20
	ds_read_b64 v[110:111], v104 offset:8
	v_mov_b32_e32 v112, 0
	ds_read_b64 v[112:113], v112 offset:416
	s_waitcnt vmcnt(2) lgkmcnt(1)
	v_fma_f64 v[101:102], v[106:107], v[110:111], v[101:102]
	s_waitcnt vmcnt(0) lgkmcnt(0)
	v_fma_f64 v[106:107], v[108:109], v[112:113], v[101:102]
	v_cndmask_b32_e64 v102, v102, v107, s[6:7]
	v_cndmask_b32_e64 v101, v101, v106, s[6:7]
.LBB113_507:
	s_or_b64 exec, exec, s[10:11]
	v_mov_b32_e32 v106, 0
	ds_read_b64 v[106:107], v106 offset:24
	s_waitcnt lgkmcnt(0)
	v_mul_f64 v[101:102], v[101:102], v[106:107]
	buffer_store_dword v102, off, s[0:3], 0 offset:28
	buffer_store_dword v101, off, s[0:3], 0 offset:24
.LBB113_508:
	s_or_b64 exec, exec, s[8:9]
	buffer_load_dword v101, off, s[0:3], 0 offset:32
	buffer_load_dword v102, off, s[0:3], 0 offset:36
	v_cmp_gt_u32_e32 vcc, 4, v0
	s_waitcnt vmcnt(0)
	ds_write_b64 v104, v[101:102]
	s_waitcnt lgkmcnt(0)
	; wave barrier
	s_and_saveexec_b64 s[6:7], vcc
	s_cbranch_execz .LBB113_518
; %bb.509:
	s_and_b64 vcc, exec, s[4:5]
	s_cbranch_vccnz .LBB113_511
; %bb.510:
	buffer_load_dword v101, v105, s[0:3], 0 offen
	buffer_load_dword v102, v105, s[0:3], 0 offen offset:4
	ds_read_b64 v[106:107], v104
	s_waitcnt vmcnt(0) lgkmcnt(0)
	v_mul_f64 v[101:102], v[101:102], v[106:107]
	s_cbranch_execz .LBB113_512
	s_branch .LBB113_513
.LBB113_511:
                                        ; implicit-def: $vgpr101_vgpr102
.LBB113_512:
	ds_read_b64 v[101:102], v104
.LBB113_513:
	v_cmp_ne_u32_e32 vcc, 3, v0
	s_and_saveexec_b64 s[8:9], vcc
	s_cbranch_execz .LBB113_517
; %bb.514:
	s_mov_b32 s10, 0
	v_add_u32_e32 v106, 0x198, v103
	v_add3_u32 v107, v103, s10, 8
	s_mov_b64 s[10:11], 0
	v_mov_b32_e32 v108, v0
.LBB113_515:                            ; =>This Inner Loop Header: Depth=1
	buffer_load_dword v109, v107, s[0:3], 0 offen
	buffer_load_dword v110, v107, s[0:3], 0 offen offset:4
	ds_read_b64 v[111:112], v106
	v_add_u32_e32 v108, 1, v108
	v_cmp_lt_u32_e32 vcc, 2, v108
	v_add_u32_e32 v106, 8, v106
	s_or_b64 s[10:11], vcc, s[10:11]
	v_add_u32_e32 v107, 8, v107
	s_waitcnt vmcnt(0) lgkmcnt(0)
	v_fma_f64 v[101:102], v[109:110], v[111:112], v[101:102]
	s_andn2_b64 exec, exec, s[10:11]
	s_cbranch_execnz .LBB113_515
; %bb.516:
	s_or_b64 exec, exec, s[10:11]
.LBB113_517:
	s_or_b64 exec, exec, s[8:9]
	v_mov_b32_e32 v106, 0
	ds_read_b64 v[106:107], v106 offset:32
	s_waitcnt lgkmcnt(0)
	v_mul_f64 v[101:102], v[101:102], v[106:107]
	buffer_store_dword v102, off, s[0:3], 0 offset:36
	buffer_store_dword v101, off, s[0:3], 0 offset:32
.LBB113_518:
	s_or_b64 exec, exec, s[6:7]
	buffer_load_dword v101, off, s[0:3], 0 offset:40
	buffer_load_dword v102, off, s[0:3], 0 offset:44
	v_cmp_gt_u32_e32 vcc, 5, v0
	s_waitcnt vmcnt(0)
	ds_write_b64 v104, v[101:102]
	s_waitcnt lgkmcnt(0)
	; wave barrier
	s_and_saveexec_b64 s[6:7], vcc
	s_cbranch_execz .LBB113_528
; %bb.519:
	s_and_b64 vcc, exec, s[4:5]
	s_cbranch_vccnz .LBB113_521
; %bb.520:
	buffer_load_dword v101, v105, s[0:3], 0 offen
	buffer_load_dword v102, v105, s[0:3], 0 offen offset:4
	ds_read_b64 v[106:107], v104
	s_waitcnt vmcnt(0) lgkmcnt(0)
	v_mul_f64 v[101:102], v[101:102], v[106:107]
	s_cbranch_execz .LBB113_522
	s_branch .LBB113_523
.LBB113_521:
                                        ; implicit-def: $vgpr101_vgpr102
.LBB113_522:
	ds_read_b64 v[101:102], v104
.LBB113_523:
	v_cmp_ne_u32_e32 vcc, 4, v0
	s_and_saveexec_b64 s[8:9], vcc
	s_cbranch_execz .LBB113_527
; %bb.524:
	s_mov_b32 s10, 0
	v_add_u32_e32 v106, 0x198, v103
	v_add3_u32 v107, v103, s10, 8
	s_mov_b64 s[10:11], 0
	v_mov_b32_e32 v108, v0
.LBB113_525:                            ; =>This Inner Loop Header: Depth=1
	buffer_load_dword v109, v107, s[0:3], 0 offen
	buffer_load_dword v110, v107, s[0:3], 0 offen offset:4
	ds_read_b64 v[111:112], v106
	v_add_u32_e32 v108, 1, v108
	v_cmp_lt_u32_e32 vcc, 3, v108
	v_add_u32_e32 v106, 8, v106
	s_or_b64 s[10:11], vcc, s[10:11]
	v_add_u32_e32 v107, 8, v107
	s_waitcnt vmcnt(0) lgkmcnt(0)
	v_fma_f64 v[101:102], v[109:110], v[111:112], v[101:102]
	s_andn2_b64 exec, exec, s[10:11]
	s_cbranch_execnz .LBB113_525
; %bb.526:
	s_or_b64 exec, exec, s[10:11]
.LBB113_527:
	s_or_b64 exec, exec, s[8:9]
	v_mov_b32_e32 v106, 0
	ds_read_b64 v[106:107], v106 offset:40
	s_waitcnt lgkmcnt(0)
	v_mul_f64 v[101:102], v[101:102], v[106:107]
	buffer_store_dword v102, off, s[0:3], 0 offset:44
	buffer_store_dword v101, off, s[0:3], 0 offset:40
.LBB113_528:
	;; [unrolled: 59-line block ×44, first 2 shown]
	s_or_b64 exec, exec, s[6:7]
	buffer_load_dword v101, off, s[0:3], 0 offset:384
	buffer_load_dword v102, off, s[0:3], 0 offset:388
	v_cmp_gt_u32_e64 s[6:7], 48, v0
	s_waitcnt vmcnt(0)
	ds_write_b64 v104, v[101:102]
	s_waitcnt lgkmcnt(0)
	; wave barrier
	s_and_saveexec_b64 s[8:9], s[6:7]
	s_cbranch_execz .LBB113_958
; %bb.949:
	s_and_b64 vcc, exec, s[4:5]
	s_cbranch_vccnz .LBB113_951
; %bb.950:
	buffer_load_dword v101, v105, s[0:3], 0 offen
	buffer_load_dword v102, v105, s[0:3], 0 offen offset:4
	ds_read_b64 v[106:107], v104
	s_waitcnt vmcnt(0) lgkmcnt(0)
	v_mul_f64 v[101:102], v[101:102], v[106:107]
	s_cbranch_execz .LBB113_952
	s_branch .LBB113_953
.LBB113_951:
                                        ; implicit-def: $vgpr101_vgpr102
.LBB113_952:
	ds_read_b64 v[101:102], v104
.LBB113_953:
	v_cmp_ne_u32_e32 vcc, 47, v0
	s_and_saveexec_b64 s[10:11], vcc
	s_cbranch_execz .LBB113_957
; %bb.954:
	s_mov_b32 s12, 0
	v_add_u32_e32 v106, 0x198, v103
	v_add3_u32 v107, v103, s12, 8
	s_mov_b64 s[12:13], 0
	v_mov_b32_e32 v108, v0
.LBB113_955:                            ; =>This Inner Loop Header: Depth=1
	buffer_load_dword v109, v107, s[0:3], 0 offen
	buffer_load_dword v110, v107, s[0:3], 0 offen offset:4
	ds_read_b64 v[111:112], v106
	v_add_u32_e32 v108, 1, v108
	v_cmp_lt_u32_e32 vcc, 46, v108
	v_add_u32_e32 v106, 8, v106
	s_or_b64 s[12:13], vcc, s[12:13]
	v_add_u32_e32 v107, 8, v107
	s_waitcnt vmcnt(0) lgkmcnt(0)
	v_fma_f64 v[101:102], v[109:110], v[111:112], v[101:102]
	s_andn2_b64 exec, exec, s[12:13]
	s_cbranch_execnz .LBB113_955
; %bb.956:
	s_or_b64 exec, exec, s[12:13]
.LBB113_957:
	s_or_b64 exec, exec, s[10:11]
	v_mov_b32_e32 v106, 0
	ds_read_b64 v[106:107], v106 offset:384
	s_waitcnt lgkmcnt(0)
	v_mul_f64 v[101:102], v[101:102], v[106:107]
	buffer_store_dword v102, off, s[0:3], 0 offset:388
	buffer_store_dword v101, off, s[0:3], 0 offset:384
.LBB113_958:
	s_or_b64 exec, exec, s[8:9]
	buffer_load_dword v101, off, s[0:3], 0 offset:392
	buffer_load_dword v102, off, s[0:3], 0 offset:396
	v_cmp_ne_u32_e32 vcc, 49, v0
	s_waitcnt vmcnt(0)
	ds_write_b64 v104, v[101:102]
	s_waitcnt lgkmcnt(0)
	; wave barrier
	s_and_saveexec_b64 s[8:9], vcc
	s_cbranch_execz .LBB113_968
; %bb.959:
	s_and_b64 vcc, exec, s[4:5]
	s_cbranch_vccnz .LBB113_961
; %bb.960:
	buffer_load_dword v101, v105, s[0:3], 0 offen
	buffer_load_dword v102, v105, s[0:3], 0 offen offset:4
	ds_read_b64 v[105:106], v104
	s_waitcnt vmcnt(0) lgkmcnt(0)
	v_mul_f64 v[101:102], v[101:102], v[105:106]
	s_cbranch_execz .LBB113_962
	s_branch .LBB113_963
.LBB113_961:
                                        ; implicit-def: $vgpr101_vgpr102
.LBB113_962:
	ds_read_b64 v[101:102], v104
.LBB113_963:
	s_and_saveexec_b64 s[4:5], s[6:7]
	s_cbranch_execz .LBB113_967
; %bb.964:
	s_mov_b32 s6, 0
	v_add_u32_e32 v104, 0x198, v103
	v_add3_u32 v103, v103, s6, 8
	s_mov_b64 s[6:7], 0
.LBB113_965:                            ; =>This Inner Loop Header: Depth=1
	buffer_load_dword v105, v103, s[0:3], 0 offen
	buffer_load_dword v106, v103, s[0:3], 0 offen offset:4
	ds_read_b64 v[107:108], v104
	v_add_u32_e32 v0, 1, v0
	v_cmp_lt_u32_e32 vcc, 47, v0
	v_add_u32_e32 v104, 8, v104
	s_or_b64 s[6:7], vcc, s[6:7]
	v_add_u32_e32 v103, 8, v103
	s_waitcnt vmcnt(0) lgkmcnt(0)
	v_fma_f64 v[101:102], v[105:106], v[107:108], v[101:102]
	s_andn2_b64 exec, exec, s[6:7]
	s_cbranch_execnz .LBB113_965
; %bb.966:
	s_or_b64 exec, exec, s[6:7]
.LBB113_967:
	s_or_b64 exec, exec, s[4:5]
	v_mov_b32_e32 v0, 0
	ds_read_b64 v[103:104], v0 offset:392
	s_waitcnt lgkmcnt(0)
	v_mul_f64 v[101:102], v[101:102], v[103:104]
	buffer_store_dword v102, off, s[0:3], 0 offset:396
	buffer_store_dword v101, off, s[0:3], 0 offset:392
.LBB113_968:
	s_or_b64 exec, exec, s[8:9]
.LBB113_969:
	buffer_load_dword v101, off, s[0:3], 0
	buffer_load_dword v102, off, s[0:3], 0 offset:4
	s_waitcnt vmcnt(0)
	flat_store_dwordx2 v[1:2], v[101:102]
	buffer_load_dword v0, off, s[0:3], 0 offset:8
	s_nop 0
	buffer_load_dword v1, off, s[0:3], 0 offset:12
	s_waitcnt vmcnt(0)
	flat_store_dwordx2 v[3:4], v[0:1]
	buffer_load_dword v0, off, s[0:3], 0 offset:16
	s_nop 0
	buffer_load_dword v1, off, s[0:3], 0 offset:20
	s_waitcnt vmcnt(0)
	flat_store_dwordx2 v[5:6], v[0:1]
	buffer_load_dword v0, off, s[0:3], 0 offset:24
	s_nop 0
	buffer_load_dword v1, off, s[0:3], 0 offset:28
	s_waitcnt vmcnt(0)
	flat_store_dwordx2 v[7:8], v[0:1]
	buffer_load_dword v0, off, s[0:3], 0 offset:32
	s_nop 0
	buffer_load_dword v1, off, s[0:3], 0 offset:36
	s_waitcnt vmcnt(0)
	flat_store_dwordx2 v[9:10], v[0:1]
	buffer_load_dword v0, off, s[0:3], 0 offset:40
	s_nop 0
	buffer_load_dword v1, off, s[0:3], 0 offset:44
	s_waitcnt vmcnt(0)
	flat_store_dwordx2 v[11:12], v[0:1]
	buffer_load_dword v0, off, s[0:3], 0 offset:48
	s_nop 0
	buffer_load_dword v1, off, s[0:3], 0 offset:52
	s_waitcnt vmcnt(0)
	flat_store_dwordx2 v[13:14], v[0:1]
	buffer_load_dword v0, off, s[0:3], 0 offset:56
	s_nop 0
	buffer_load_dword v1, off, s[0:3], 0 offset:60
	s_waitcnt vmcnt(0)
	flat_store_dwordx2 v[15:16], v[0:1]
	buffer_load_dword v0, off, s[0:3], 0 offset:64
	s_nop 0
	buffer_load_dword v1, off, s[0:3], 0 offset:68
	s_waitcnt vmcnt(0)
	flat_store_dwordx2 v[17:18], v[0:1]
	buffer_load_dword v0, off, s[0:3], 0 offset:72
	s_nop 0
	buffer_load_dword v1, off, s[0:3], 0 offset:76
	s_waitcnt vmcnt(0)
	flat_store_dwordx2 v[19:20], v[0:1]
	buffer_load_dword v0, off, s[0:3], 0 offset:80
	s_nop 0
	buffer_load_dword v1, off, s[0:3], 0 offset:84
	s_waitcnt vmcnt(0)
	flat_store_dwordx2 v[21:22], v[0:1]
	buffer_load_dword v0, off, s[0:3], 0 offset:88
	s_nop 0
	buffer_load_dword v1, off, s[0:3], 0 offset:92
	s_waitcnt vmcnt(0)
	flat_store_dwordx2 v[23:24], v[0:1]
	buffer_load_dword v0, off, s[0:3], 0 offset:96
	s_nop 0
	buffer_load_dword v1, off, s[0:3], 0 offset:100
	s_waitcnt vmcnt(0)
	flat_store_dwordx2 v[25:26], v[0:1]
	buffer_load_dword v0, off, s[0:3], 0 offset:104
	s_nop 0
	buffer_load_dword v1, off, s[0:3], 0 offset:108
	s_waitcnt vmcnt(0)
	flat_store_dwordx2 v[27:28], v[0:1]
	buffer_load_dword v0, off, s[0:3], 0 offset:112
	s_nop 0
	buffer_load_dword v1, off, s[0:3], 0 offset:116
	s_waitcnt vmcnt(0)
	flat_store_dwordx2 v[29:30], v[0:1]
	buffer_load_dword v0, off, s[0:3], 0 offset:120
	s_nop 0
	buffer_load_dword v1, off, s[0:3], 0 offset:124
	s_waitcnt vmcnt(0)
	flat_store_dwordx2 v[31:32], v[0:1]
	buffer_load_dword v0, off, s[0:3], 0 offset:128
	s_nop 0
	buffer_load_dword v1, off, s[0:3], 0 offset:132
	s_waitcnt vmcnt(0)
	flat_store_dwordx2 v[33:34], v[0:1]
	buffer_load_dword v0, off, s[0:3], 0 offset:136
	s_nop 0
	buffer_load_dword v1, off, s[0:3], 0 offset:140
	s_waitcnt vmcnt(0)
	flat_store_dwordx2 v[35:36], v[0:1]
	buffer_load_dword v0, off, s[0:3], 0 offset:144
	s_nop 0
	buffer_load_dword v1, off, s[0:3], 0 offset:148
	s_waitcnt vmcnt(0)
	flat_store_dwordx2 v[37:38], v[0:1]
	buffer_load_dword v0, off, s[0:3], 0 offset:152
	s_nop 0
	buffer_load_dword v1, off, s[0:3], 0 offset:156
	s_waitcnt vmcnt(0)
	flat_store_dwordx2 v[39:40], v[0:1]
	buffer_load_dword v0, off, s[0:3], 0 offset:160
	s_nop 0
	buffer_load_dword v1, off, s[0:3], 0 offset:164
	s_waitcnt vmcnt(0)
	flat_store_dwordx2 v[41:42], v[0:1]
	buffer_load_dword v0, off, s[0:3], 0 offset:168
	s_nop 0
	buffer_load_dword v1, off, s[0:3], 0 offset:172
	s_waitcnt vmcnt(0)
	flat_store_dwordx2 v[43:44], v[0:1]
	buffer_load_dword v0, off, s[0:3], 0 offset:176
	s_nop 0
	buffer_load_dword v1, off, s[0:3], 0 offset:180
	s_waitcnt vmcnt(0)
	flat_store_dwordx2 v[45:46], v[0:1]
	buffer_load_dword v0, off, s[0:3], 0 offset:184
	s_nop 0
	buffer_load_dword v1, off, s[0:3], 0 offset:188
	s_waitcnt vmcnt(0)
	flat_store_dwordx2 v[47:48], v[0:1]
	buffer_load_dword v0, off, s[0:3], 0 offset:192
	s_nop 0
	buffer_load_dword v1, off, s[0:3], 0 offset:196
	s_waitcnt vmcnt(0)
	flat_store_dwordx2 v[49:50], v[0:1]
	buffer_load_dword v0, off, s[0:3], 0 offset:200
	s_nop 0
	buffer_load_dword v1, off, s[0:3], 0 offset:204
	s_waitcnt vmcnt(0)
	flat_store_dwordx2 v[51:52], v[0:1]
	buffer_load_dword v0, off, s[0:3], 0 offset:208
	s_nop 0
	buffer_load_dword v1, off, s[0:3], 0 offset:212
	s_waitcnt vmcnt(0)
	flat_store_dwordx2 v[53:54], v[0:1]
	buffer_load_dword v0, off, s[0:3], 0 offset:216
	s_nop 0
	buffer_load_dword v1, off, s[0:3], 0 offset:220
	s_waitcnt vmcnt(0)
	flat_store_dwordx2 v[55:56], v[0:1]
	buffer_load_dword v0, off, s[0:3], 0 offset:224
	s_nop 0
	buffer_load_dword v1, off, s[0:3], 0 offset:228
	s_waitcnt vmcnt(0)
	flat_store_dwordx2 v[57:58], v[0:1]
	buffer_load_dword v0, off, s[0:3], 0 offset:232
	s_nop 0
	buffer_load_dword v1, off, s[0:3], 0 offset:236
	s_waitcnt vmcnt(0)
	flat_store_dwordx2 v[59:60], v[0:1]
	buffer_load_dword v0, off, s[0:3], 0 offset:240
	s_nop 0
	buffer_load_dword v1, off, s[0:3], 0 offset:244
	s_waitcnt vmcnt(0)
	flat_store_dwordx2 v[61:62], v[0:1]
	buffer_load_dword v0, off, s[0:3], 0 offset:248
	s_nop 0
	buffer_load_dword v1, off, s[0:3], 0 offset:252
	s_waitcnt vmcnt(0)
	flat_store_dwordx2 v[63:64], v[0:1]
	buffer_load_dword v0, off, s[0:3], 0 offset:256
	s_nop 0
	buffer_load_dword v1, off, s[0:3], 0 offset:260
	s_waitcnt vmcnt(0)
	flat_store_dwordx2 v[65:66], v[0:1]
	buffer_load_dword v0, off, s[0:3], 0 offset:264
	s_nop 0
	buffer_load_dword v1, off, s[0:3], 0 offset:268
	s_waitcnt vmcnt(0)
	flat_store_dwordx2 v[67:68], v[0:1]
	buffer_load_dword v0, off, s[0:3], 0 offset:272
	s_nop 0
	buffer_load_dword v1, off, s[0:3], 0 offset:276
	s_waitcnt vmcnt(0)
	flat_store_dwordx2 v[69:70], v[0:1]
	buffer_load_dword v0, off, s[0:3], 0 offset:280
	s_nop 0
	buffer_load_dword v1, off, s[0:3], 0 offset:284
	s_waitcnt vmcnt(0)
	flat_store_dwordx2 v[71:72], v[0:1]
	buffer_load_dword v0, off, s[0:3], 0 offset:288
	s_nop 0
	buffer_load_dword v1, off, s[0:3], 0 offset:292
	s_waitcnt vmcnt(0)
	flat_store_dwordx2 v[73:74], v[0:1]
	buffer_load_dword v0, off, s[0:3], 0 offset:296
	s_nop 0
	buffer_load_dword v1, off, s[0:3], 0 offset:300
	s_waitcnt vmcnt(0)
	flat_store_dwordx2 v[75:76], v[0:1]
	buffer_load_dword v0, off, s[0:3], 0 offset:304
	s_nop 0
	buffer_load_dword v1, off, s[0:3], 0 offset:308
	s_waitcnt vmcnt(0)
	flat_store_dwordx2 v[77:78], v[0:1]
	buffer_load_dword v0, off, s[0:3], 0 offset:312
	s_nop 0
	buffer_load_dword v1, off, s[0:3], 0 offset:316
	s_waitcnt vmcnt(0)
	flat_store_dwordx2 v[79:80], v[0:1]
	buffer_load_dword v0, off, s[0:3], 0 offset:320
	s_nop 0
	buffer_load_dword v1, off, s[0:3], 0 offset:324
	s_waitcnt vmcnt(0)
	flat_store_dwordx2 v[81:82], v[0:1]
	buffer_load_dword v0, off, s[0:3], 0 offset:328
	s_nop 0
	buffer_load_dword v1, off, s[0:3], 0 offset:332
	s_waitcnt vmcnt(0)
	flat_store_dwordx2 v[83:84], v[0:1]
	buffer_load_dword v0, off, s[0:3], 0 offset:336
	s_nop 0
	buffer_load_dword v1, off, s[0:3], 0 offset:340
	s_waitcnt vmcnt(0)
	flat_store_dwordx2 v[85:86], v[0:1]
	buffer_load_dword v0, off, s[0:3], 0 offset:344
	s_nop 0
	buffer_load_dword v1, off, s[0:3], 0 offset:348
	s_waitcnt vmcnt(0)
	flat_store_dwordx2 v[87:88], v[0:1]
	buffer_load_dword v0, off, s[0:3], 0 offset:352
	s_nop 0
	buffer_load_dword v1, off, s[0:3], 0 offset:356
	s_waitcnt vmcnt(0)
	flat_store_dwordx2 v[89:90], v[0:1]
	buffer_load_dword v0, off, s[0:3], 0 offset:360
	s_nop 0
	buffer_load_dword v1, off, s[0:3], 0 offset:364
	s_waitcnt vmcnt(0)
	flat_store_dwordx2 v[91:92], v[0:1]
	buffer_load_dword v0, off, s[0:3], 0 offset:368
	s_nop 0
	buffer_load_dword v1, off, s[0:3], 0 offset:372
	s_waitcnt vmcnt(0)
	flat_store_dwordx2 v[93:94], v[0:1]
	buffer_load_dword v0, off, s[0:3], 0 offset:376
	s_nop 0
	buffer_load_dword v1, off, s[0:3], 0 offset:380
	s_waitcnt vmcnt(0)
	flat_store_dwordx2 v[95:96], v[0:1]
	buffer_load_dword v0, off, s[0:3], 0 offset:384
	s_nop 0
	buffer_load_dword v1, off, s[0:3], 0 offset:388
	s_waitcnt vmcnt(0)
	flat_store_dwordx2 v[97:98], v[0:1]
	buffer_load_dword v0, off, s[0:3], 0 offset:392
	s_nop 0
	buffer_load_dword v1, off, s[0:3], 0 offset:396
	s_waitcnt vmcnt(0)
	flat_store_dwordx2 v[99:100], v[0:1]
.LBB113_970:
	s_endpgm
	.section	.rodata,"a",@progbits
	.p2align	6, 0x0
	.amdhsa_kernel _ZN9rocsolver6v33100L18trti2_kernel_smallILi50EdPKPdEEv13rocblas_fill_17rocblas_diagonal_T1_iil
		.amdhsa_group_segment_fixed_size 800
		.amdhsa_private_segment_fixed_size 416
		.amdhsa_kernarg_size 32
		.amdhsa_user_sgpr_count 6
		.amdhsa_user_sgpr_private_segment_buffer 1
		.amdhsa_user_sgpr_dispatch_ptr 0
		.amdhsa_user_sgpr_queue_ptr 0
		.amdhsa_user_sgpr_kernarg_segment_ptr 1
		.amdhsa_user_sgpr_dispatch_id 0
		.amdhsa_user_sgpr_flat_scratch_init 0
		.amdhsa_user_sgpr_private_segment_size 0
		.amdhsa_uses_dynamic_stack 0
		.amdhsa_system_sgpr_private_segment_wavefront_offset 1
		.amdhsa_system_sgpr_workgroup_id_x 1
		.amdhsa_system_sgpr_workgroup_id_y 0
		.amdhsa_system_sgpr_workgroup_id_z 0
		.amdhsa_system_sgpr_workgroup_info 0
		.amdhsa_system_vgpr_workitem_id 0
		.amdhsa_next_free_vgpr 114
		.amdhsa_next_free_sgpr 63
		.amdhsa_reserve_vcc 1
		.amdhsa_reserve_flat_scratch 0
		.amdhsa_float_round_mode_32 0
		.amdhsa_float_round_mode_16_64 0
		.amdhsa_float_denorm_mode_32 3
		.amdhsa_float_denorm_mode_16_64 3
		.amdhsa_dx10_clamp 1
		.amdhsa_ieee_mode 1
		.amdhsa_fp16_overflow 0
		.amdhsa_exception_fp_ieee_invalid_op 0
		.amdhsa_exception_fp_denorm_src 0
		.amdhsa_exception_fp_ieee_div_zero 0
		.amdhsa_exception_fp_ieee_overflow 0
		.amdhsa_exception_fp_ieee_underflow 0
		.amdhsa_exception_fp_ieee_inexact 0
		.amdhsa_exception_int_div_zero 0
	.end_amdhsa_kernel
	.section	.text._ZN9rocsolver6v33100L18trti2_kernel_smallILi50EdPKPdEEv13rocblas_fill_17rocblas_diagonal_T1_iil,"axG",@progbits,_ZN9rocsolver6v33100L18trti2_kernel_smallILi50EdPKPdEEv13rocblas_fill_17rocblas_diagonal_T1_iil,comdat
.Lfunc_end113:
	.size	_ZN9rocsolver6v33100L18trti2_kernel_smallILi50EdPKPdEEv13rocblas_fill_17rocblas_diagonal_T1_iil, .Lfunc_end113-_ZN9rocsolver6v33100L18trti2_kernel_smallILi50EdPKPdEEv13rocblas_fill_17rocblas_diagonal_T1_iil
                                        ; -- End function
	.set _ZN9rocsolver6v33100L18trti2_kernel_smallILi50EdPKPdEEv13rocblas_fill_17rocblas_diagonal_T1_iil.num_vgpr, 114
	.set _ZN9rocsolver6v33100L18trti2_kernel_smallILi50EdPKPdEEv13rocblas_fill_17rocblas_diagonal_T1_iil.num_agpr, 0
	.set _ZN9rocsolver6v33100L18trti2_kernel_smallILi50EdPKPdEEv13rocblas_fill_17rocblas_diagonal_T1_iil.numbered_sgpr, 63
	.set _ZN9rocsolver6v33100L18trti2_kernel_smallILi50EdPKPdEEv13rocblas_fill_17rocblas_diagonal_T1_iil.num_named_barrier, 0
	.set _ZN9rocsolver6v33100L18trti2_kernel_smallILi50EdPKPdEEv13rocblas_fill_17rocblas_diagonal_T1_iil.private_seg_size, 416
	.set _ZN9rocsolver6v33100L18trti2_kernel_smallILi50EdPKPdEEv13rocblas_fill_17rocblas_diagonal_T1_iil.uses_vcc, 1
	.set _ZN9rocsolver6v33100L18trti2_kernel_smallILi50EdPKPdEEv13rocblas_fill_17rocblas_diagonal_T1_iil.uses_flat_scratch, 0
	.set _ZN9rocsolver6v33100L18trti2_kernel_smallILi50EdPKPdEEv13rocblas_fill_17rocblas_diagonal_T1_iil.has_dyn_sized_stack, 0
	.set _ZN9rocsolver6v33100L18trti2_kernel_smallILi50EdPKPdEEv13rocblas_fill_17rocblas_diagonal_T1_iil.has_recursion, 0
	.set _ZN9rocsolver6v33100L18trti2_kernel_smallILi50EdPKPdEEv13rocblas_fill_17rocblas_diagonal_T1_iil.has_indirect_call, 0
	.section	.AMDGPU.csdata,"",@progbits
; Kernel info:
; codeLenInByte = 29680
; TotalNumSgprs: 67
; NumVgprs: 114
; ScratchSize: 416
; MemoryBound: 0
; FloatMode: 240
; IeeeMode: 1
; LDSByteSize: 800 bytes/workgroup (compile time only)
; SGPRBlocks: 8
; VGPRBlocks: 28
; NumSGPRsForWavesPerEU: 67
; NumVGPRsForWavesPerEU: 114
; Occupancy: 2
; WaveLimiterHint : 1
; COMPUTE_PGM_RSRC2:SCRATCH_EN: 1
; COMPUTE_PGM_RSRC2:USER_SGPR: 6
; COMPUTE_PGM_RSRC2:TRAP_HANDLER: 0
; COMPUTE_PGM_RSRC2:TGID_X_EN: 1
; COMPUTE_PGM_RSRC2:TGID_Y_EN: 0
; COMPUTE_PGM_RSRC2:TGID_Z_EN: 0
; COMPUTE_PGM_RSRC2:TIDIG_COMP_CNT: 0
	.section	.text._ZN9rocsolver6v33100L18trti2_kernel_smallILi51EdPKPdEEv13rocblas_fill_17rocblas_diagonal_T1_iil,"axG",@progbits,_ZN9rocsolver6v33100L18trti2_kernel_smallILi51EdPKPdEEv13rocblas_fill_17rocblas_diagonal_T1_iil,comdat
	.globl	_ZN9rocsolver6v33100L18trti2_kernel_smallILi51EdPKPdEEv13rocblas_fill_17rocblas_diagonal_T1_iil ; -- Begin function _ZN9rocsolver6v33100L18trti2_kernel_smallILi51EdPKPdEEv13rocblas_fill_17rocblas_diagonal_T1_iil
	.p2align	8
	.type	_ZN9rocsolver6v33100L18trti2_kernel_smallILi51EdPKPdEEv13rocblas_fill_17rocblas_diagonal_T1_iil,@function
_ZN9rocsolver6v33100L18trti2_kernel_smallILi51EdPKPdEEv13rocblas_fill_17rocblas_diagonal_T1_iil: ; @_ZN9rocsolver6v33100L18trti2_kernel_smallILi51EdPKPdEEv13rocblas_fill_17rocblas_diagonal_T1_iil
; %bb.0:
	s_add_u32 s0, s0, s7
	s_addc_u32 s1, s1, 0
	v_cmp_gt_u32_e32 vcc, 51, v0
	s_and_saveexec_b64 s[8:9], vcc
	s_cbranch_execz .LBB114_990
; %bb.1:
	s_load_dwordx2 s[12:13], s[4:5], 0x10
	s_load_dwordx4 s[8:11], s[4:5], 0x0
	s_ashr_i32 s7, s6, 31
	s_lshl_b64 s[6:7], s[6:7], 3
	v_lshlrev_b32_e32 v105, 3, v0
	s_waitcnt lgkmcnt(0)
	s_ashr_i32 s5, s12, 31
	s_add_u32 s6, s10, s6
	s_addc_u32 s7, s11, s7
	s_load_dwordx2 s[6:7], s[6:7], 0x0
	s_mov_b32 s4, s12
	s_lshl_b64 s[4:5], s[4:5], 3
	s_waitcnt lgkmcnt(0)
	s_add_u32 s4, s6, s4
	s_addc_u32 s5, s7, s5
	v_mov_b32_e32 v2, s5
	v_add_co_u32_e32 v1, vcc, s4, v105
	v_addc_co_u32_e32 v2, vcc, 0, v2, vcc
	flat_load_dwordx2 v[5:6], v[1:2]
	s_mov_b32 s6, s13
	s_ashr_i32 s7, s13, 31
	s_lshl_b64 s[6:7], s[6:7], 3
	v_mov_b32_e32 v4, s7
	v_add_co_u32_e32 v3, vcc, s6, v1
	v_addc_co_u32_e32 v4, vcc, v2, v4, vcc
	s_add_i32 s6, s13, s13
	v_add_u32_e32 v9, s6, v0
	v_ashrrev_i32_e32 v10, 31, v9
	v_mov_b32_e32 v11, s5
	v_add_u32_e32 v12, s13, v9
	v_ashrrev_i32_e32 v13, 31, v12
	v_mov_b32_e32 v14, s5
	v_mov_b32_e32 v15, s5
	;; [unrolled: 1-line block ×47, first 2 shown]
	s_cmpk_lg_i32 s9, 0x84
	s_cselect_b64 s[10:11], -1, 0
	s_cmpk_eq_i32 s9, 0x84
	s_waitcnt vmcnt(0) lgkmcnt(0)
	buffer_store_dword v6, off, s[0:3], 0 offset:4
	buffer_store_dword v5, off, s[0:3], 0
	flat_load_dwordx2 v[7:8], v[3:4]
	v_lshlrev_b64 v[5:6], 3, v[9:10]
	s_waitcnt vmcnt(0) lgkmcnt(0)
	buffer_store_dword v8, off, s[0:3], 0 offset:12
	buffer_store_dword v7, off, s[0:3], 0 offset:8
	v_add_co_u32_e32 v5, vcc, s4, v5
	v_addc_co_u32_e32 v6, vcc, v11, v6, vcc
	flat_load_dwordx2 v[10:11], v[5:6]
	v_lshlrev_b64 v[7:8], 3, v[12:13]
	s_waitcnt vmcnt(0) lgkmcnt(0)
	buffer_store_dword v11, off, s[0:3], 0 offset:20
	buffer_store_dword v10, off, s[0:3], 0 offset:16
	v_add_co_u32_e32 v7, vcc, s4, v7
	v_addc_co_u32_e32 v8, vcc, v14, v8, vcc
	flat_load_dwordx2 v[13:14], v[7:8]
	v_add_u32_e32 v11, s13, v12
	v_ashrrev_i32_e32 v12, 31, v11
	v_lshlrev_b64 v[9:10], 3, v[11:12]
	s_waitcnt vmcnt(0) lgkmcnt(0)
	buffer_store_dword v14, off, s[0:3], 0 offset:28
	buffer_store_dword v13, off, s[0:3], 0 offset:24
	v_add_co_u32_e32 v9, vcc, s4, v9
	v_addc_co_u32_e32 v10, vcc, v15, v10, vcc
	flat_load_dwordx2 v[13:14], v[9:10]
	v_add_u32_e32 v15, s13, v11
	v_ashrrev_i32_e32 v16, 31, v15
	v_lshlrev_b64 v[11:12], 3, v[15:16]
	v_add_u32_e32 v18, s13, v15
	v_add_co_u32_e32 v11, vcc, s4, v11
	v_addc_co_u32_e32 v12, vcc, v17, v12, vcc
	v_ashrrev_i32_e32 v19, 31, v18
	s_waitcnt vmcnt(0) lgkmcnt(0)
	buffer_store_dword v14, off, s[0:3], 0 offset:36
	buffer_store_dword v13, off, s[0:3], 0 offset:32
	flat_load_dwordx2 v[16:17], v[11:12]
	v_lshlrev_b64 v[13:14], 3, v[18:19]
	s_waitcnt vmcnt(0) lgkmcnt(0)
	buffer_store_dword v17, off, s[0:3], 0 offset:44
	buffer_store_dword v16, off, s[0:3], 0 offset:40
	v_add_co_u32_e32 v13, vcc, s4, v13
	v_addc_co_u32_e32 v14, vcc, v20, v14, vcc
	flat_load_dwordx2 v[19:20], v[13:14]
	v_add_u32_e32 v17, s13, v18
	v_ashrrev_i32_e32 v18, 31, v17
	v_lshlrev_b64 v[15:16], 3, v[17:18]
	s_waitcnt vmcnt(0) lgkmcnt(0)
	buffer_store_dword v20, off, s[0:3], 0 offset:52
	buffer_store_dword v19, off, s[0:3], 0 offset:48
	v_add_co_u32_e32 v15, vcc, s4, v15
	v_addc_co_u32_e32 v16, vcc, v21, v16, vcc
	flat_load_dwordx2 v[19:20], v[15:16]
	v_add_u32_e32 v21, s13, v17
	v_ashrrev_i32_e32 v22, 31, v21
	v_lshlrev_b64 v[17:18], 3, v[21:22]
	v_add_u32_e32 v24, s13, v21
	v_add_co_u32_e32 v17, vcc, s4, v17
	v_addc_co_u32_e32 v18, vcc, v23, v18, vcc
	v_ashrrev_i32_e32 v25, 31, v24
	s_waitcnt vmcnt(0) lgkmcnt(0)
	buffer_store_dword v20, off, s[0:3], 0 offset:60
	buffer_store_dword v19, off, s[0:3], 0 offset:56
	;; [unrolled: 27-line block ×7, first 2 shown]
	flat_load_dwordx2 v[52:53], v[47:48]
	v_lshlrev_b64 v[49:50], 3, v[54:55]
	s_waitcnt vmcnt(0) lgkmcnt(0)
	buffer_store_dword v53, off, s[0:3], 0 offset:188
	buffer_store_dword v52, off, s[0:3], 0 offset:184
	v_add_co_u32_e32 v49, vcc, s4, v49
	v_addc_co_u32_e32 v50, vcc, v56, v50, vcc
	flat_load_dwordx2 v[55:56], v[49:50]
	v_add_u32_e32 v53, s13, v54
	v_ashrrev_i32_e32 v54, 31, v53
	v_lshlrev_b64 v[51:52], 3, v[53:54]
	s_waitcnt vmcnt(0) lgkmcnt(0)
	buffer_store_dword v56, off, s[0:3], 0 offset:196
	buffer_store_dword v55, off, s[0:3], 0 offset:192
	v_add_co_u32_e32 v51, vcc, s4, v51
	v_addc_co_u32_e32 v52, vcc, v57, v52, vcc
	flat_load_dwordx2 v[55:56], v[51:52]
	v_add_u32_e32 v57, s13, v53
	v_ashrrev_i32_e32 v58, 31, v57
	v_lshlrev_b64 v[53:54], 3, v[57:58]
	v_add_u32_e32 v60, s13, v57
	v_add_co_u32_e32 v53, vcc, s4, v53
	v_addc_co_u32_e32 v54, vcc, v59, v54, vcc
	s_waitcnt vmcnt(0) lgkmcnt(0)
	buffer_store_dword v56, off, s[0:3], 0 offset:204
	buffer_store_dword v55, off, s[0:3], 0 offset:200
	flat_load_dwordx2 v[58:59], v[53:54]
	v_ashrrev_i32_e32 v61, 31, v60
	v_lshlrev_b64 v[55:56], 3, v[60:61]
	s_waitcnt vmcnt(0) lgkmcnt(0)
	buffer_store_dword v59, off, s[0:3], 0 offset:212
	buffer_store_dword v58, off, s[0:3], 0 offset:208
	v_add_co_u32_e32 v55, vcc, s4, v55
	v_addc_co_u32_e32 v56, vcc, v62, v56, vcc
	flat_load_dwordx2 v[61:62], v[55:56]
	v_add_u32_e32 v59, s13, v60
	v_ashrrev_i32_e32 v60, 31, v59
	v_lshlrev_b64 v[57:58], 3, v[59:60]
	s_waitcnt vmcnt(0) lgkmcnt(0)
	buffer_store_dword v62, off, s[0:3], 0 offset:220
	buffer_store_dword v61, off, s[0:3], 0 offset:216
	v_add_co_u32_e32 v57, vcc, s4, v57
	v_addc_co_u32_e32 v58, vcc, v63, v58, vcc
	flat_load_dwordx2 v[61:62], v[57:58]
	v_add_u32_e32 v63, s13, v59
	;; [unrolled: 9-line block ×23, first 2 shown]
	v_ashrrev_i32_e32 v102, 31, v101
	v_lshlrev_b64 v[101:102], 3, v[101:102]
	s_waitcnt vmcnt(0) lgkmcnt(0)
	buffer_store_dword v104, off, s[0:3], 0 offset:396
	buffer_store_dword v103, off, s[0:3], 0 offset:392
	v_add_co_u32_e32 v101, vcc, s4, v101
	v_addc_co_u32_e32 v102, vcc, v106, v102, vcc
	flat_load_dwordx2 v[106:107], v[101:102]
	v_mov_b32_e32 v103, 0
	v_mov_b32_e32 v104, 0xbff00000
	s_waitcnt vmcnt(0) lgkmcnt(0)
	buffer_store_dword v107, off, s[0:3], 0 offset:404
	buffer_store_dword v106, off, s[0:3], 0 offset:400
	s_cbranch_scc1 .LBB114_3
; %bb.2:
	v_mov_b32_e32 v103, 0
	v_lshl_add_u32 v114, v0, 3, v103
	buffer_load_dword v103, v114, s[0:3], 0 offen
	buffer_load_dword v104, v114, s[0:3], 0 offen offset:4
	s_waitcnt vmcnt(0)
	v_div_scale_f64 v[106:107], s[4:5], v[103:104], v[103:104], 1.0
	v_rcp_f64_e32 v[108:109], v[106:107]
	v_fma_f64 v[110:111], -v[106:107], v[108:109], 1.0
	v_fma_f64 v[108:109], v[108:109], v[110:111], v[108:109]
	v_div_scale_f64 v[110:111], vcc, 1.0, v[103:104], 1.0
	v_fma_f64 v[112:113], -v[106:107], v[108:109], 1.0
	v_fma_f64 v[108:109], v[108:109], v[112:113], v[108:109]
	v_mul_f64 v[112:113], v[110:111], v[108:109]
	v_fma_f64 v[106:107], -v[106:107], v[112:113], v[110:111]
	v_div_fmas_f64 v[106:107], v[106:107], v[108:109], v[112:113]
	v_div_fixup_f64 v[103:104], v[106:107], v[103:104], 1.0
	buffer_store_dword v103, v114, s[0:3], 0 offen
	buffer_store_dword v104, v114, s[0:3], 0 offen offset:4
	v_xor_b32_e32 v104, 0x80000000, v104
.LBB114_3:
	s_cmpk_eq_i32 s8, 0x79
	v_add_u32_e32 v106, 0x1a0, v105
	v_mov_b32_e32 v107, v105
	s_mov_b64 s[4:5], -1
	ds_write_b64 v105, v[103:104]
	s_cbranch_scc1 .LBB114_497
; %bb.4:
	buffer_load_dword v103, off, s[0:3], 0 offset:392
	buffer_load_dword v104, off, s[0:3], 0 offset:396
	s_movk_i32 s12, 0x48
	s_movk_i32 s13, 0x50
	;; [unrolled: 1-line block ×40, first 2 shown]
	v_cmp_eq_u32_e64 s[4:5], 50, v0
	s_waitcnt vmcnt(0)
	ds_write_b64 v106, v[103:104]
	s_waitcnt lgkmcnt(0)
	; wave barrier
	s_and_saveexec_b64 s[6:7], s[4:5]
	s_cbranch_execz .LBB114_10
; %bb.5:
	s_and_b64 vcc, exec, s[10:11]
	s_cbranch_vccz .LBB114_7
; %bb.6:
	buffer_load_dword v103, v107, s[0:3], 0 offen
	buffer_load_dword v104, v107, s[0:3], 0 offen offset:4
	ds_read_b64 v[108:109], v106
	s_waitcnt vmcnt(0) lgkmcnt(0)
	v_mul_f64 v[103:104], v[103:104], v[108:109]
	s_cbranch_execz .LBB114_8
	s_branch .LBB114_9
.LBB114_7:
                                        ; implicit-def: $vgpr103_vgpr104
.LBB114_8:
	ds_read_b64 v[103:104], v106
.LBB114_9:
	v_mov_b32_e32 v108, 0
	ds_read_b64 v[108:109], v108 offset:392
	s_waitcnt lgkmcnt(0)
	v_mul_f64 v[103:104], v[103:104], v[108:109]
	buffer_store_dword v104, off, s[0:3], 0 offset:396
	buffer_store_dword v103, off, s[0:3], 0 offset:392
.LBB114_10:
	s_or_b64 exec, exec, s[6:7]
	buffer_load_dword v103, off, s[0:3], 0 offset:384
	buffer_load_dword v104, off, s[0:3], 0 offset:388
	s_or_b32 s14, 0, 8
	s_mov_b32 s15, 16
	s_mov_b32 s16, 24
	;; [unrolled: 1-line block ×9, first 2 shown]
	v_cmp_lt_u32_e64 s[6:7], 48, v0
	s_waitcnt vmcnt(0)
	ds_write_b64 v106, v[103:104]
	s_waitcnt lgkmcnt(0)
	; wave barrier
	s_and_saveexec_b64 s[8:9], s[6:7]
	s_cbranch_execz .LBB114_16
; %bb.11:
	s_andn2_b64 vcc, exec, s[10:11]
	s_cbranch_vccnz .LBB114_13
; %bb.12:
	buffer_load_dword v103, v107, s[0:3], 0 offen
	buffer_load_dword v104, v107, s[0:3], 0 offen offset:4
	ds_read_b64 v[108:109], v106
	s_waitcnt vmcnt(0) lgkmcnt(0)
	v_mul_f64 v[103:104], v[103:104], v[108:109]
	s_cbranch_execz .LBB114_14
	s_branch .LBB114_15
.LBB114_13:
                                        ; implicit-def: $vgpr103_vgpr104
.LBB114_14:
	ds_read_b64 v[103:104], v106
.LBB114_15:
	buffer_load_dword v112, off, s[0:3], 0 offset:392
	buffer_load_dword v113, off, s[0:3], 0 offset:396
	v_mov_b32_e32 v108, 0
	ds_read2_b64 v[108:111], v108 offset0:48 offset1:101
	s_waitcnt vmcnt(0) lgkmcnt(0)
	v_fma_f64 v[110:111], v[112:113], v[110:111], v[103:104]
	v_cndmask_b32_e64 v104, v104, v111, s[4:5]
	v_cndmask_b32_e64 v103, v103, v110, s[4:5]
	v_mul_f64 v[103:104], v[103:104], v[108:109]
	buffer_store_dword v104, off, s[0:3], 0 offset:388
	buffer_store_dword v103, off, s[0:3], 0 offset:384
.LBB114_16:
	s_or_b64 exec, exec, s[8:9]
	buffer_load_dword v103, off, s[0:3], 0 offset:376
	buffer_load_dword v104, off, s[0:3], 0 offset:380
	v_cmp_lt_u32_e64 s[4:5], 47, v0
	s_waitcnt vmcnt(0)
	ds_write_b64 v106, v[103:104]
	s_waitcnt lgkmcnt(0)
	; wave barrier
	s_and_saveexec_b64 s[8:9], s[4:5]
	s_cbranch_execz .LBB114_26
; %bb.17:
	s_andn2_b64 vcc, exec, s[10:11]
	s_cbranch_vccnz .LBB114_19
; %bb.18:
	buffer_load_dword v103, v107, s[0:3], 0 offen
	buffer_load_dword v104, v107, s[0:3], 0 offen offset:4
	ds_read_b64 v[108:109], v106
	s_waitcnt vmcnt(0) lgkmcnt(0)
	v_mul_f64 v[103:104], v[103:104], v[108:109]
	s_cbranch_execz .LBB114_20
	s_branch .LBB114_21
.LBB114_19:
                                        ; implicit-def: $vgpr103_vgpr104
.LBB114_20:
	ds_read_b64 v[103:104], v106
.LBB114_21:
	s_and_saveexec_b64 s[12:13], s[6:7]
	s_cbranch_execz .LBB114_25
; %bb.22:
	v_subrev_u32_e32 v108, 48, v0
	s_movk_i32 s63, 0x320
	s_mov_b64 s[6:7], 0
.LBB114_23:                             ; =>This Inner Loop Header: Depth=1
	v_mov_b32_e32 v110, s62
	buffer_load_dword v109, v110, s[0:3], 0 offen
	s_nop 0
	buffer_load_dword v110, v110, s[0:3], 0 offen offset:4
	v_mov_b32_e32 v111, s63
	ds_read_b64 v[111:112], v111
	v_add_u32_e32 v108, -1, v108
	s_add_i32 s63, s63, 8
	s_add_i32 s62, s62, 8
	v_cmp_eq_u32_e32 vcc, 0, v108
	s_or_b64 s[6:7], vcc, s[6:7]
	s_waitcnt vmcnt(0) lgkmcnt(0)
	v_fma_f64 v[103:104], v[109:110], v[111:112], v[103:104]
	s_andn2_b64 exec, exec, s[6:7]
	s_cbranch_execnz .LBB114_23
; %bb.24:
	s_or_b64 exec, exec, s[6:7]
.LBB114_25:
	s_or_b64 exec, exec, s[12:13]
	v_mov_b32_e32 v108, 0
	ds_read_b64 v[108:109], v108 offset:376
	s_waitcnt lgkmcnt(0)
	v_mul_f64 v[103:104], v[103:104], v[108:109]
	buffer_store_dword v104, off, s[0:3], 0 offset:380
	buffer_store_dword v103, off, s[0:3], 0 offset:376
.LBB114_26:
	s_or_b64 exec, exec, s[8:9]
	buffer_load_dword v103, off, s[0:3], 0 offset:368
	buffer_load_dword v104, off, s[0:3], 0 offset:372
	v_cmp_lt_u32_e64 s[6:7], 46, v0
	s_waitcnt vmcnt(0)
	ds_write_b64 v106, v[103:104]
	s_waitcnt lgkmcnt(0)
	; wave barrier
	s_and_saveexec_b64 s[8:9], s[6:7]
	s_cbranch_execz .LBB114_36
; %bb.27:
	s_andn2_b64 vcc, exec, s[10:11]
	s_cbranch_vccnz .LBB114_29
; %bb.28:
	buffer_load_dword v103, v107, s[0:3], 0 offen
	buffer_load_dword v104, v107, s[0:3], 0 offen offset:4
	ds_read_b64 v[108:109], v106
	s_waitcnt vmcnt(0) lgkmcnt(0)
	v_mul_f64 v[103:104], v[103:104], v[108:109]
	s_cbranch_execz .LBB114_30
	s_branch .LBB114_31
.LBB114_29:
                                        ; implicit-def: $vgpr103_vgpr104
.LBB114_30:
	ds_read_b64 v[103:104], v106
.LBB114_31:
	s_and_saveexec_b64 s[12:13], s[4:5]
	s_cbranch_execz .LBB114_35
; %bb.32:
	v_subrev_u32_e32 v108, 47, v0
	s_movk_i32 s62, 0x318
	s_mov_b64 s[4:5], 0
.LBB114_33:                             ; =>This Inner Loop Header: Depth=1
	v_mov_b32_e32 v110, s61
	buffer_load_dword v109, v110, s[0:3], 0 offen
	s_nop 0
	buffer_load_dword v110, v110, s[0:3], 0 offen offset:4
	v_mov_b32_e32 v111, s62
	ds_read_b64 v[111:112], v111
	v_add_u32_e32 v108, -1, v108
	s_add_i32 s62, s62, 8
	s_add_i32 s61, s61, 8
	v_cmp_eq_u32_e32 vcc, 0, v108
	s_or_b64 s[4:5], vcc, s[4:5]
	s_waitcnt vmcnt(0) lgkmcnt(0)
	v_fma_f64 v[103:104], v[109:110], v[111:112], v[103:104]
	s_andn2_b64 exec, exec, s[4:5]
	s_cbranch_execnz .LBB114_33
; %bb.34:
	s_or_b64 exec, exec, s[4:5]
.LBB114_35:
	s_or_b64 exec, exec, s[12:13]
	v_mov_b32_e32 v108, 0
	ds_read_b64 v[108:109], v108 offset:368
	s_waitcnt lgkmcnt(0)
	v_mul_f64 v[103:104], v[103:104], v[108:109]
	buffer_store_dword v104, off, s[0:3], 0 offset:372
	buffer_store_dword v103, off, s[0:3], 0 offset:368
.LBB114_36:
	;; [unrolled: 59-line block ×8, first 2 shown]
	s_or_b64 exec, exec, s[8:9]
	buffer_load_dword v103, off, s[0:3], 0 offset:312
	buffer_load_dword v104, off, s[0:3], 0 offset:316
	v_cmp_lt_u32_e64 s[4:5], 39, v0
	s_waitcnt vmcnt(0)
	ds_write_b64 v106, v[103:104]
	s_waitcnt lgkmcnt(0)
	; wave barrier
	s_and_saveexec_b64 s[8:9], s[4:5]
	s_cbranch_execz .LBB114_106
; %bb.97:
	s_andn2_b64 vcc, exec, s[10:11]
	s_cbranch_vccnz .LBB114_99
; %bb.98:
	buffer_load_dword v103, v107, s[0:3], 0 offen
	buffer_load_dword v104, v107, s[0:3], 0 offen offset:4
	ds_read_b64 v[108:109], v106
	s_waitcnt vmcnt(0) lgkmcnt(0)
	v_mul_f64 v[103:104], v[103:104], v[108:109]
	s_cbranch_execz .LBB114_100
	s_branch .LBB114_101
.LBB114_99:
                                        ; implicit-def: $vgpr103_vgpr104
.LBB114_100:
	ds_read_b64 v[103:104], v106
.LBB114_101:
	s_and_saveexec_b64 s[12:13], s[6:7]
	s_cbranch_execz .LBB114_105
; %bb.102:
	v_subrev_u32_e32 v108, 40, v0
	s_movk_i32 s55, 0x2e0
	s_mov_b64 s[6:7], 0
.LBB114_103:                            ; =>This Inner Loop Header: Depth=1
	v_mov_b32_e32 v110, s54
	buffer_load_dword v109, v110, s[0:3], 0 offen
	s_nop 0
	buffer_load_dword v110, v110, s[0:3], 0 offen offset:4
	v_mov_b32_e32 v111, s55
	ds_read_b64 v[111:112], v111
	v_add_u32_e32 v108, -1, v108
	s_add_i32 s55, s55, 8
	s_add_i32 s54, s54, 8
	v_cmp_eq_u32_e32 vcc, 0, v108
	s_or_b64 s[6:7], vcc, s[6:7]
	s_waitcnt vmcnt(0) lgkmcnt(0)
	v_fma_f64 v[103:104], v[109:110], v[111:112], v[103:104]
	s_andn2_b64 exec, exec, s[6:7]
	s_cbranch_execnz .LBB114_103
; %bb.104:
	s_or_b64 exec, exec, s[6:7]
.LBB114_105:
	s_or_b64 exec, exec, s[12:13]
	v_mov_b32_e32 v108, 0
	ds_read_b64 v[108:109], v108 offset:312
	s_waitcnt lgkmcnt(0)
	v_mul_f64 v[103:104], v[103:104], v[108:109]
	buffer_store_dword v104, off, s[0:3], 0 offset:316
	buffer_store_dword v103, off, s[0:3], 0 offset:312
.LBB114_106:
	s_or_b64 exec, exec, s[8:9]
	buffer_load_dword v103, off, s[0:3], 0 offset:304
	buffer_load_dword v104, off, s[0:3], 0 offset:308
	v_cmp_lt_u32_e64 s[6:7], 38, v0
	s_waitcnt vmcnt(0)
	ds_write_b64 v106, v[103:104]
	s_waitcnt lgkmcnt(0)
	; wave barrier
	s_and_saveexec_b64 s[8:9], s[6:7]
	s_cbranch_execz .LBB114_116
; %bb.107:
	s_andn2_b64 vcc, exec, s[10:11]
	s_cbranch_vccnz .LBB114_109
; %bb.108:
	buffer_load_dword v103, v107, s[0:3], 0 offen
	buffer_load_dword v104, v107, s[0:3], 0 offen offset:4
	ds_read_b64 v[108:109], v106
	s_waitcnt vmcnt(0) lgkmcnt(0)
	v_mul_f64 v[103:104], v[103:104], v[108:109]
	s_cbranch_execz .LBB114_110
	s_branch .LBB114_111
.LBB114_109:
                                        ; implicit-def: $vgpr103_vgpr104
.LBB114_110:
	ds_read_b64 v[103:104], v106
.LBB114_111:
	s_and_saveexec_b64 s[12:13], s[4:5]
	s_cbranch_execz .LBB114_115
; %bb.112:
	v_subrev_u32_e32 v108, 39, v0
	s_movk_i32 s54, 0x2d8
	s_mov_b64 s[4:5], 0
.LBB114_113:                            ; =>This Inner Loop Header: Depth=1
	v_mov_b32_e32 v110, s53
	buffer_load_dword v109, v110, s[0:3], 0 offen
	s_nop 0
	buffer_load_dword v110, v110, s[0:3], 0 offen offset:4
	v_mov_b32_e32 v111, s54
	ds_read_b64 v[111:112], v111
	v_add_u32_e32 v108, -1, v108
	s_add_i32 s54, s54, 8
	s_add_i32 s53, s53, 8
	v_cmp_eq_u32_e32 vcc, 0, v108
	s_or_b64 s[4:5], vcc, s[4:5]
	s_waitcnt vmcnt(0) lgkmcnt(0)
	v_fma_f64 v[103:104], v[109:110], v[111:112], v[103:104]
	s_andn2_b64 exec, exec, s[4:5]
	s_cbranch_execnz .LBB114_113
; %bb.114:
	s_or_b64 exec, exec, s[4:5]
.LBB114_115:
	s_or_b64 exec, exec, s[12:13]
	v_mov_b32_e32 v108, 0
	ds_read_b64 v[108:109], v108 offset:304
	s_waitcnt lgkmcnt(0)
	v_mul_f64 v[103:104], v[103:104], v[108:109]
	buffer_store_dword v104, off, s[0:3], 0 offset:308
	buffer_store_dword v103, off, s[0:3], 0 offset:304
.LBB114_116:
	;; [unrolled: 59-line block ×4, first 2 shown]
	s_or_b64 exec, exec, s[8:9]
	buffer_load_dword v103, off, s[0:3], 0 offset:280
	buffer_load_dword v104, off, s[0:3], 0 offset:284
	v_cmp_lt_u32_e64 s[4:5], 35, v0
	s_waitcnt vmcnt(0)
	ds_write_b64 v106, v[103:104]
	s_waitcnt lgkmcnt(0)
	; wave barrier
	s_and_saveexec_b64 s[8:9], s[4:5]
	s_cbranch_execz .LBB114_146
; %bb.137:
	s_andn2_b64 vcc, exec, s[10:11]
	s_cbranch_vccnz .LBB114_139
; %bb.138:
	buffer_load_dword v103, v107, s[0:3], 0 offen
	buffer_load_dword v104, v107, s[0:3], 0 offen offset:4
	ds_read_b64 v[108:109], v106
	s_waitcnt vmcnt(0) lgkmcnt(0)
	v_mul_f64 v[103:104], v[103:104], v[108:109]
	s_cbranch_execz .LBB114_140
	s_branch .LBB114_141
.LBB114_139:
                                        ; implicit-def: $vgpr103_vgpr104
.LBB114_140:
	ds_read_b64 v[103:104], v106
.LBB114_141:
	s_and_saveexec_b64 s[12:13], s[6:7]
	s_cbranch_execz .LBB114_145
; %bb.142:
	v_subrev_u32_e32 v108, 36, v0
	s_movk_i32 s51, 0x2c0
	s_mov_b64 s[6:7], 0
.LBB114_143:                            ; =>This Inner Loop Header: Depth=1
	v_mov_b32_e32 v111, s50
	buffer_load_dword v109, v111, s[0:3], 0 offen
	buffer_load_dword v110, v111, s[0:3], 0 offen offset:4
	v_mov_b32_e32 v111, s51
	ds_read_b64 v[111:112], v111
	v_add_u32_e32 v108, -1, v108
	s_add_i32 s51, s51, 8
	s_add_i32 s50, s50, 8
	v_cmp_eq_u32_e32 vcc, 0, v108
	s_or_b64 s[6:7], vcc, s[6:7]
	s_waitcnt vmcnt(0) lgkmcnt(0)
	v_fma_f64 v[103:104], v[109:110], v[111:112], v[103:104]
	s_andn2_b64 exec, exec, s[6:7]
	s_cbranch_execnz .LBB114_143
; %bb.144:
	s_or_b64 exec, exec, s[6:7]
.LBB114_145:
	s_or_b64 exec, exec, s[12:13]
	v_mov_b32_e32 v108, 0
	ds_read_b64 v[108:109], v108 offset:280
	s_waitcnt lgkmcnt(0)
	v_mul_f64 v[103:104], v[103:104], v[108:109]
	buffer_store_dword v104, off, s[0:3], 0 offset:284
	buffer_store_dword v103, off, s[0:3], 0 offset:280
.LBB114_146:
	s_or_b64 exec, exec, s[8:9]
	buffer_load_dword v103, off, s[0:3], 0 offset:272
	buffer_load_dword v104, off, s[0:3], 0 offset:276
	v_cmp_lt_u32_e64 s[6:7], 34, v0
	s_waitcnt vmcnt(0)
	ds_write_b64 v106, v[103:104]
	s_waitcnt lgkmcnt(0)
	; wave barrier
	s_and_saveexec_b64 s[8:9], s[6:7]
	s_cbranch_execz .LBB114_156
; %bb.147:
	s_andn2_b64 vcc, exec, s[10:11]
	s_cbranch_vccnz .LBB114_149
; %bb.148:
	buffer_load_dword v103, v107, s[0:3], 0 offen
	buffer_load_dword v104, v107, s[0:3], 0 offen offset:4
	ds_read_b64 v[108:109], v106
	s_waitcnt vmcnt(0) lgkmcnt(0)
	v_mul_f64 v[103:104], v[103:104], v[108:109]
	s_cbranch_execz .LBB114_150
	s_branch .LBB114_151
.LBB114_149:
                                        ; implicit-def: $vgpr103_vgpr104
.LBB114_150:
	ds_read_b64 v[103:104], v106
.LBB114_151:
	s_and_saveexec_b64 s[12:13], s[4:5]
	s_cbranch_execz .LBB114_155
; %bb.152:
	v_subrev_u32_e32 v108, 35, v0
	s_movk_i32 s50, 0x2b8
	s_mov_b64 s[4:5], 0
.LBB114_153:                            ; =>This Inner Loop Header: Depth=1
	v_mov_b32_e32 v111, s49
	buffer_load_dword v109, v111, s[0:3], 0 offen
	buffer_load_dword v110, v111, s[0:3], 0 offen offset:4
	v_mov_b32_e32 v111, s50
	ds_read_b64 v[111:112], v111
	v_add_u32_e32 v108, -1, v108
	s_add_i32 s50, s50, 8
	s_add_i32 s49, s49, 8
	v_cmp_eq_u32_e32 vcc, 0, v108
	s_or_b64 s[4:5], vcc, s[4:5]
	s_waitcnt vmcnt(0) lgkmcnt(0)
	v_fma_f64 v[103:104], v[109:110], v[111:112], v[103:104]
	s_andn2_b64 exec, exec, s[4:5]
	s_cbranch_execnz .LBB114_153
; %bb.154:
	s_or_b64 exec, exec, s[4:5]
.LBB114_155:
	s_or_b64 exec, exec, s[12:13]
	v_mov_b32_e32 v108, 0
	ds_read_b64 v[108:109], v108 offset:272
	s_waitcnt lgkmcnt(0)
	v_mul_f64 v[103:104], v[103:104], v[108:109]
	buffer_store_dword v104, off, s[0:3], 0 offset:276
	buffer_store_dword v103, off, s[0:3], 0 offset:272
.LBB114_156:
	;; [unrolled: 58-line block ×20, first 2 shown]
	s_or_b64 exec, exec, s[8:9]
	buffer_load_dword v103, off, s[0:3], 0 offset:120
	buffer_load_dword v104, off, s[0:3], 0 offset:124
	v_cmp_lt_u32_e64 s[4:5], 15, v0
	s_waitcnt vmcnt(0)
	ds_write_b64 v106, v[103:104]
	s_waitcnt lgkmcnt(0)
	; wave barrier
	s_and_saveexec_b64 s[8:9], s[4:5]
	s_cbranch_execz .LBB114_346
; %bb.337:
	s_andn2_b64 vcc, exec, s[10:11]
	s_cbranch_vccnz .LBB114_339
; %bb.338:
	buffer_load_dword v103, v107, s[0:3], 0 offen
	buffer_load_dword v104, v107, s[0:3], 0 offen offset:4
	ds_read_b64 v[108:109], v106
	s_waitcnt vmcnt(0) lgkmcnt(0)
	v_mul_f64 v[103:104], v[103:104], v[108:109]
	s_cbranch_execz .LBB114_340
	s_branch .LBB114_341
.LBB114_339:
                                        ; implicit-def: $vgpr103_vgpr104
.LBB114_340:
	ds_read_b64 v[103:104], v106
.LBB114_341:
	s_and_saveexec_b64 s[12:13], s[6:7]
	s_cbranch_execz .LBB114_345
; %bb.342:
	v_add_u32_e32 v108, -16, v0
	s_movk_i32 s30, 0x220
	s_mov_b64 s[6:7], 0
.LBB114_343:                            ; =>This Inner Loop Header: Depth=1
	v_mov_b32_e32 v111, s29
	buffer_load_dword v109, v111, s[0:3], 0 offen
	buffer_load_dword v110, v111, s[0:3], 0 offen offset:4
	v_mov_b32_e32 v111, s30
	ds_read_b64 v[111:112], v111
	v_add_u32_e32 v108, -1, v108
	s_add_i32 s30, s30, 8
	s_add_i32 s29, s29, 8
	v_cmp_eq_u32_e32 vcc, 0, v108
	s_or_b64 s[6:7], vcc, s[6:7]
	s_waitcnt vmcnt(0) lgkmcnt(0)
	v_fma_f64 v[103:104], v[109:110], v[111:112], v[103:104]
	s_andn2_b64 exec, exec, s[6:7]
	s_cbranch_execnz .LBB114_343
; %bb.344:
	s_or_b64 exec, exec, s[6:7]
.LBB114_345:
	s_or_b64 exec, exec, s[12:13]
	v_mov_b32_e32 v108, 0
	ds_read_b64 v[108:109], v108 offset:120
	s_waitcnt lgkmcnt(0)
	v_mul_f64 v[103:104], v[103:104], v[108:109]
	buffer_store_dword v104, off, s[0:3], 0 offset:124
	buffer_store_dword v103, off, s[0:3], 0 offset:120
.LBB114_346:
	s_or_b64 exec, exec, s[8:9]
	buffer_load_dword v103, off, s[0:3], 0 offset:112
	buffer_load_dword v104, off, s[0:3], 0 offset:116
	v_cmp_lt_u32_e64 s[6:7], 14, v0
	s_waitcnt vmcnt(0)
	ds_write_b64 v106, v[103:104]
	s_waitcnt lgkmcnt(0)
	; wave barrier
	s_and_saveexec_b64 s[8:9], s[6:7]
	s_cbranch_execz .LBB114_356
; %bb.347:
	s_andn2_b64 vcc, exec, s[10:11]
	s_cbranch_vccnz .LBB114_349
; %bb.348:
	buffer_load_dword v103, v107, s[0:3], 0 offen
	buffer_load_dword v104, v107, s[0:3], 0 offen offset:4
	ds_read_b64 v[108:109], v106
	s_waitcnt vmcnt(0) lgkmcnt(0)
	v_mul_f64 v[103:104], v[103:104], v[108:109]
	s_cbranch_execz .LBB114_350
	s_branch .LBB114_351
.LBB114_349:
                                        ; implicit-def: $vgpr103_vgpr104
.LBB114_350:
	ds_read_b64 v[103:104], v106
.LBB114_351:
	s_and_saveexec_b64 s[12:13], s[4:5]
	s_cbranch_execz .LBB114_355
; %bb.352:
	v_add_u32_e32 v108, -15, v0
	s_movk_i32 s29, 0x218
	s_mov_b64 s[4:5], 0
.LBB114_353:                            ; =>This Inner Loop Header: Depth=1
	v_mov_b32_e32 v111, s28
	buffer_load_dword v109, v111, s[0:3], 0 offen
	buffer_load_dword v110, v111, s[0:3], 0 offen offset:4
	v_mov_b32_e32 v111, s29
	ds_read_b64 v[111:112], v111
	v_add_u32_e32 v108, -1, v108
	s_add_i32 s29, s29, 8
	s_add_i32 s28, s28, 8
	v_cmp_eq_u32_e32 vcc, 0, v108
	s_or_b64 s[4:5], vcc, s[4:5]
	s_waitcnt vmcnt(0) lgkmcnt(0)
	v_fma_f64 v[103:104], v[109:110], v[111:112], v[103:104]
	s_andn2_b64 exec, exec, s[4:5]
	s_cbranch_execnz .LBB114_353
; %bb.354:
	s_or_b64 exec, exec, s[4:5]
.LBB114_355:
	s_or_b64 exec, exec, s[12:13]
	v_mov_b32_e32 v108, 0
	ds_read_b64 v[108:109], v108 offset:112
	s_waitcnt lgkmcnt(0)
	v_mul_f64 v[103:104], v[103:104], v[108:109]
	buffer_store_dword v104, off, s[0:3], 0 offset:116
	buffer_store_dword v103, off, s[0:3], 0 offset:112
.LBB114_356:
	;; [unrolled: 58-line block ×15, first 2 shown]
	s_or_b64 exec, exec, s[8:9]
	buffer_load_dword v103, off, s[0:3], 0
	buffer_load_dword v104, off, s[0:3], 0 offset:4
	v_cmp_ne_u32_e32 vcc, 0, v0
	s_waitcnt vmcnt(0)
	ds_write_b64 v106, v[103:104]
	s_waitcnt lgkmcnt(0)
	; wave barrier
	s_and_saveexec_b64 s[6:7], vcc
	s_cbranch_execz .LBB114_496
; %bb.487:
	s_andn2_b64 vcc, exec, s[10:11]
	s_cbranch_vccnz .LBB114_489
; %bb.488:
	buffer_load_dword v103, v107, s[0:3], 0 offen
	buffer_load_dword v104, v107, s[0:3], 0 offen offset:4
	ds_read_b64 v[108:109], v106
	s_waitcnt vmcnt(0) lgkmcnt(0)
	v_mul_f64 v[103:104], v[103:104], v[108:109]
	s_cbranch_execz .LBB114_490
	s_branch .LBB114_491
.LBB114_489:
                                        ; implicit-def: $vgpr103_vgpr104
.LBB114_490:
	ds_read_b64 v[103:104], v106
.LBB114_491:
	s_and_saveexec_b64 s[8:9], s[4:5]
	s_cbranch_execz .LBB114_495
; %bb.492:
	v_add_u32_e32 v108, -1, v0
	s_movk_i32 s12, 0x1a8
	s_mov_b64 s[4:5], 0
.LBB114_493:                            ; =>This Inner Loop Header: Depth=1
	v_mov_b32_e32 v111, s14
	buffer_load_dword v109, v111, s[0:3], 0 offen
	buffer_load_dword v110, v111, s[0:3], 0 offen offset:4
	v_mov_b32_e32 v111, s12
	ds_read_b64 v[111:112], v111
	v_add_u32_e32 v108, -1, v108
	s_add_i32 s12, s12, 8
	s_add_i32 s14, s14, 8
	v_cmp_eq_u32_e32 vcc, 0, v108
	s_or_b64 s[4:5], vcc, s[4:5]
	s_waitcnt vmcnt(0) lgkmcnt(0)
	v_fma_f64 v[103:104], v[109:110], v[111:112], v[103:104]
	s_andn2_b64 exec, exec, s[4:5]
	s_cbranch_execnz .LBB114_493
; %bb.494:
	s_or_b64 exec, exec, s[4:5]
.LBB114_495:
	s_or_b64 exec, exec, s[8:9]
	v_mov_b32_e32 v108, 0
	ds_read_b64 v[108:109], v108
	s_waitcnt lgkmcnt(0)
	v_mul_f64 v[103:104], v[103:104], v[108:109]
	buffer_store_dword v104, off, s[0:3], 0 offset:4
	buffer_store_dword v103, off, s[0:3], 0
.LBB114_496:
	s_or_b64 exec, exec, s[6:7]
	s_mov_b64 s[4:5], 0
.LBB114_497:
	s_and_b64 vcc, exec, s[4:5]
	s_cbranch_vccz .LBB114_989
; %bb.498:
	buffer_load_dword v103, off, s[0:3], 0 offset:8
	buffer_load_dword v104, off, s[0:3], 0 offset:12
	v_cmp_eq_u32_e64 s[6:7], 0, v0
	s_waitcnt vmcnt(0)
	ds_write_b64 v106, v[103:104]
	s_waitcnt lgkmcnt(0)
	; wave barrier
	s_and_saveexec_b64 s[4:5], s[6:7]
	s_cbranch_execz .LBB114_504
; %bb.499:
	s_and_b64 vcc, exec, s[10:11]
	s_cbranch_vccz .LBB114_501
; %bb.500:
	buffer_load_dword v103, v107, s[0:3], 0 offen
	buffer_load_dword v104, v107, s[0:3], 0 offen offset:4
	ds_read_b64 v[108:109], v106
	s_waitcnt vmcnt(0) lgkmcnt(0)
	v_mul_f64 v[103:104], v[103:104], v[108:109]
	s_cbranch_execz .LBB114_502
	s_branch .LBB114_503
.LBB114_501:
                                        ; implicit-def: $vgpr103_vgpr104
.LBB114_502:
	ds_read_b64 v[103:104], v106
.LBB114_503:
	v_mov_b32_e32 v108, 0
	ds_read_b64 v[108:109], v108 offset:8
	s_waitcnt lgkmcnt(0)
	v_mul_f64 v[103:104], v[103:104], v[108:109]
	buffer_store_dword v104, off, s[0:3], 0 offset:12
	buffer_store_dword v103, off, s[0:3], 0 offset:8
.LBB114_504:
	s_or_b64 exec, exec, s[4:5]
	buffer_load_dword v103, off, s[0:3], 0 offset:16
	buffer_load_dword v104, off, s[0:3], 0 offset:20
	v_cndmask_b32_e64 v108, 0, 1, s[10:11]
	v_cmp_gt_u32_e32 vcc, 2, v0
	v_cmp_ne_u32_e64 s[4:5], 1, v108
	s_waitcnt vmcnt(0)
	ds_write_b64 v106, v[103:104]
	s_waitcnt lgkmcnt(0)
	; wave barrier
	s_and_saveexec_b64 s[8:9], vcc
	s_cbranch_execz .LBB114_510
; %bb.505:
	s_and_b64 vcc, exec, s[4:5]
	s_cbranch_vccnz .LBB114_507
; %bb.506:
	buffer_load_dword v103, v107, s[0:3], 0 offen
	buffer_load_dword v104, v107, s[0:3], 0 offen offset:4
	ds_read_b64 v[108:109], v106
	s_waitcnt vmcnt(0) lgkmcnt(0)
	v_mul_f64 v[103:104], v[103:104], v[108:109]
	s_cbranch_execz .LBB114_508
	s_branch .LBB114_509
.LBB114_507:
                                        ; implicit-def: $vgpr103_vgpr104
.LBB114_508:
	ds_read_b64 v[103:104], v106
.LBB114_509:
	buffer_load_dword v112, off, s[0:3], 0 offset:8
	buffer_load_dword v113, off, s[0:3], 0 offset:12
	v_mov_b32_e32 v108, 0
	ds_read2_b64 v[108:111], v108 offset0:2 offset1:53
	s_waitcnt vmcnt(0) lgkmcnt(0)
	v_fma_f64 v[110:111], v[112:113], v[110:111], v[103:104]
	v_cndmask_b32_e64 v104, v104, v111, s[6:7]
	v_cndmask_b32_e64 v103, v103, v110, s[6:7]
	v_mul_f64 v[103:104], v[103:104], v[108:109]
	buffer_store_dword v104, off, s[0:3], 0 offset:20
	buffer_store_dword v103, off, s[0:3], 0 offset:16
.LBB114_510:
	s_or_b64 exec, exec, s[8:9]
	buffer_load_dword v103, off, s[0:3], 0 offset:24
	buffer_load_dword v104, off, s[0:3], 0 offset:28
	v_cmp_gt_u32_e32 vcc, 3, v0
	s_waitcnt vmcnt(0)
	ds_write_b64 v106, v[103:104]
	s_waitcnt lgkmcnt(0)
	; wave barrier
	s_and_saveexec_b64 s[8:9], vcc
	s_cbranch_execz .LBB114_518
; %bb.511:
	s_and_b64 vcc, exec, s[4:5]
	s_cbranch_vccnz .LBB114_513
; %bb.512:
	buffer_load_dword v103, v107, s[0:3], 0 offen
	buffer_load_dword v104, v107, s[0:3], 0 offen offset:4
	ds_read_b64 v[108:109], v106
	s_waitcnt vmcnt(0) lgkmcnt(0)
	v_mul_f64 v[103:104], v[103:104], v[108:109]
	s_cbranch_execz .LBB114_514
	s_branch .LBB114_515
.LBB114_513:
                                        ; implicit-def: $vgpr103_vgpr104
.LBB114_514:
	ds_read_b64 v[103:104], v106
.LBB114_515:
	v_cmp_ne_u32_e32 vcc, 2, v0
	s_and_saveexec_b64 s[10:11], vcc
	s_cbranch_execz .LBB114_517
; %bb.516:
	buffer_load_dword v108, v107, s[0:3], 0 offen offset:8
	buffer_load_dword v109, v107, s[0:3], 0 offen offset:12
	buffer_load_dword v110, off, s[0:3], 0 offset:16
	buffer_load_dword v111, off, s[0:3], 0 offset:20
	ds_read_b64 v[112:113], v106 offset:8
	v_mov_b32_e32 v114, 0
	ds_read_b64 v[114:115], v114 offset:432
	s_waitcnt vmcnt(2) lgkmcnt(1)
	v_fma_f64 v[103:104], v[108:109], v[112:113], v[103:104]
	s_waitcnt vmcnt(0) lgkmcnt(0)
	v_fma_f64 v[108:109], v[110:111], v[114:115], v[103:104]
	v_cndmask_b32_e64 v104, v104, v109, s[6:7]
	v_cndmask_b32_e64 v103, v103, v108, s[6:7]
.LBB114_517:
	s_or_b64 exec, exec, s[10:11]
	v_mov_b32_e32 v108, 0
	ds_read_b64 v[108:109], v108 offset:24
	s_waitcnt lgkmcnt(0)
	v_mul_f64 v[103:104], v[103:104], v[108:109]
	buffer_store_dword v104, off, s[0:3], 0 offset:28
	buffer_store_dword v103, off, s[0:3], 0 offset:24
.LBB114_518:
	s_or_b64 exec, exec, s[8:9]
	buffer_load_dword v103, off, s[0:3], 0 offset:32
	buffer_load_dword v104, off, s[0:3], 0 offset:36
	v_cmp_gt_u32_e32 vcc, 4, v0
	s_waitcnt vmcnt(0)
	ds_write_b64 v106, v[103:104]
	s_waitcnt lgkmcnt(0)
	; wave barrier
	s_and_saveexec_b64 s[6:7], vcc
	s_cbranch_execz .LBB114_528
; %bb.519:
	s_and_b64 vcc, exec, s[4:5]
	s_cbranch_vccnz .LBB114_521
; %bb.520:
	buffer_load_dword v103, v107, s[0:3], 0 offen
	buffer_load_dword v104, v107, s[0:3], 0 offen offset:4
	ds_read_b64 v[108:109], v106
	s_waitcnt vmcnt(0) lgkmcnt(0)
	v_mul_f64 v[103:104], v[103:104], v[108:109]
	s_cbranch_execz .LBB114_522
	s_branch .LBB114_523
.LBB114_521:
                                        ; implicit-def: $vgpr103_vgpr104
.LBB114_522:
	ds_read_b64 v[103:104], v106
.LBB114_523:
	v_cmp_ne_u32_e32 vcc, 3, v0
	s_and_saveexec_b64 s[8:9], vcc
	s_cbranch_execz .LBB114_527
; %bb.524:
	s_mov_b32 s10, 0
	v_add_u32_e32 v108, 0x1a8, v105
	v_add3_u32 v109, v105, s10, 8
	s_mov_b64 s[10:11], 0
	v_mov_b32_e32 v110, v0
.LBB114_525:                            ; =>This Inner Loop Header: Depth=1
	buffer_load_dword v111, v109, s[0:3], 0 offen
	buffer_load_dword v112, v109, s[0:3], 0 offen offset:4
	ds_read_b64 v[113:114], v108
	v_add_u32_e32 v110, 1, v110
	v_cmp_lt_u32_e32 vcc, 2, v110
	v_add_u32_e32 v108, 8, v108
	s_or_b64 s[10:11], vcc, s[10:11]
	v_add_u32_e32 v109, 8, v109
	s_waitcnt vmcnt(0) lgkmcnt(0)
	v_fma_f64 v[103:104], v[111:112], v[113:114], v[103:104]
	s_andn2_b64 exec, exec, s[10:11]
	s_cbranch_execnz .LBB114_525
; %bb.526:
	s_or_b64 exec, exec, s[10:11]
.LBB114_527:
	s_or_b64 exec, exec, s[8:9]
	v_mov_b32_e32 v108, 0
	ds_read_b64 v[108:109], v108 offset:32
	s_waitcnt lgkmcnt(0)
	v_mul_f64 v[103:104], v[103:104], v[108:109]
	buffer_store_dword v104, off, s[0:3], 0 offset:36
	buffer_store_dword v103, off, s[0:3], 0 offset:32
.LBB114_528:
	s_or_b64 exec, exec, s[6:7]
	buffer_load_dword v103, off, s[0:3], 0 offset:40
	buffer_load_dword v104, off, s[0:3], 0 offset:44
	v_cmp_gt_u32_e32 vcc, 5, v0
	s_waitcnt vmcnt(0)
	ds_write_b64 v106, v[103:104]
	s_waitcnt lgkmcnt(0)
	; wave barrier
	s_and_saveexec_b64 s[6:7], vcc
	s_cbranch_execz .LBB114_538
; %bb.529:
	s_and_b64 vcc, exec, s[4:5]
	s_cbranch_vccnz .LBB114_531
; %bb.530:
	buffer_load_dword v103, v107, s[0:3], 0 offen
	buffer_load_dword v104, v107, s[0:3], 0 offen offset:4
	ds_read_b64 v[108:109], v106
	s_waitcnt vmcnt(0) lgkmcnt(0)
	v_mul_f64 v[103:104], v[103:104], v[108:109]
	s_cbranch_execz .LBB114_532
	s_branch .LBB114_533
.LBB114_531:
                                        ; implicit-def: $vgpr103_vgpr104
.LBB114_532:
	ds_read_b64 v[103:104], v106
.LBB114_533:
	v_cmp_ne_u32_e32 vcc, 4, v0
	s_and_saveexec_b64 s[8:9], vcc
	s_cbranch_execz .LBB114_537
; %bb.534:
	s_mov_b32 s10, 0
	v_add_u32_e32 v108, 0x1a8, v105
	v_add3_u32 v109, v105, s10, 8
	s_mov_b64 s[10:11], 0
	v_mov_b32_e32 v110, v0
.LBB114_535:                            ; =>This Inner Loop Header: Depth=1
	buffer_load_dword v111, v109, s[0:3], 0 offen
	buffer_load_dword v112, v109, s[0:3], 0 offen offset:4
	ds_read_b64 v[113:114], v108
	v_add_u32_e32 v110, 1, v110
	v_cmp_lt_u32_e32 vcc, 3, v110
	v_add_u32_e32 v108, 8, v108
	s_or_b64 s[10:11], vcc, s[10:11]
	v_add_u32_e32 v109, 8, v109
	s_waitcnt vmcnt(0) lgkmcnt(0)
	v_fma_f64 v[103:104], v[111:112], v[113:114], v[103:104]
	s_andn2_b64 exec, exec, s[10:11]
	s_cbranch_execnz .LBB114_535
; %bb.536:
	s_or_b64 exec, exec, s[10:11]
.LBB114_537:
	s_or_b64 exec, exec, s[8:9]
	v_mov_b32_e32 v108, 0
	ds_read_b64 v[108:109], v108 offset:40
	s_waitcnt lgkmcnt(0)
	v_mul_f64 v[103:104], v[103:104], v[108:109]
	buffer_store_dword v104, off, s[0:3], 0 offset:44
	buffer_store_dword v103, off, s[0:3], 0 offset:40
.LBB114_538:
	;; [unrolled: 59-line block ×45, first 2 shown]
	s_or_b64 exec, exec, s[6:7]
	buffer_load_dword v103, off, s[0:3], 0 offset:392
	buffer_load_dword v104, off, s[0:3], 0 offset:396
	v_cmp_gt_u32_e64 s[6:7], 49, v0
	s_waitcnt vmcnt(0)
	ds_write_b64 v106, v[103:104]
	s_waitcnt lgkmcnt(0)
	; wave barrier
	s_and_saveexec_b64 s[8:9], s[6:7]
	s_cbranch_execz .LBB114_978
; %bb.969:
	s_and_b64 vcc, exec, s[4:5]
	s_cbranch_vccnz .LBB114_971
; %bb.970:
	buffer_load_dword v103, v107, s[0:3], 0 offen
	buffer_load_dword v104, v107, s[0:3], 0 offen offset:4
	ds_read_b64 v[108:109], v106
	s_waitcnt vmcnt(0) lgkmcnt(0)
	v_mul_f64 v[103:104], v[103:104], v[108:109]
	s_cbranch_execz .LBB114_972
	s_branch .LBB114_973
.LBB114_971:
                                        ; implicit-def: $vgpr103_vgpr104
.LBB114_972:
	ds_read_b64 v[103:104], v106
.LBB114_973:
	v_cmp_ne_u32_e32 vcc, 48, v0
	s_and_saveexec_b64 s[10:11], vcc
	s_cbranch_execz .LBB114_977
; %bb.974:
	s_mov_b32 s12, 0
	v_add_u32_e32 v108, 0x1a8, v105
	v_add3_u32 v109, v105, s12, 8
	s_mov_b64 s[12:13], 0
	v_mov_b32_e32 v110, v0
.LBB114_975:                            ; =>This Inner Loop Header: Depth=1
	buffer_load_dword v111, v109, s[0:3], 0 offen
	buffer_load_dword v112, v109, s[0:3], 0 offen offset:4
	ds_read_b64 v[113:114], v108
	v_add_u32_e32 v110, 1, v110
	v_cmp_lt_u32_e32 vcc, 47, v110
	v_add_u32_e32 v108, 8, v108
	s_or_b64 s[12:13], vcc, s[12:13]
	v_add_u32_e32 v109, 8, v109
	s_waitcnt vmcnt(0) lgkmcnt(0)
	v_fma_f64 v[103:104], v[111:112], v[113:114], v[103:104]
	s_andn2_b64 exec, exec, s[12:13]
	s_cbranch_execnz .LBB114_975
; %bb.976:
	s_or_b64 exec, exec, s[12:13]
.LBB114_977:
	s_or_b64 exec, exec, s[10:11]
	v_mov_b32_e32 v108, 0
	ds_read_b64 v[108:109], v108 offset:392
	s_waitcnt lgkmcnt(0)
	v_mul_f64 v[103:104], v[103:104], v[108:109]
	buffer_store_dword v104, off, s[0:3], 0 offset:396
	buffer_store_dword v103, off, s[0:3], 0 offset:392
.LBB114_978:
	s_or_b64 exec, exec, s[8:9]
	buffer_load_dword v103, off, s[0:3], 0 offset:400
	buffer_load_dword v104, off, s[0:3], 0 offset:404
	v_cmp_ne_u32_e32 vcc, 50, v0
	s_waitcnt vmcnt(0)
	ds_write_b64 v106, v[103:104]
	s_waitcnt lgkmcnt(0)
	; wave barrier
	s_and_saveexec_b64 s[8:9], vcc
	s_cbranch_execz .LBB114_988
; %bb.979:
	s_and_b64 vcc, exec, s[4:5]
	s_cbranch_vccnz .LBB114_981
; %bb.980:
	buffer_load_dword v103, v107, s[0:3], 0 offen
	buffer_load_dword v104, v107, s[0:3], 0 offen offset:4
	ds_read_b64 v[107:108], v106
	s_waitcnt vmcnt(0) lgkmcnt(0)
	v_mul_f64 v[103:104], v[103:104], v[107:108]
	s_cbranch_execz .LBB114_982
	s_branch .LBB114_983
.LBB114_981:
                                        ; implicit-def: $vgpr103_vgpr104
.LBB114_982:
	ds_read_b64 v[103:104], v106
.LBB114_983:
	s_and_saveexec_b64 s[4:5], s[6:7]
	s_cbranch_execz .LBB114_987
; %bb.984:
	s_mov_b32 s6, 0
	v_add_u32_e32 v106, 0x1a8, v105
	v_add3_u32 v105, v105, s6, 8
	s_mov_b64 s[6:7], 0
.LBB114_985:                            ; =>This Inner Loop Header: Depth=1
	buffer_load_dword v107, v105, s[0:3], 0 offen
	buffer_load_dword v108, v105, s[0:3], 0 offen offset:4
	ds_read_b64 v[109:110], v106
	v_add_u32_e32 v0, 1, v0
	v_cmp_lt_u32_e32 vcc, 48, v0
	v_add_u32_e32 v106, 8, v106
	s_or_b64 s[6:7], vcc, s[6:7]
	v_add_u32_e32 v105, 8, v105
	s_waitcnt vmcnt(0) lgkmcnt(0)
	v_fma_f64 v[103:104], v[107:108], v[109:110], v[103:104]
	s_andn2_b64 exec, exec, s[6:7]
	s_cbranch_execnz .LBB114_985
; %bb.986:
	s_or_b64 exec, exec, s[6:7]
.LBB114_987:
	s_or_b64 exec, exec, s[4:5]
	v_mov_b32_e32 v0, 0
	ds_read_b64 v[105:106], v0 offset:400
	s_waitcnt lgkmcnt(0)
	v_mul_f64 v[103:104], v[103:104], v[105:106]
	buffer_store_dword v104, off, s[0:3], 0 offset:404
	buffer_store_dword v103, off, s[0:3], 0 offset:400
.LBB114_988:
	s_or_b64 exec, exec, s[8:9]
.LBB114_989:
	buffer_load_dword v103, off, s[0:3], 0
	buffer_load_dword v104, off, s[0:3], 0 offset:4
	s_waitcnt vmcnt(0)
	flat_store_dwordx2 v[1:2], v[103:104]
	buffer_load_dword v0, off, s[0:3], 0 offset:8
	s_nop 0
	buffer_load_dword v1, off, s[0:3], 0 offset:12
	s_waitcnt vmcnt(0)
	flat_store_dwordx2 v[3:4], v[0:1]
	buffer_load_dword v0, off, s[0:3], 0 offset:16
	s_nop 0
	;; [unrolled: 5-line block ×50, first 2 shown]
	buffer_load_dword v1, off, s[0:3], 0 offset:404
	s_waitcnt vmcnt(0)
	flat_store_dwordx2 v[101:102], v[0:1]
.LBB114_990:
	s_endpgm
	.section	.rodata,"a",@progbits
	.p2align	6, 0x0
	.amdhsa_kernel _ZN9rocsolver6v33100L18trti2_kernel_smallILi51EdPKPdEEv13rocblas_fill_17rocblas_diagonal_T1_iil
		.amdhsa_group_segment_fixed_size 824
		.amdhsa_private_segment_fixed_size 416
		.amdhsa_kernarg_size 32
		.amdhsa_user_sgpr_count 6
		.amdhsa_user_sgpr_private_segment_buffer 1
		.amdhsa_user_sgpr_dispatch_ptr 0
		.amdhsa_user_sgpr_queue_ptr 0
		.amdhsa_user_sgpr_kernarg_segment_ptr 1
		.amdhsa_user_sgpr_dispatch_id 0
		.amdhsa_user_sgpr_flat_scratch_init 0
		.amdhsa_user_sgpr_private_segment_size 0
		.amdhsa_uses_dynamic_stack 0
		.amdhsa_system_sgpr_private_segment_wavefront_offset 1
		.amdhsa_system_sgpr_workgroup_id_x 1
		.amdhsa_system_sgpr_workgroup_id_y 0
		.amdhsa_system_sgpr_workgroup_id_z 0
		.amdhsa_system_sgpr_workgroup_info 0
		.amdhsa_system_vgpr_workitem_id 0
		.amdhsa_next_free_vgpr 116
		.amdhsa_next_free_sgpr 64
		.amdhsa_reserve_vcc 1
		.amdhsa_reserve_flat_scratch 0
		.amdhsa_float_round_mode_32 0
		.amdhsa_float_round_mode_16_64 0
		.amdhsa_float_denorm_mode_32 3
		.amdhsa_float_denorm_mode_16_64 3
		.amdhsa_dx10_clamp 1
		.amdhsa_ieee_mode 1
		.amdhsa_fp16_overflow 0
		.amdhsa_exception_fp_ieee_invalid_op 0
		.amdhsa_exception_fp_denorm_src 0
		.amdhsa_exception_fp_ieee_div_zero 0
		.amdhsa_exception_fp_ieee_overflow 0
		.amdhsa_exception_fp_ieee_underflow 0
		.amdhsa_exception_fp_ieee_inexact 0
		.amdhsa_exception_int_div_zero 0
	.end_amdhsa_kernel
	.section	.text._ZN9rocsolver6v33100L18trti2_kernel_smallILi51EdPKPdEEv13rocblas_fill_17rocblas_diagonal_T1_iil,"axG",@progbits,_ZN9rocsolver6v33100L18trti2_kernel_smallILi51EdPKPdEEv13rocblas_fill_17rocblas_diagonal_T1_iil,comdat
.Lfunc_end114:
	.size	_ZN9rocsolver6v33100L18trti2_kernel_smallILi51EdPKPdEEv13rocblas_fill_17rocblas_diagonal_T1_iil, .Lfunc_end114-_ZN9rocsolver6v33100L18trti2_kernel_smallILi51EdPKPdEEv13rocblas_fill_17rocblas_diagonal_T1_iil
                                        ; -- End function
	.set _ZN9rocsolver6v33100L18trti2_kernel_smallILi51EdPKPdEEv13rocblas_fill_17rocblas_diagonal_T1_iil.num_vgpr, 116
	.set _ZN9rocsolver6v33100L18trti2_kernel_smallILi51EdPKPdEEv13rocblas_fill_17rocblas_diagonal_T1_iil.num_agpr, 0
	.set _ZN9rocsolver6v33100L18trti2_kernel_smallILi51EdPKPdEEv13rocblas_fill_17rocblas_diagonal_T1_iil.numbered_sgpr, 64
	.set _ZN9rocsolver6v33100L18trti2_kernel_smallILi51EdPKPdEEv13rocblas_fill_17rocblas_diagonal_T1_iil.num_named_barrier, 0
	.set _ZN9rocsolver6v33100L18trti2_kernel_smallILi51EdPKPdEEv13rocblas_fill_17rocblas_diagonal_T1_iil.private_seg_size, 416
	.set _ZN9rocsolver6v33100L18trti2_kernel_smallILi51EdPKPdEEv13rocblas_fill_17rocblas_diagonal_T1_iil.uses_vcc, 1
	.set _ZN9rocsolver6v33100L18trti2_kernel_smallILi51EdPKPdEEv13rocblas_fill_17rocblas_diagonal_T1_iil.uses_flat_scratch, 0
	.set _ZN9rocsolver6v33100L18trti2_kernel_smallILi51EdPKPdEEv13rocblas_fill_17rocblas_diagonal_T1_iil.has_dyn_sized_stack, 0
	.set _ZN9rocsolver6v33100L18trti2_kernel_smallILi51EdPKPdEEv13rocblas_fill_17rocblas_diagonal_T1_iil.has_recursion, 0
	.set _ZN9rocsolver6v33100L18trti2_kernel_smallILi51EdPKPdEEv13rocblas_fill_17rocblas_diagonal_T1_iil.has_indirect_call, 0
	.section	.AMDGPU.csdata,"",@progbits
; Kernel info:
; codeLenInByte = 30284
; TotalNumSgprs: 68
; NumVgprs: 116
; ScratchSize: 416
; MemoryBound: 0
; FloatMode: 240
; IeeeMode: 1
; LDSByteSize: 824 bytes/workgroup (compile time only)
; SGPRBlocks: 8
; VGPRBlocks: 28
; NumSGPRsForWavesPerEU: 68
; NumVGPRsForWavesPerEU: 116
; Occupancy: 2
; WaveLimiterHint : 1
; COMPUTE_PGM_RSRC2:SCRATCH_EN: 1
; COMPUTE_PGM_RSRC2:USER_SGPR: 6
; COMPUTE_PGM_RSRC2:TRAP_HANDLER: 0
; COMPUTE_PGM_RSRC2:TGID_X_EN: 1
; COMPUTE_PGM_RSRC2:TGID_Y_EN: 0
; COMPUTE_PGM_RSRC2:TGID_Z_EN: 0
; COMPUTE_PGM_RSRC2:TIDIG_COMP_CNT: 0
	.section	.text._ZN9rocsolver6v33100L18trti2_kernel_smallILi52EdPKPdEEv13rocblas_fill_17rocblas_diagonal_T1_iil,"axG",@progbits,_ZN9rocsolver6v33100L18trti2_kernel_smallILi52EdPKPdEEv13rocblas_fill_17rocblas_diagonal_T1_iil,comdat
	.globl	_ZN9rocsolver6v33100L18trti2_kernel_smallILi52EdPKPdEEv13rocblas_fill_17rocblas_diagonal_T1_iil ; -- Begin function _ZN9rocsolver6v33100L18trti2_kernel_smallILi52EdPKPdEEv13rocblas_fill_17rocblas_diagonal_T1_iil
	.p2align	8
	.type	_ZN9rocsolver6v33100L18trti2_kernel_smallILi52EdPKPdEEv13rocblas_fill_17rocblas_diagonal_T1_iil,@function
_ZN9rocsolver6v33100L18trti2_kernel_smallILi52EdPKPdEEv13rocblas_fill_17rocblas_diagonal_T1_iil: ; @_ZN9rocsolver6v33100L18trti2_kernel_smallILi52EdPKPdEEv13rocblas_fill_17rocblas_diagonal_T1_iil
; %bb.0:
	s_add_u32 s0, s0, s7
	s_addc_u32 s1, s1, 0
	v_cmp_gt_u32_e32 vcc, 52, v0
	s_and_saveexec_b64 s[8:9], vcc
	s_cbranch_execz .LBB115_1010
; %bb.1:
	s_load_dwordx2 s[12:13], s[4:5], 0x10
	s_load_dwordx4 s[8:11], s[4:5], 0x0
	s_ashr_i32 s7, s6, 31
	s_lshl_b64 s[6:7], s[6:7], 3
	v_lshlrev_b32_e32 v107, 3, v0
	s_waitcnt lgkmcnt(0)
	s_ashr_i32 s5, s12, 31
	s_add_u32 s6, s10, s6
	s_addc_u32 s7, s11, s7
	s_load_dwordx2 s[6:7], s[6:7], 0x0
	s_mov_b32 s4, s12
	s_lshl_b64 s[4:5], s[4:5], 3
	s_waitcnt lgkmcnt(0)
	s_add_u32 s4, s6, s4
	s_addc_u32 s5, s7, s5
	v_mov_b32_e32 v2, s5
	v_add_co_u32_e32 v1, vcc, s4, v107
	v_addc_co_u32_e32 v2, vcc, 0, v2, vcc
	flat_load_dwordx2 v[5:6], v[1:2]
	s_mov_b32 s6, s13
	s_ashr_i32 s7, s13, 31
	s_lshl_b64 s[6:7], s[6:7], 3
	v_mov_b32_e32 v4, s7
	v_add_co_u32_e32 v3, vcc, s6, v1
	v_addc_co_u32_e32 v4, vcc, v2, v4, vcc
	s_add_i32 s6, s13, s13
	v_add_u32_e32 v9, s6, v0
	v_ashrrev_i32_e32 v10, 31, v9
	v_mov_b32_e32 v11, s5
	v_add_u32_e32 v12, s13, v9
	v_ashrrev_i32_e32 v13, 31, v12
	v_mov_b32_e32 v14, s5
	v_mov_b32_e32 v15, s5
	v_mov_b32_e32 v17, s5
	v_mov_b32_e32 v20, s5
	v_mov_b32_e32 v21, s5
	v_mov_b32_e32 v23, s5
	v_mov_b32_e32 v26, s5
	v_mov_b32_e32 v27, s5
	v_mov_b32_e32 v29, s5
	v_mov_b32_e32 v32, s5
	v_mov_b32_e32 v33, s5
	v_mov_b32_e32 v35, s5
	v_mov_b32_e32 v38, s5
	v_mov_b32_e32 v39, s5
	v_mov_b32_e32 v41, s5
	v_mov_b32_e32 v44, s5
	v_mov_b32_e32 v45, s5
	v_mov_b32_e32 v47, s5
	v_mov_b32_e32 v50, s5
	v_mov_b32_e32 v51, s5
	v_mov_b32_e32 v53, s5
	v_mov_b32_e32 v56, s5
	v_mov_b32_e32 v57, s5
	v_mov_b32_e32 v59, s5
	v_mov_b32_e32 v62, s5
	v_mov_b32_e32 v63, s5
	v_mov_b32_e32 v65, s5
	v_mov_b32_e32 v68, s5
	v_mov_b32_e32 v69, s5
	v_mov_b32_e32 v71, s5
	v_mov_b32_e32 v74, s5
	v_mov_b32_e32 v75, s5
	v_mov_b32_e32 v77, s5
	v_mov_b32_e32 v80, s5
	v_mov_b32_e32 v81, s5
	v_mov_b32_e32 v83, s5
	v_mov_b32_e32 v86, s5
	v_mov_b32_e32 v87, s5
	v_mov_b32_e32 v89, s5
	v_mov_b32_e32 v92, s5
	v_mov_b32_e32 v93, s5
	v_mov_b32_e32 v95, s5
	v_mov_b32_e32 v98, s5
	v_mov_b32_e32 v99, s5
	v_mov_b32_e32 v101, s5
	v_mov_b32_e32 v104, s5
	v_mov_b32_e32 v105, s5
	v_mov_b32_e32 v108, s5
	s_cmpk_lg_i32 s9, 0x84
	s_cselect_b64 s[10:11], -1, 0
	s_cmpk_eq_i32 s9, 0x84
	s_waitcnt vmcnt(0) lgkmcnt(0)
	buffer_store_dword v6, off, s[0:3], 0 offset:4
	buffer_store_dword v5, off, s[0:3], 0
	flat_load_dwordx2 v[7:8], v[3:4]
	v_lshlrev_b64 v[5:6], 3, v[9:10]
	s_waitcnt vmcnt(0) lgkmcnt(0)
	buffer_store_dword v8, off, s[0:3], 0 offset:12
	buffer_store_dword v7, off, s[0:3], 0 offset:8
	v_add_co_u32_e32 v5, vcc, s4, v5
	v_addc_co_u32_e32 v6, vcc, v11, v6, vcc
	flat_load_dwordx2 v[10:11], v[5:6]
	v_lshlrev_b64 v[7:8], 3, v[12:13]
	s_waitcnt vmcnt(0) lgkmcnt(0)
	buffer_store_dword v11, off, s[0:3], 0 offset:20
	buffer_store_dword v10, off, s[0:3], 0 offset:16
	v_add_co_u32_e32 v7, vcc, s4, v7
	v_addc_co_u32_e32 v8, vcc, v14, v8, vcc
	flat_load_dwordx2 v[13:14], v[7:8]
	v_add_u32_e32 v11, s13, v12
	v_ashrrev_i32_e32 v12, 31, v11
	v_lshlrev_b64 v[9:10], 3, v[11:12]
	s_waitcnt vmcnt(0) lgkmcnt(0)
	buffer_store_dword v14, off, s[0:3], 0 offset:28
	buffer_store_dword v13, off, s[0:3], 0 offset:24
	v_add_co_u32_e32 v9, vcc, s4, v9
	v_addc_co_u32_e32 v10, vcc, v15, v10, vcc
	flat_load_dwordx2 v[13:14], v[9:10]
	v_add_u32_e32 v15, s13, v11
	v_ashrrev_i32_e32 v16, 31, v15
	v_lshlrev_b64 v[11:12], 3, v[15:16]
	v_add_u32_e32 v18, s13, v15
	v_add_co_u32_e32 v11, vcc, s4, v11
	v_addc_co_u32_e32 v12, vcc, v17, v12, vcc
	v_ashrrev_i32_e32 v19, 31, v18
	s_waitcnt vmcnt(0) lgkmcnt(0)
	buffer_store_dword v14, off, s[0:3], 0 offset:36
	buffer_store_dword v13, off, s[0:3], 0 offset:32
	flat_load_dwordx2 v[16:17], v[11:12]
	v_lshlrev_b64 v[13:14], 3, v[18:19]
	s_waitcnt vmcnt(0) lgkmcnt(0)
	buffer_store_dword v17, off, s[0:3], 0 offset:44
	buffer_store_dword v16, off, s[0:3], 0 offset:40
	v_add_co_u32_e32 v13, vcc, s4, v13
	v_addc_co_u32_e32 v14, vcc, v20, v14, vcc
	flat_load_dwordx2 v[19:20], v[13:14]
	v_add_u32_e32 v17, s13, v18
	v_ashrrev_i32_e32 v18, 31, v17
	v_lshlrev_b64 v[15:16], 3, v[17:18]
	s_waitcnt vmcnt(0) lgkmcnt(0)
	buffer_store_dword v20, off, s[0:3], 0 offset:52
	buffer_store_dword v19, off, s[0:3], 0 offset:48
	v_add_co_u32_e32 v15, vcc, s4, v15
	v_addc_co_u32_e32 v16, vcc, v21, v16, vcc
	flat_load_dwordx2 v[19:20], v[15:16]
	v_add_u32_e32 v21, s13, v17
	v_ashrrev_i32_e32 v22, 31, v21
	v_lshlrev_b64 v[17:18], 3, v[21:22]
	v_add_u32_e32 v24, s13, v21
	v_add_co_u32_e32 v17, vcc, s4, v17
	v_addc_co_u32_e32 v18, vcc, v23, v18, vcc
	v_ashrrev_i32_e32 v25, 31, v24
	s_waitcnt vmcnt(0) lgkmcnt(0)
	buffer_store_dword v20, off, s[0:3], 0 offset:60
	buffer_store_dword v19, off, s[0:3], 0 offset:56
	flat_load_dwordx2 v[22:23], v[17:18]
	v_lshlrev_b64 v[19:20], 3, v[24:25]
	s_waitcnt vmcnt(0) lgkmcnt(0)
	buffer_store_dword v23, off, s[0:3], 0 offset:68
	buffer_store_dword v22, off, s[0:3], 0 offset:64
	v_add_co_u32_e32 v19, vcc, s4, v19
	v_addc_co_u32_e32 v20, vcc, v26, v20, vcc
	flat_load_dwordx2 v[25:26], v[19:20]
	v_add_u32_e32 v23, s13, v24
	v_ashrrev_i32_e32 v24, 31, v23
	v_lshlrev_b64 v[21:22], 3, v[23:24]
	s_waitcnt vmcnt(0) lgkmcnt(0)
	buffer_store_dword v26, off, s[0:3], 0 offset:76
	buffer_store_dword v25, off, s[0:3], 0 offset:72
	v_add_co_u32_e32 v21, vcc, s4, v21
	v_addc_co_u32_e32 v22, vcc, v27, v22, vcc
	flat_load_dwordx2 v[25:26], v[21:22]
	v_add_u32_e32 v27, s13, v23
	v_ashrrev_i32_e32 v28, 31, v27
	v_lshlrev_b64 v[23:24], 3, v[27:28]
	v_add_u32_e32 v30, s13, v27
	v_add_co_u32_e32 v23, vcc, s4, v23
	v_addc_co_u32_e32 v24, vcc, v29, v24, vcc
	v_ashrrev_i32_e32 v31, 31, v30
	s_waitcnt vmcnt(0) lgkmcnt(0)
	buffer_store_dword v26, off, s[0:3], 0 offset:84
	buffer_store_dword v25, off, s[0:3], 0 offset:80
	flat_load_dwordx2 v[28:29], v[23:24]
	v_lshlrev_b64 v[25:26], 3, v[30:31]
	s_waitcnt vmcnt(0) lgkmcnt(0)
	buffer_store_dword v29, off, s[0:3], 0 offset:92
	buffer_store_dword v28, off, s[0:3], 0 offset:88
	v_add_co_u32_e32 v25, vcc, s4, v25
	v_addc_co_u32_e32 v26, vcc, v32, v26, vcc
	flat_load_dwordx2 v[31:32], v[25:26]
	v_add_u32_e32 v29, s13, v30
	v_ashrrev_i32_e32 v30, 31, v29
	v_lshlrev_b64 v[27:28], 3, v[29:30]
	s_waitcnt vmcnt(0) lgkmcnt(0)
	buffer_store_dword v32, off, s[0:3], 0 offset:100
	buffer_store_dword v31, off, s[0:3], 0 offset:96
	v_add_co_u32_e32 v27, vcc, s4, v27
	v_addc_co_u32_e32 v28, vcc, v33, v28, vcc
	flat_load_dwordx2 v[31:32], v[27:28]
	v_add_u32_e32 v33, s13, v29
	v_ashrrev_i32_e32 v34, 31, v33
	v_lshlrev_b64 v[29:30], 3, v[33:34]
	v_add_u32_e32 v36, s13, v33
	v_add_co_u32_e32 v29, vcc, s4, v29
	v_addc_co_u32_e32 v30, vcc, v35, v30, vcc
	v_ashrrev_i32_e32 v37, 31, v36
	s_waitcnt vmcnt(0) lgkmcnt(0)
	buffer_store_dword v32, off, s[0:3], 0 offset:108
	buffer_store_dword v31, off, s[0:3], 0 offset:104
	flat_load_dwordx2 v[34:35], v[29:30]
	v_lshlrev_b64 v[31:32], 3, v[36:37]
	s_waitcnt vmcnt(0) lgkmcnt(0)
	buffer_store_dword v35, off, s[0:3], 0 offset:116
	buffer_store_dword v34, off, s[0:3], 0 offset:112
	v_add_co_u32_e32 v31, vcc, s4, v31
	v_addc_co_u32_e32 v32, vcc, v38, v32, vcc
	flat_load_dwordx2 v[37:38], v[31:32]
	v_add_u32_e32 v35, s13, v36
	v_ashrrev_i32_e32 v36, 31, v35
	v_lshlrev_b64 v[33:34], 3, v[35:36]
	s_waitcnt vmcnt(0) lgkmcnt(0)
	buffer_store_dword v38, off, s[0:3], 0 offset:124
	buffer_store_dword v37, off, s[0:3], 0 offset:120
	v_add_co_u32_e32 v33, vcc, s4, v33
	v_addc_co_u32_e32 v34, vcc, v39, v34, vcc
	flat_load_dwordx2 v[37:38], v[33:34]
	v_add_u32_e32 v39, s13, v35
	v_ashrrev_i32_e32 v40, 31, v39
	v_lshlrev_b64 v[35:36], 3, v[39:40]
	v_add_u32_e32 v42, s13, v39
	v_add_co_u32_e32 v35, vcc, s4, v35
	v_addc_co_u32_e32 v36, vcc, v41, v36, vcc
	v_ashrrev_i32_e32 v43, 31, v42
	s_waitcnt vmcnt(0) lgkmcnt(0)
	buffer_store_dword v38, off, s[0:3], 0 offset:132
	buffer_store_dword v37, off, s[0:3], 0 offset:128
	flat_load_dwordx2 v[40:41], v[35:36]
	v_lshlrev_b64 v[37:38], 3, v[42:43]
	s_waitcnt vmcnt(0) lgkmcnt(0)
	buffer_store_dword v41, off, s[0:3], 0 offset:140
	buffer_store_dword v40, off, s[0:3], 0 offset:136
	v_add_co_u32_e32 v37, vcc, s4, v37
	v_addc_co_u32_e32 v38, vcc, v44, v38, vcc
	flat_load_dwordx2 v[43:44], v[37:38]
	v_add_u32_e32 v41, s13, v42
	v_ashrrev_i32_e32 v42, 31, v41
	v_lshlrev_b64 v[39:40], 3, v[41:42]
	s_waitcnt vmcnt(0) lgkmcnt(0)
	buffer_store_dword v44, off, s[0:3], 0 offset:148
	buffer_store_dword v43, off, s[0:3], 0 offset:144
	v_add_co_u32_e32 v39, vcc, s4, v39
	v_addc_co_u32_e32 v40, vcc, v45, v40, vcc
	flat_load_dwordx2 v[43:44], v[39:40]
	v_add_u32_e32 v45, s13, v41
	v_ashrrev_i32_e32 v46, 31, v45
	v_lshlrev_b64 v[41:42], 3, v[45:46]
	v_add_u32_e32 v48, s13, v45
	v_add_co_u32_e32 v41, vcc, s4, v41
	v_addc_co_u32_e32 v42, vcc, v47, v42, vcc
	v_ashrrev_i32_e32 v49, 31, v48
	s_waitcnt vmcnt(0) lgkmcnt(0)
	buffer_store_dword v44, off, s[0:3], 0 offset:156
	buffer_store_dword v43, off, s[0:3], 0 offset:152
	flat_load_dwordx2 v[46:47], v[41:42]
	v_lshlrev_b64 v[43:44], 3, v[48:49]
	s_waitcnt vmcnt(0) lgkmcnt(0)
	buffer_store_dword v47, off, s[0:3], 0 offset:164
	buffer_store_dword v46, off, s[0:3], 0 offset:160
	v_add_co_u32_e32 v43, vcc, s4, v43
	v_addc_co_u32_e32 v44, vcc, v50, v44, vcc
	flat_load_dwordx2 v[49:50], v[43:44]
	v_add_u32_e32 v47, s13, v48
	v_ashrrev_i32_e32 v48, 31, v47
	v_lshlrev_b64 v[45:46], 3, v[47:48]
	s_waitcnt vmcnt(0) lgkmcnt(0)
	buffer_store_dword v50, off, s[0:3], 0 offset:172
	buffer_store_dword v49, off, s[0:3], 0 offset:168
	v_add_co_u32_e32 v45, vcc, s4, v45
	v_addc_co_u32_e32 v46, vcc, v51, v46, vcc
	flat_load_dwordx2 v[49:50], v[45:46]
	v_add_u32_e32 v51, s13, v47
	v_ashrrev_i32_e32 v52, 31, v51
	v_lshlrev_b64 v[47:48], 3, v[51:52]
	v_add_u32_e32 v54, s13, v51
	v_add_co_u32_e32 v47, vcc, s4, v47
	v_addc_co_u32_e32 v48, vcc, v53, v48, vcc
	v_ashrrev_i32_e32 v55, 31, v54
	s_waitcnt vmcnt(0) lgkmcnt(0)
	buffer_store_dword v50, off, s[0:3], 0 offset:180
	buffer_store_dword v49, off, s[0:3], 0 offset:176
	flat_load_dwordx2 v[52:53], v[47:48]
	v_lshlrev_b64 v[49:50], 3, v[54:55]
	s_waitcnt vmcnt(0) lgkmcnt(0)
	buffer_store_dword v53, off, s[0:3], 0 offset:188
	buffer_store_dword v52, off, s[0:3], 0 offset:184
	v_add_co_u32_e32 v49, vcc, s4, v49
	v_addc_co_u32_e32 v50, vcc, v56, v50, vcc
	flat_load_dwordx2 v[55:56], v[49:50]
	v_add_u32_e32 v53, s13, v54
	v_ashrrev_i32_e32 v54, 31, v53
	v_lshlrev_b64 v[51:52], 3, v[53:54]
	s_waitcnt vmcnt(0) lgkmcnt(0)
	buffer_store_dword v56, off, s[0:3], 0 offset:196
	buffer_store_dword v55, off, s[0:3], 0 offset:192
	v_add_co_u32_e32 v51, vcc, s4, v51
	v_addc_co_u32_e32 v52, vcc, v57, v52, vcc
	flat_load_dwordx2 v[55:56], v[51:52]
	v_add_u32_e32 v57, s13, v53
	v_ashrrev_i32_e32 v58, 31, v57
	v_lshlrev_b64 v[53:54], 3, v[57:58]
	v_add_u32_e32 v60, s13, v57
	v_add_co_u32_e32 v53, vcc, s4, v53
	v_addc_co_u32_e32 v54, vcc, v59, v54, vcc
	s_waitcnt vmcnt(0) lgkmcnt(0)
	buffer_store_dword v56, off, s[0:3], 0 offset:204
	buffer_store_dword v55, off, s[0:3], 0 offset:200
	flat_load_dwordx2 v[58:59], v[53:54]
	v_ashrrev_i32_e32 v61, 31, v60
	v_lshlrev_b64 v[55:56], 3, v[60:61]
	s_waitcnt vmcnt(0) lgkmcnt(0)
	buffer_store_dword v59, off, s[0:3], 0 offset:212
	buffer_store_dword v58, off, s[0:3], 0 offset:208
	v_add_co_u32_e32 v55, vcc, s4, v55
	v_addc_co_u32_e32 v56, vcc, v62, v56, vcc
	flat_load_dwordx2 v[61:62], v[55:56]
	v_add_u32_e32 v59, s13, v60
	v_ashrrev_i32_e32 v60, 31, v59
	v_lshlrev_b64 v[57:58], 3, v[59:60]
	s_waitcnt vmcnt(0) lgkmcnt(0)
	buffer_store_dword v62, off, s[0:3], 0 offset:220
	buffer_store_dword v61, off, s[0:3], 0 offset:216
	v_add_co_u32_e32 v57, vcc, s4, v57
	v_addc_co_u32_e32 v58, vcc, v63, v58, vcc
	flat_load_dwordx2 v[61:62], v[57:58]
	v_add_u32_e32 v63, s13, v59
	;; [unrolled: 9-line block ×24, first 2 shown]
	v_ashrrev_i32_e32 v104, 31, v103
	v_lshlrev_b64 v[103:104], 3, v[103:104]
	v_mov_b32_e32 v106, s5
	v_add_co_u32_e32 v103, vcc, s4, v103
	v_addc_co_u32_e32 v104, vcc, v106, v104, vcc
	s_waitcnt vmcnt(0) lgkmcnt(0)
	buffer_store_dword v109, off, s[0:3], 0 offset:404
	buffer_store_dword v108, off, s[0:3], 0 offset:400
	flat_load_dwordx2 v[108:109], v[103:104]
	v_mov_b32_e32 v105, 0
	v_mov_b32_e32 v106, 0xbff00000
	s_waitcnt vmcnt(0) lgkmcnt(0)
	buffer_store_dword v109, off, s[0:3], 0 offset:412
	buffer_store_dword v108, off, s[0:3], 0 offset:408
	s_cbranch_scc1 .LBB115_3
; %bb.2:
	v_mov_b32_e32 v105, 0
	v_lshl_add_u32 v116, v0, 3, v105
	buffer_load_dword v105, v116, s[0:3], 0 offen
	buffer_load_dword v106, v116, s[0:3], 0 offen offset:4
	s_waitcnt vmcnt(0)
	v_div_scale_f64 v[108:109], s[4:5], v[105:106], v[105:106], 1.0
	v_rcp_f64_e32 v[110:111], v[108:109]
	v_fma_f64 v[112:113], -v[108:109], v[110:111], 1.0
	v_fma_f64 v[110:111], v[110:111], v[112:113], v[110:111]
	v_div_scale_f64 v[112:113], vcc, 1.0, v[105:106], 1.0
	v_fma_f64 v[114:115], -v[108:109], v[110:111], 1.0
	v_fma_f64 v[110:111], v[110:111], v[114:115], v[110:111]
	v_mul_f64 v[114:115], v[112:113], v[110:111]
	v_fma_f64 v[108:109], -v[108:109], v[114:115], v[112:113]
	v_div_fmas_f64 v[108:109], v[108:109], v[110:111], v[114:115]
	v_div_fixup_f64 v[105:106], v[108:109], v[105:106], 1.0
	buffer_store_dword v105, v116, s[0:3], 0 offen
	buffer_store_dword v106, v116, s[0:3], 0 offen offset:4
	v_xor_b32_e32 v106, 0x80000000, v106
.LBB115_3:
	s_cmpk_eq_i32 s8, 0x79
	v_add_u32_e32 v108, 0x1a0, v107
	v_mov_b32_e32 v109, v107
	s_mov_b64 s[4:5], -1
	ds_write_b64 v107, v[105:106]
	s_cbranch_scc1 .LBB115_507
; %bb.4:
	buffer_load_dword v105, off, s[0:3], 0 offset:400
	buffer_load_dword v106, off, s[0:3], 0 offset:404
	s_movk_i32 s12, 0x48
	s_movk_i32 s13, 0x50
	;; [unrolled: 1-line block ×41, first 2 shown]
	v_cmp_eq_u32_e64 s[4:5], 51, v0
	s_waitcnt vmcnt(0)
	ds_write_b64 v108, v[105:106]
	s_waitcnt lgkmcnt(0)
	; wave barrier
	s_and_saveexec_b64 s[6:7], s[4:5]
	s_cbranch_execz .LBB115_10
; %bb.5:
	s_and_b64 vcc, exec, s[10:11]
	s_cbranch_vccz .LBB115_7
; %bb.6:
	buffer_load_dword v105, v109, s[0:3], 0 offen
	buffer_load_dword v106, v109, s[0:3], 0 offen offset:4
	ds_read_b64 v[110:111], v108
	s_waitcnt vmcnt(0) lgkmcnt(0)
	v_mul_f64 v[105:106], v[105:106], v[110:111]
	s_cbranch_execz .LBB115_8
	s_branch .LBB115_9
.LBB115_7:
                                        ; implicit-def: $vgpr105_vgpr106
.LBB115_8:
	ds_read_b64 v[105:106], v108
.LBB115_9:
	v_mov_b32_e32 v110, 0
	ds_read_b64 v[110:111], v110 offset:400
	s_waitcnt lgkmcnt(0)
	v_mul_f64 v[105:106], v[105:106], v[110:111]
	buffer_store_dword v106, off, s[0:3], 0 offset:404
	buffer_store_dword v105, off, s[0:3], 0 offset:400
.LBB115_10:
	s_or_b64 exec, exec, s[6:7]
	buffer_load_dword v105, off, s[0:3], 0 offset:392
	buffer_load_dword v106, off, s[0:3], 0 offset:396
	s_or_b32 s14, 0, 8
	s_mov_b32 s15, 16
	s_mov_b32 s16, 24
	;; [unrolled: 1-line block ×9, first 2 shown]
	v_cmp_lt_u32_e64 s[6:7], 49, v0
	s_waitcnt vmcnt(0)
	ds_write_b64 v108, v[105:106]
	s_waitcnt lgkmcnt(0)
	; wave barrier
	s_and_saveexec_b64 s[8:9], s[6:7]
	s_cbranch_execz .LBB115_16
; %bb.11:
	s_andn2_b64 vcc, exec, s[10:11]
	s_cbranch_vccnz .LBB115_13
; %bb.12:
	buffer_load_dword v105, v109, s[0:3], 0 offen
	buffer_load_dword v106, v109, s[0:3], 0 offen offset:4
	ds_read_b64 v[110:111], v108
	s_waitcnt vmcnt(0) lgkmcnt(0)
	v_mul_f64 v[105:106], v[105:106], v[110:111]
	s_cbranch_execz .LBB115_14
	s_branch .LBB115_15
.LBB115_13:
                                        ; implicit-def: $vgpr105_vgpr106
.LBB115_14:
	ds_read_b64 v[105:106], v108
.LBB115_15:
	buffer_load_dword v114, off, s[0:3], 0 offset:400
	buffer_load_dword v115, off, s[0:3], 0 offset:404
	v_mov_b32_e32 v110, 0
	ds_read2_b64 v[110:113], v110 offset0:49 offset1:102
	s_waitcnt vmcnt(0) lgkmcnt(0)
	v_fma_f64 v[112:113], v[114:115], v[112:113], v[105:106]
	v_cndmask_b32_e64 v106, v106, v113, s[4:5]
	v_cndmask_b32_e64 v105, v105, v112, s[4:5]
	v_mul_f64 v[105:106], v[105:106], v[110:111]
	buffer_store_dword v106, off, s[0:3], 0 offset:396
	buffer_store_dword v105, off, s[0:3], 0 offset:392
.LBB115_16:
	s_or_b64 exec, exec, s[8:9]
	buffer_load_dword v105, off, s[0:3], 0 offset:384
	buffer_load_dword v106, off, s[0:3], 0 offset:388
	v_cmp_lt_u32_e64 s[4:5], 48, v0
	s_waitcnt vmcnt(0)
	ds_write_b64 v108, v[105:106]
	s_waitcnt lgkmcnt(0)
	; wave barrier
	s_and_saveexec_b64 s[8:9], s[4:5]
	s_cbranch_execz .LBB115_26
; %bb.17:
	s_andn2_b64 vcc, exec, s[10:11]
	s_cbranch_vccnz .LBB115_19
; %bb.18:
	buffer_load_dword v105, v109, s[0:3], 0 offen
	buffer_load_dword v106, v109, s[0:3], 0 offen offset:4
	ds_read_b64 v[110:111], v108
	s_waitcnt vmcnt(0) lgkmcnt(0)
	v_mul_f64 v[105:106], v[105:106], v[110:111]
	s_cbranch_execz .LBB115_20
	s_branch .LBB115_21
.LBB115_19:
                                        ; implicit-def: $vgpr105_vgpr106
.LBB115_20:
	ds_read_b64 v[105:106], v108
.LBB115_21:
	s_and_saveexec_b64 s[12:13], s[6:7]
	s_cbranch_execz .LBB115_25
; %bb.22:
	v_subrev_u32_e32 v110, 49, v0
	s_movk_i32 s64, 0x328
	s_mov_b64 s[6:7], 0
.LBB115_23:                             ; =>This Inner Loop Header: Depth=1
	v_mov_b32_e32 v112, s63
	buffer_load_dword v111, v112, s[0:3], 0 offen
	s_nop 0
	buffer_load_dword v112, v112, s[0:3], 0 offen offset:4
	v_mov_b32_e32 v113, s64
	ds_read_b64 v[113:114], v113
	v_add_u32_e32 v110, -1, v110
	s_add_i32 s64, s64, 8
	s_add_i32 s63, s63, 8
	v_cmp_eq_u32_e32 vcc, 0, v110
	s_or_b64 s[6:7], vcc, s[6:7]
	s_waitcnt vmcnt(0) lgkmcnt(0)
	v_fma_f64 v[105:106], v[111:112], v[113:114], v[105:106]
	s_andn2_b64 exec, exec, s[6:7]
	s_cbranch_execnz .LBB115_23
; %bb.24:
	s_or_b64 exec, exec, s[6:7]
.LBB115_25:
	s_or_b64 exec, exec, s[12:13]
	v_mov_b32_e32 v110, 0
	ds_read_b64 v[110:111], v110 offset:384
	s_waitcnt lgkmcnt(0)
	v_mul_f64 v[105:106], v[105:106], v[110:111]
	buffer_store_dword v106, off, s[0:3], 0 offset:388
	buffer_store_dword v105, off, s[0:3], 0 offset:384
.LBB115_26:
	s_or_b64 exec, exec, s[8:9]
	buffer_load_dword v105, off, s[0:3], 0 offset:376
	buffer_load_dword v106, off, s[0:3], 0 offset:380
	v_cmp_lt_u32_e64 s[6:7], 47, v0
	s_waitcnt vmcnt(0)
	ds_write_b64 v108, v[105:106]
	s_waitcnt lgkmcnt(0)
	; wave barrier
	s_and_saveexec_b64 s[8:9], s[6:7]
	s_cbranch_execz .LBB115_36
; %bb.27:
	s_andn2_b64 vcc, exec, s[10:11]
	s_cbranch_vccnz .LBB115_29
; %bb.28:
	buffer_load_dword v105, v109, s[0:3], 0 offen
	buffer_load_dword v106, v109, s[0:3], 0 offen offset:4
	ds_read_b64 v[110:111], v108
	s_waitcnt vmcnt(0) lgkmcnt(0)
	v_mul_f64 v[105:106], v[105:106], v[110:111]
	s_cbranch_execz .LBB115_30
	s_branch .LBB115_31
.LBB115_29:
                                        ; implicit-def: $vgpr105_vgpr106
.LBB115_30:
	ds_read_b64 v[105:106], v108
.LBB115_31:
	s_and_saveexec_b64 s[12:13], s[4:5]
	s_cbranch_execz .LBB115_35
; %bb.32:
	v_subrev_u32_e32 v110, 48, v0
	s_movk_i32 s63, 0x320
	s_mov_b64 s[4:5], 0
.LBB115_33:                             ; =>This Inner Loop Header: Depth=1
	v_mov_b32_e32 v112, s62
	buffer_load_dword v111, v112, s[0:3], 0 offen
	s_nop 0
	buffer_load_dword v112, v112, s[0:3], 0 offen offset:4
	v_mov_b32_e32 v113, s63
	ds_read_b64 v[113:114], v113
	v_add_u32_e32 v110, -1, v110
	s_add_i32 s63, s63, 8
	s_add_i32 s62, s62, 8
	v_cmp_eq_u32_e32 vcc, 0, v110
	s_or_b64 s[4:5], vcc, s[4:5]
	s_waitcnt vmcnt(0) lgkmcnt(0)
	v_fma_f64 v[105:106], v[111:112], v[113:114], v[105:106]
	s_andn2_b64 exec, exec, s[4:5]
	s_cbranch_execnz .LBB115_33
; %bb.34:
	s_or_b64 exec, exec, s[4:5]
.LBB115_35:
	s_or_b64 exec, exec, s[12:13]
	v_mov_b32_e32 v110, 0
	ds_read_b64 v[110:111], v110 offset:376
	s_waitcnt lgkmcnt(0)
	v_mul_f64 v[105:106], v[105:106], v[110:111]
	buffer_store_dword v106, off, s[0:3], 0 offset:380
	buffer_store_dword v105, off, s[0:3], 0 offset:376
.LBB115_36:
	;; [unrolled: 59-line block ×8, first 2 shown]
	s_or_b64 exec, exec, s[8:9]
	buffer_load_dword v105, off, s[0:3], 0 offset:320
	buffer_load_dword v106, off, s[0:3], 0 offset:324
	v_cmp_lt_u32_e64 s[4:5], 40, v0
	s_waitcnt vmcnt(0)
	ds_write_b64 v108, v[105:106]
	s_waitcnt lgkmcnt(0)
	; wave barrier
	s_and_saveexec_b64 s[8:9], s[4:5]
	s_cbranch_execz .LBB115_106
; %bb.97:
	s_andn2_b64 vcc, exec, s[10:11]
	s_cbranch_vccnz .LBB115_99
; %bb.98:
	buffer_load_dword v105, v109, s[0:3], 0 offen
	buffer_load_dword v106, v109, s[0:3], 0 offen offset:4
	ds_read_b64 v[110:111], v108
	s_waitcnt vmcnt(0) lgkmcnt(0)
	v_mul_f64 v[105:106], v[105:106], v[110:111]
	s_cbranch_execz .LBB115_100
	s_branch .LBB115_101
.LBB115_99:
                                        ; implicit-def: $vgpr105_vgpr106
.LBB115_100:
	ds_read_b64 v[105:106], v108
.LBB115_101:
	s_and_saveexec_b64 s[12:13], s[6:7]
	s_cbranch_execz .LBB115_105
; %bb.102:
	v_subrev_u32_e32 v110, 41, v0
	s_movk_i32 s56, 0x2e8
	s_mov_b64 s[6:7], 0
.LBB115_103:                            ; =>This Inner Loop Header: Depth=1
	v_mov_b32_e32 v112, s55
	buffer_load_dword v111, v112, s[0:3], 0 offen
	s_nop 0
	buffer_load_dword v112, v112, s[0:3], 0 offen offset:4
	v_mov_b32_e32 v113, s56
	ds_read_b64 v[113:114], v113
	v_add_u32_e32 v110, -1, v110
	s_add_i32 s56, s56, 8
	s_add_i32 s55, s55, 8
	v_cmp_eq_u32_e32 vcc, 0, v110
	s_or_b64 s[6:7], vcc, s[6:7]
	s_waitcnt vmcnt(0) lgkmcnt(0)
	v_fma_f64 v[105:106], v[111:112], v[113:114], v[105:106]
	s_andn2_b64 exec, exec, s[6:7]
	s_cbranch_execnz .LBB115_103
; %bb.104:
	s_or_b64 exec, exec, s[6:7]
.LBB115_105:
	s_or_b64 exec, exec, s[12:13]
	v_mov_b32_e32 v110, 0
	ds_read_b64 v[110:111], v110 offset:320
	s_waitcnt lgkmcnt(0)
	v_mul_f64 v[105:106], v[105:106], v[110:111]
	buffer_store_dword v106, off, s[0:3], 0 offset:324
	buffer_store_dword v105, off, s[0:3], 0 offset:320
.LBB115_106:
	s_or_b64 exec, exec, s[8:9]
	buffer_load_dword v105, off, s[0:3], 0 offset:312
	buffer_load_dword v106, off, s[0:3], 0 offset:316
	v_cmp_lt_u32_e64 s[6:7], 39, v0
	s_waitcnt vmcnt(0)
	ds_write_b64 v108, v[105:106]
	s_waitcnt lgkmcnt(0)
	; wave barrier
	s_and_saveexec_b64 s[8:9], s[6:7]
	s_cbranch_execz .LBB115_116
; %bb.107:
	s_andn2_b64 vcc, exec, s[10:11]
	s_cbranch_vccnz .LBB115_109
; %bb.108:
	buffer_load_dword v105, v109, s[0:3], 0 offen
	buffer_load_dword v106, v109, s[0:3], 0 offen offset:4
	ds_read_b64 v[110:111], v108
	s_waitcnt vmcnt(0) lgkmcnt(0)
	v_mul_f64 v[105:106], v[105:106], v[110:111]
	s_cbranch_execz .LBB115_110
	s_branch .LBB115_111
.LBB115_109:
                                        ; implicit-def: $vgpr105_vgpr106
.LBB115_110:
	ds_read_b64 v[105:106], v108
.LBB115_111:
	s_and_saveexec_b64 s[12:13], s[4:5]
	s_cbranch_execz .LBB115_115
; %bb.112:
	v_subrev_u32_e32 v110, 40, v0
	s_movk_i32 s55, 0x2e0
	s_mov_b64 s[4:5], 0
.LBB115_113:                            ; =>This Inner Loop Header: Depth=1
	v_mov_b32_e32 v112, s54
	buffer_load_dword v111, v112, s[0:3], 0 offen
	s_nop 0
	buffer_load_dword v112, v112, s[0:3], 0 offen offset:4
	v_mov_b32_e32 v113, s55
	ds_read_b64 v[113:114], v113
	v_add_u32_e32 v110, -1, v110
	s_add_i32 s55, s55, 8
	s_add_i32 s54, s54, 8
	v_cmp_eq_u32_e32 vcc, 0, v110
	s_or_b64 s[4:5], vcc, s[4:5]
	s_waitcnt vmcnt(0) lgkmcnt(0)
	v_fma_f64 v[105:106], v[111:112], v[113:114], v[105:106]
	s_andn2_b64 exec, exec, s[4:5]
	s_cbranch_execnz .LBB115_113
; %bb.114:
	s_or_b64 exec, exec, s[4:5]
.LBB115_115:
	s_or_b64 exec, exec, s[12:13]
	v_mov_b32_e32 v110, 0
	ds_read_b64 v[110:111], v110 offset:312
	s_waitcnt lgkmcnt(0)
	v_mul_f64 v[105:106], v[105:106], v[110:111]
	buffer_store_dword v106, off, s[0:3], 0 offset:316
	buffer_store_dword v105, off, s[0:3], 0 offset:312
.LBB115_116:
	;; [unrolled: 59-line block ×5, first 2 shown]
	s_or_b64 exec, exec, s[4:5]
	buffer_load_dword v105, off, s[0:3], 0 offset:280
	buffer_load_dword v106, off, s[0:3], 0 offset:284
	v_cmp_lt_u32_e64 s[4:5], 35, v0
	s_waitcnt vmcnt(0)
	ds_write_b64 v108, v[105:106]
	s_waitcnt lgkmcnt(0)
	; wave barrier
	s_and_saveexec_b64 s[6:7], s[4:5]
	s_cbranch_execz .LBB115_156
; %bb.147:
	s_andn2_b64 vcc, exec, s[10:11]
	s_cbranch_vccnz .LBB115_149
; %bb.148:
	buffer_load_dword v105, v109, s[0:3], 0 offen
	buffer_load_dword v106, v109, s[0:3], 0 offen offset:4
	ds_read_b64 v[110:111], v108
	s_waitcnt vmcnt(0) lgkmcnt(0)
	v_mul_f64 v[105:106], v[105:106], v[110:111]
	s_cbranch_execz .LBB115_150
	s_branch .LBB115_151
.LBB115_149:
                                        ; implicit-def: $vgpr105_vgpr106
.LBB115_150:
	ds_read_b64 v[105:106], v108
.LBB115_151:
	s_and_saveexec_b64 s[12:13], s[8:9]
	s_cbranch_execz .LBB115_155
; %bb.152:
	v_subrev_u32_e32 v110, 36, v0
	s_movk_i32 s51, 0x2c0
	s_mov_b64 s[8:9], 0
.LBB115_153:                            ; =>This Inner Loop Header: Depth=1
	v_mov_b32_e32 v113, s50
	buffer_load_dword v111, v113, s[0:3], 0 offen
	buffer_load_dword v112, v113, s[0:3], 0 offen offset:4
	v_mov_b32_e32 v113, s51
	ds_read_b64 v[113:114], v113
	v_add_u32_e32 v110, -1, v110
	s_add_i32 s51, s51, 8
	s_add_i32 s50, s50, 8
	v_cmp_eq_u32_e32 vcc, 0, v110
	s_or_b64 s[8:9], vcc, s[8:9]
	s_waitcnt vmcnt(0) lgkmcnt(0)
	v_fma_f64 v[105:106], v[111:112], v[113:114], v[105:106]
	s_andn2_b64 exec, exec, s[8:9]
	s_cbranch_execnz .LBB115_153
; %bb.154:
	s_or_b64 exec, exec, s[8:9]
.LBB115_155:
	s_or_b64 exec, exec, s[12:13]
	v_mov_b32_e32 v110, 0
	ds_read_b64 v[110:111], v110 offset:280
	s_waitcnt lgkmcnt(0)
	v_mul_f64 v[105:106], v[105:106], v[110:111]
	buffer_store_dword v106, off, s[0:3], 0 offset:284
	buffer_store_dword v105, off, s[0:3], 0 offset:280
.LBB115_156:
	s_or_b64 exec, exec, s[6:7]
	buffer_load_dword v105, off, s[0:3], 0 offset:272
	buffer_load_dword v106, off, s[0:3], 0 offset:276
	v_cmp_lt_u32_e64 s[6:7], 34, v0
	s_waitcnt vmcnt(0)
	ds_write_b64 v108, v[105:106]
	s_waitcnt lgkmcnt(0)
	; wave barrier
	s_and_saveexec_b64 s[8:9], s[6:7]
	s_cbranch_execz .LBB115_166
; %bb.157:
	s_andn2_b64 vcc, exec, s[10:11]
	s_cbranch_vccnz .LBB115_159
; %bb.158:
	buffer_load_dword v105, v109, s[0:3], 0 offen
	buffer_load_dword v106, v109, s[0:3], 0 offen offset:4
	ds_read_b64 v[110:111], v108
	s_waitcnt vmcnt(0) lgkmcnt(0)
	v_mul_f64 v[105:106], v[105:106], v[110:111]
	s_cbranch_execz .LBB115_160
	s_branch .LBB115_161
.LBB115_159:
                                        ; implicit-def: $vgpr105_vgpr106
.LBB115_160:
	ds_read_b64 v[105:106], v108
.LBB115_161:
	s_and_saveexec_b64 s[12:13], s[4:5]
	s_cbranch_execz .LBB115_165
; %bb.162:
	v_subrev_u32_e32 v110, 35, v0
	s_movk_i32 s50, 0x2b8
	s_mov_b64 s[4:5], 0
.LBB115_163:                            ; =>This Inner Loop Header: Depth=1
	v_mov_b32_e32 v113, s49
	buffer_load_dword v111, v113, s[0:3], 0 offen
	buffer_load_dword v112, v113, s[0:3], 0 offen offset:4
	v_mov_b32_e32 v113, s50
	ds_read_b64 v[113:114], v113
	v_add_u32_e32 v110, -1, v110
	s_add_i32 s50, s50, 8
	s_add_i32 s49, s49, 8
	v_cmp_eq_u32_e32 vcc, 0, v110
	s_or_b64 s[4:5], vcc, s[4:5]
	s_waitcnt vmcnt(0) lgkmcnt(0)
	v_fma_f64 v[105:106], v[111:112], v[113:114], v[105:106]
	s_andn2_b64 exec, exec, s[4:5]
	s_cbranch_execnz .LBB115_163
; %bb.164:
	s_or_b64 exec, exec, s[4:5]
.LBB115_165:
	s_or_b64 exec, exec, s[12:13]
	v_mov_b32_e32 v110, 0
	ds_read_b64 v[110:111], v110 offset:272
	s_waitcnt lgkmcnt(0)
	v_mul_f64 v[105:106], v[105:106], v[110:111]
	buffer_store_dword v106, off, s[0:3], 0 offset:276
	buffer_store_dword v105, off, s[0:3], 0 offset:272
.LBB115_166:
	;; [unrolled: 58-line block ×20, first 2 shown]
	s_or_b64 exec, exec, s[8:9]
	buffer_load_dword v105, off, s[0:3], 0 offset:120
	buffer_load_dword v106, off, s[0:3], 0 offset:124
	v_cmp_lt_u32_e64 s[4:5], 15, v0
	s_waitcnt vmcnt(0)
	ds_write_b64 v108, v[105:106]
	s_waitcnt lgkmcnt(0)
	; wave barrier
	s_and_saveexec_b64 s[8:9], s[4:5]
	s_cbranch_execz .LBB115_356
; %bb.347:
	s_andn2_b64 vcc, exec, s[10:11]
	s_cbranch_vccnz .LBB115_349
; %bb.348:
	buffer_load_dword v105, v109, s[0:3], 0 offen
	buffer_load_dword v106, v109, s[0:3], 0 offen offset:4
	ds_read_b64 v[110:111], v108
	s_waitcnt vmcnt(0) lgkmcnt(0)
	v_mul_f64 v[105:106], v[105:106], v[110:111]
	s_cbranch_execz .LBB115_350
	s_branch .LBB115_351
.LBB115_349:
                                        ; implicit-def: $vgpr105_vgpr106
.LBB115_350:
	ds_read_b64 v[105:106], v108
.LBB115_351:
	s_and_saveexec_b64 s[12:13], s[6:7]
	s_cbranch_execz .LBB115_355
; %bb.352:
	v_add_u32_e32 v110, -16, v0
	s_movk_i32 s30, 0x220
	s_mov_b64 s[6:7], 0
.LBB115_353:                            ; =>This Inner Loop Header: Depth=1
	v_mov_b32_e32 v113, s29
	buffer_load_dword v111, v113, s[0:3], 0 offen
	buffer_load_dword v112, v113, s[0:3], 0 offen offset:4
	v_mov_b32_e32 v113, s30
	ds_read_b64 v[113:114], v113
	v_add_u32_e32 v110, -1, v110
	s_add_i32 s30, s30, 8
	s_add_i32 s29, s29, 8
	v_cmp_eq_u32_e32 vcc, 0, v110
	s_or_b64 s[6:7], vcc, s[6:7]
	s_waitcnt vmcnt(0) lgkmcnt(0)
	v_fma_f64 v[105:106], v[111:112], v[113:114], v[105:106]
	s_andn2_b64 exec, exec, s[6:7]
	s_cbranch_execnz .LBB115_353
; %bb.354:
	s_or_b64 exec, exec, s[6:7]
.LBB115_355:
	s_or_b64 exec, exec, s[12:13]
	v_mov_b32_e32 v110, 0
	ds_read_b64 v[110:111], v110 offset:120
	s_waitcnt lgkmcnt(0)
	v_mul_f64 v[105:106], v[105:106], v[110:111]
	buffer_store_dword v106, off, s[0:3], 0 offset:124
	buffer_store_dword v105, off, s[0:3], 0 offset:120
.LBB115_356:
	s_or_b64 exec, exec, s[8:9]
	buffer_load_dword v105, off, s[0:3], 0 offset:112
	buffer_load_dword v106, off, s[0:3], 0 offset:116
	v_cmp_lt_u32_e64 s[6:7], 14, v0
	s_waitcnt vmcnt(0)
	ds_write_b64 v108, v[105:106]
	s_waitcnt lgkmcnt(0)
	; wave barrier
	s_and_saveexec_b64 s[8:9], s[6:7]
	s_cbranch_execz .LBB115_366
; %bb.357:
	s_andn2_b64 vcc, exec, s[10:11]
	s_cbranch_vccnz .LBB115_359
; %bb.358:
	buffer_load_dword v105, v109, s[0:3], 0 offen
	buffer_load_dword v106, v109, s[0:3], 0 offen offset:4
	ds_read_b64 v[110:111], v108
	s_waitcnt vmcnt(0) lgkmcnt(0)
	v_mul_f64 v[105:106], v[105:106], v[110:111]
	s_cbranch_execz .LBB115_360
	s_branch .LBB115_361
.LBB115_359:
                                        ; implicit-def: $vgpr105_vgpr106
.LBB115_360:
	ds_read_b64 v[105:106], v108
.LBB115_361:
	s_and_saveexec_b64 s[12:13], s[4:5]
	s_cbranch_execz .LBB115_365
; %bb.362:
	v_add_u32_e32 v110, -15, v0
	s_movk_i32 s29, 0x218
	s_mov_b64 s[4:5], 0
.LBB115_363:                            ; =>This Inner Loop Header: Depth=1
	v_mov_b32_e32 v113, s28
	buffer_load_dword v111, v113, s[0:3], 0 offen
	buffer_load_dword v112, v113, s[0:3], 0 offen offset:4
	v_mov_b32_e32 v113, s29
	ds_read_b64 v[113:114], v113
	v_add_u32_e32 v110, -1, v110
	s_add_i32 s29, s29, 8
	s_add_i32 s28, s28, 8
	v_cmp_eq_u32_e32 vcc, 0, v110
	s_or_b64 s[4:5], vcc, s[4:5]
	s_waitcnt vmcnt(0) lgkmcnt(0)
	v_fma_f64 v[105:106], v[111:112], v[113:114], v[105:106]
	s_andn2_b64 exec, exec, s[4:5]
	s_cbranch_execnz .LBB115_363
; %bb.364:
	s_or_b64 exec, exec, s[4:5]
.LBB115_365:
	s_or_b64 exec, exec, s[12:13]
	v_mov_b32_e32 v110, 0
	ds_read_b64 v[110:111], v110 offset:112
	s_waitcnt lgkmcnt(0)
	v_mul_f64 v[105:106], v[105:106], v[110:111]
	buffer_store_dword v106, off, s[0:3], 0 offset:116
	buffer_store_dword v105, off, s[0:3], 0 offset:112
.LBB115_366:
	;; [unrolled: 58-line block ×15, first 2 shown]
	s_or_b64 exec, exec, s[8:9]
	buffer_load_dword v105, off, s[0:3], 0
	buffer_load_dword v106, off, s[0:3], 0 offset:4
	v_cmp_ne_u32_e32 vcc, 0, v0
	s_waitcnt vmcnt(0)
	ds_write_b64 v108, v[105:106]
	s_waitcnt lgkmcnt(0)
	; wave barrier
	s_and_saveexec_b64 s[6:7], vcc
	s_cbranch_execz .LBB115_506
; %bb.497:
	s_andn2_b64 vcc, exec, s[10:11]
	s_cbranch_vccnz .LBB115_499
; %bb.498:
	buffer_load_dword v105, v109, s[0:3], 0 offen
	buffer_load_dword v106, v109, s[0:3], 0 offen offset:4
	ds_read_b64 v[110:111], v108
	s_waitcnt vmcnt(0) lgkmcnt(0)
	v_mul_f64 v[105:106], v[105:106], v[110:111]
	s_cbranch_execz .LBB115_500
	s_branch .LBB115_501
.LBB115_499:
                                        ; implicit-def: $vgpr105_vgpr106
.LBB115_500:
	ds_read_b64 v[105:106], v108
.LBB115_501:
	s_and_saveexec_b64 s[8:9], s[4:5]
	s_cbranch_execz .LBB115_505
; %bb.502:
	v_add_u32_e32 v110, -1, v0
	s_movk_i32 s12, 0x1a8
	s_mov_b64 s[4:5], 0
.LBB115_503:                            ; =>This Inner Loop Header: Depth=1
	v_mov_b32_e32 v113, s14
	buffer_load_dword v111, v113, s[0:3], 0 offen
	buffer_load_dword v112, v113, s[0:3], 0 offen offset:4
	v_mov_b32_e32 v113, s12
	ds_read_b64 v[113:114], v113
	v_add_u32_e32 v110, -1, v110
	s_add_i32 s12, s12, 8
	s_add_i32 s14, s14, 8
	v_cmp_eq_u32_e32 vcc, 0, v110
	s_or_b64 s[4:5], vcc, s[4:5]
	s_waitcnt vmcnt(0) lgkmcnt(0)
	v_fma_f64 v[105:106], v[111:112], v[113:114], v[105:106]
	s_andn2_b64 exec, exec, s[4:5]
	s_cbranch_execnz .LBB115_503
; %bb.504:
	s_or_b64 exec, exec, s[4:5]
.LBB115_505:
	s_or_b64 exec, exec, s[8:9]
	v_mov_b32_e32 v110, 0
	ds_read_b64 v[110:111], v110
	s_waitcnt lgkmcnt(0)
	v_mul_f64 v[105:106], v[105:106], v[110:111]
	buffer_store_dword v106, off, s[0:3], 0 offset:4
	buffer_store_dword v105, off, s[0:3], 0
.LBB115_506:
	s_or_b64 exec, exec, s[6:7]
	s_mov_b64 s[4:5], 0
.LBB115_507:
	s_and_b64 vcc, exec, s[4:5]
	s_cbranch_vccz .LBB115_1009
; %bb.508:
	buffer_load_dword v105, off, s[0:3], 0 offset:8
	buffer_load_dword v106, off, s[0:3], 0 offset:12
	v_cmp_eq_u32_e64 s[6:7], 0, v0
	s_waitcnt vmcnt(0)
	ds_write_b64 v108, v[105:106]
	s_waitcnt lgkmcnt(0)
	; wave barrier
	s_and_saveexec_b64 s[4:5], s[6:7]
	s_cbranch_execz .LBB115_514
; %bb.509:
	s_and_b64 vcc, exec, s[10:11]
	s_cbranch_vccz .LBB115_511
; %bb.510:
	buffer_load_dword v105, v109, s[0:3], 0 offen
	buffer_load_dword v106, v109, s[0:3], 0 offen offset:4
	ds_read_b64 v[110:111], v108
	s_waitcnt vmcnt(0) lgkmcnt(0)
	v_mul_f64 v[105:106], v[105:106], v[110:111]
	s_cbranch_execz .LBB115_512
	s_branch .LBB115_513
.LBB115_511:
                                        ; implicit-def: $vgpr105_vgpr106
.LBB115_512:
	ds_read_b64 v[105:106], v108
.LBB115_513:
	v_mov_b32_e32 v110, 0
	ds_read_b64 v[110:111], v110 offset:8
	s_waitcnt lgkmcnt(0)
	v_mul_f64 v[105:106], v[105:106], v[110:111]
	buffer_store_dword v106, off, s[0:3], 0 offset:12
	buffer_store_dword v105, off, s[0:3], 0 offset:8
.LBB115_514:
	s_or_b64 exec, exec, s[4:5]
	buffer_load_dword v105, off, s[0:3], 0 offset:16
	buffer_load_dword v106, off, s[0:3], 0 offset:20
	v_cndmask_b32_e64 v110, 0, 1, s[10:11]
	v_cmp_gt_u32_e32 vcc, 2, v0
	v_cmp_ne_u32_e64 s[4:5], 1, v110
	s_waitcnt vmcnt(0)
	ds_write_b64 v108, v[105:106]
	s_waitcnt lgkmcnt(0)
	; wave barrier
	s_and_saveexec_b64 s[8:9], vcc
	s_cbranch_execz .LBB115_520
; %bb.515:
	s_and_b64 vcc, exec, s[4:5]
	s_cbranch_vccnz .LBB115_517
; %bb.516:
	buffer_load_dword v105, v109, s[0:3], 0 offen
	buffer_load_dword v106, v109, s[0:3], 0 offen offset:4
	ds_read_b64 v[110:111], v108
	s_waitcnt vmcnt(0) lgkmcnt(0)
	v_mul_f64 v[105:106], v[105:106], v[110:111]
	s_cbranch_execz .LBB115_518
	s_branch .LBB115_519
.LBB115_517:
                                        ; implicit-def: $vgpr105_vgpr106
.LBB115_518:
	ds_read_b64 v[105:106], v108
.LBB115_519:
	buffer_load_dword v114, off, s[0:3], 0 offset:8
	buffer_load_dword v115, off, s[0:3], 0 offset:12
	v_mov_b32_e32 v110, 0
	ds_read2_b64 v[110:113], v110 offset0:2 offset1:53
	s_waitcnt vmcnt(0) lgkmcnt(0)
	v_fma_f64 v[112:113], v[114:115], v[112:113], v[105:106]
	v_cndmask_b32_e64 v106, v106, v113, s[6:7]
	v_cndmask_b32_e64 v105, v105, v112, s[6:7]
	v_mul_f64 v[105:106], v[105:106], v[110:111]
	buffer_store_dword v106, off, s[0:3], 0 offset:20
	buffer_store_dword v105, off, s[0:3], 0 offset:16
.LBB115_520:
	s_or_b64 exec, exec, s[8:9]
	buffer_load_dword v105, off, s[0:3], 0 offset:24
	buffer_load_dword v106, off, s[0:3], 0 offset:28
	v_cmp_gt_u32_e32 vcc, 3, v0
	s_waitcnt vmcnt(0)
	ds_write_b64 v108, v[105:106]
	s_waitcnt lgkmcnt(0)
	; wave barrier
	s_and_saveexec_b64 s[8:9], vcc
	s_cbranch_execz .LBB115_528
; %bb.521:
	s_and_b64 vcc, exec, s[4:5]
	s_cbranch_vccnz .LBB115_523
; %bb.522:
	buffer_load_dword v105, v109, s[0:3], 0 offen
	buffer_load_dword v106, v109, s[0:3], 0 offen offset:4
	ds_read_b64 v[110:111], v108
	s_waitcnt vmcnt(0) lgkmcnt(0)
	v_mul_f64 v[105:106], v[105:106], v[110:111]
	s_cbranch_execz .LBB115_524
	s_branch .LBB115_525
.LBB115_523:
                                        ; implicit-def: $vgpr105_vgpr106
.LBB115_524:
	ds_read_b64 v[105:106], v108
.LBB115_525:
	v_cmp_ne_u32_e32 vcc, 2, v0
	s_and_saveexec_b64 s[10:11], vcc
	s_cbranch_execz .LBB115_527
; %bb.526:
	buffer_load_dword v110, v109, s[0:3], 0 offen offset:8
	buffer_load_dword v111, v109, s[0:3], 0 offen offset:12
	buffer_load_dword v112, off, s[0:3], 0 offset:16
	buffer_load_dword v113, off, s[0:3], 0 offset:20
	ds_read_b64 v[114:115], v108 offset:8
	v_mov_b32_e32 v116, 0
	ds_read_b64 v[116:117], v116 offset:432
	s_waitcnt vmcnt(2) lgkmcnt(1)
	v_fma_f64 v[105:106], v[110:111], v[114:115], v[105:106]
	s_waitcnt vmcnt(0) lgkmcnt(0)
	v_fma_f64 v[110:111], v[112:113], v[116:117], v[105:106]
	v_cndmask_b32_e64 v106, v106, v111, s[6:7]
	v_cndmask_b32_e64 v105, v105, v110, s[6:7]
.LBB115_527:
	s_or_b64 exec, exec, s[10:11]
	v_mov_b32_e32 v110, 0
	ds_read_b64 v[110:111], v110 offset:24
	s_waitcnt lgkmcnt(0)
	v_mul_f64 v[105:106], v[105:106], v[110:111]
	buffer_store_dword v106, off, s[0:3], 0 offset:28
	buffer_store_dword v105, off, s[0:3], 0 offset:24
.LBB115_528:
	s_or_b64 exec, exec, s[8:9]
	buffer_load_dword v105, off, s[0:3], 0 offset:32
	buffer_load_dword v106, off, s[0:3], 0 offset:36
	v_cmp_gt_u32_e32 vcc, 4, v0
	s_waitcnt vmcnt(0)
	ds_write_b64 v108, v[105:106]
	s_waitcnt lgkmcnt(0)
	; wave barrier
	s_and_saveexec_b64 s[6:7], vcc
	s_cbranch_execz .LBB115_538
; %bb.529:
	s_and_b64 vcc, exec, s[4:5]
	s_cbranch_vccnz .LBB115_531
; %bb.530:
	buffer_load_dword v105, v109, s[0:3], 0 offen
	buffer_load_dword v106, v109, s[0:3], 0 offen offset:4
	ds_read_b64 v[110:111], v108
	s_waitcnt vmcnt(0) lgkmcnt(0)
	v_mul_f64 v[105:106], v[105:106], v[110:111]
	s_cbranch_execz .LBB115_532
	s_branch .LBB115_533
.LBB115_531:
                                        ; implicit-def: $vgpr105_vgpr106
.LBB115_532:
	ds_read_b64 v[105:106], v108
.LBB115_533:
	v_cmp_ne_u32_e32 vcc, 3, v0
	s_and_saveexec_b64 s[8:9], vcc
	s_cbranch_execz .LBB115_537
; %bb.534:
	s_mov_b32 s10, 0
	v_add_u32_e32 v110, 0x1a8, v107
	v_add3_u32 v111, v107, s10, 8
	s_mov_b64 s[10:11], 0
	v_mov_b32_e32 v112, v0
.LBB115_535:                            ; =>This Inner Loop Header: Depth=1
	buffer_load_dword v113, v111, s[0:3], 0 offen
	buffer_load_dword v114, v111, s[0:3], 0 offen offset:4
	ds_read_b64 v[115:116], v110
	v_add_u32_e32 v112, 1, v112
	v_cmp_lt_u32_e32 vcc, 2, v112
	v_add_u32_e32 v110, 8, v110
	s_or_b64 s[10:11], vcc, s[10:11]
	v_add_u32_e32 v111, 8, v111
	s_waitcnt vmcnt(0) lgkmcnt(0)
	v_fma_f64 v[105:106], v[113:114], v[115:116], v[105:106]
	s_andn2_b64 exec, exec, s[10:11]
	s_cbranch_execnz .LBB115_535
; %bb.536:
	s_or_b64 exec, exec, s[10:11]
.LBB115_537:
	s_or_b64 exec, exec, s[8:9]
	v_mov_b32_e32 v110, 0
	ds_read_b64 v[110:111], v110 offset:32
	s_waitcnt lgkmcnt(0)
	v_mul_f64 v[105:106], v[105:106], v[110:111]
	buffer_store_dword v106, off, s[0:3], 0 offset:36
	buffer_store_dword v105, off, s[0:3], 0 offset:32
.LBB115_538:
	s_or_b64 exec, exec, s[6:7]
	buffer_load_dword v105, off, s[0:3], 0 offset:40
	buffer_load_dword v106, off, s[0:3], 0 offset:44
	v_cmp_gt_u32_e32 vcc, 5, v0
	s_waitcnt vmcnt(0)
	ds_write_b64 v108, v[105:106]
	s_waitcnt lgkmcnt(0)
	; wave barrier
	s_and_saveexec_b64 s[6:7], vcc
	s_cbranch_execz .LBB115_548
; %bb.539:
	s_and_b64 vcc, exec, s[4:5]
	s_cbranch_vccnz .LBB115_541
; %bb.540:
	buffer_load_dword v105, v109, s[0:3], 0 offen
	buffer_load_dword v106, v109, s[0:3], 0 offen offset:4
	ds_read_b64 v[110:111], v108
	s_waitcnt vmcnt(0) lgkmcnt(0)
	v_mul_f64 v[105:106], v[105:106], v[110:111]
	s_cbranch_execz .LBB115_542
	s_branch .LBB115_543
.LBB115_541:
                                        ; implicit-def: $vgpr105_vgpr106
.LBB115_542:
	ds_read_b64 v[105:106], v108
.LBB115_543:
	v_cmp_ne_u32_e32 vcc, 4, v0
	s_and_saveexec_b64 s[8:9], vcc
	s_cbranch_execz .LBB115_547
; %bb.544:
	s_mov_b32 s10, 0
	v_add_u32_e32 v110, 0x1a8, v107
	v_add3_u32 v111, v107, s10, 8
	s_mov_b64 s[10:11], 0
	v_mov_b32_e32 v112, v0
.LBB115_545:                            ; =>This Inner Loop Header: Depth=1
	buffer_load_dword v113, v111, s[0:3], 0 offen
	buffer_load_dword v114, v111, s[0:3], 0 offen offset:4
	ds_read_b64 v[115:116], v110
	v_add_u32_e32 v112, 1, v112
	v_cmp_lt_u32_e32 vcc, 3, v112
	v_add_u32_e32 v110, 8, v110
	s_or_b64 s[10:11], vcc, s[10:11]
	v_add_u32_e32 v111, 8, v111
	s_waitcnt vmcnt(0) lgkmcnt(0)
	v_fma_f64 v[105:106], v[113:114], v[115:116], v[105:106]
	s_andn2_b64 exec, exec, s[10:11]
	s_cbranch_execnz .LBB115_545
; %bb.546:
	s_or_b64 exec, exec, s[10:11]
.LBB115_547:
	s_or_b64 exec, exec, s[8:9]
	v_mov_b32_e32 v110, 0
	ds_read_b64 v[110:111], v110 offset:40
	s_waitcnt lgkmcnt(0)
	v_mul_f64 v[105:106], v[105:106], v[110:111]
	buffer_store_dword v106, off, s[0:3], 0 offset:44
	buffer_store_dword v105, off, s[0:3], 0 offset:40
.LBB115_548:
	;; [unrolled: 59-line block ×46, first 2 shown]
	s_or_b64 exec, exec, s[6:7]
	buffer_load_dword v105, off, s[0:3], 0 offset:400
	buffer_load_dword v106, off, s[0:3], 0 offset:404
	v_cmp_gt_u32_e64 s[6:7], 50, v0
	s_waitcnt vmcnt(0)
	ds_write_b64 v108, v[105:106]
	s_waitcnt lgkmcnt(0)
	; wave barrier
	s_and_saveexec_b64 s[8:9], s[6:7]
	s_cbranch_execz .LBB115_998
; %bb.989:
	s_and_b64 vcc, exec, s[4:5]
	s_cbranch_vccnz .LBB115_991
; %bb.990:
	buffer_load_dword v105, v109, s[0:3], 0 offen
	buffer_load_dword v106, v109, s[0:3], 0 offen offset:4
	ds_read_b64 v[110:111], v108
	s_waitcnt vmcnt(0) lgkmcnt(0)
	v_mul_f64 v[105:106], v[105:106], v[110:111]
	s_cbranch_execz .LBB115_992
	s_branch .LBB115_993
.LBB115_991:
                                        ; implicit-def: $vgpr105_vgpr106
.LBB115_992:
	ds_read_b64 v[105:106], v108
.LBB115_993:
	v_cmp_ne_u32_e32 vcc, 49, v0
	s_and_saveexec_b64 s[10:11], vcc
	s_cbranch_execz .LBB115_997
; %bb.994:
	s_mov_b32 s12, 0
	v_add_u32_e32 v110, 0x1a8, v107
	v_add3_u32 v111, v107, s12, 8
	s_mov_b64 s[12:13], 0
	v_mov_b32_e32 v112, v0
.LBB115_995:                            ; =>This Inner Loop Header: Depth=1
	buffer_load_dword v113, v111, s[0:3], 0 offen
	buffer_load_dword v114, v111, s[0:3], 0 offen offset:4
	ds_read_b64 v[115:116], v110
	v_add_u32_e32 v112, 1, v112
	v_cmp_lt_u32_e32 vcc, 48, v112
	v_add_u32_e32 v110, 8, v110
	s_or_b64 s[12:13], vcc, s[12:13]
	v_add_u32_e32 v111, 8, v111
	s_waitcnt vmcnt(0) lgkmcnt(0)
	v_fma_f64 v[105:106], v[113:114], v[115:116], v[105:106]
	s_andn2_b64 exec, exec, s[12:13]
	s_cbranch_execnz .LBB115_995
; %bb.996:
	s_or_b64 exec, exec, s[12:13]
.LBB115_997:
	s_or_b64 exec, exec, s[10:11]
	v_mov_b32_e32 v110, 0
	ds_read_b64 v[110:111], v110 offset:400
	s_waitcnt lgkmcnt(0)
	v_mul_f64 v[105:106], v[105:106], v[110:111]
	buffer_store_dword v106, off, s[0:3], 0 offset:404
	buffer_store_dword v105, off, s[0:3], 0 offset:400
.LBB115_998:
	s_or_b64 exec, exec, s[8:9]
	buffer_load_dword v105, off, s[0:3], 0 offset:408
	buffer_load_dword v106, off, s[0:3], 0 offset:412
	v_cmp_ne_u32_e32 vcc, 51, v0
	s_waitcnt vmcnt(0)
	ds_write_b64 v108, v[105:106]
	s_waitcnt lgkmcnt(0)
	; wave barrier
	s_and_saveexec_b64 s[8:9], vcc
	s_cbranch_execz .LBB115_1008
; %bb.999:
	s_and_b64 vcc, exec, s[4:5]
	s_cbranch_vccnz .LBB115_1001
; %bb.1000:
	buffer_load_dword v105, v109, s[0:3], 0 offen
	buffer_load_dword v106, v109, s[0:3], 0 offen offset:4
	ds_read_b64 v[109:110], v108
	s_waitcnt vmcnt(0) lgkmcnt(0)
	v_mul_f64 v[105:106], v[105:106], v[109:110]
	s_cbranch_execz .LBB115_1002
	s_branch .LBB115_1003
.LBB115_1001:
                                        ; implicit-def: $vgpr105_vgpr106
.LBB115_1002:
	ds_read_b64 v[105:106], v108
.LBB115_1003:
	s_and_saveexec_b64 s[4:5], s[6:7]
	s_cbranch_execz .LBB115_1007
; %bb.1004:
	s_mov_b32 s6, 0
	v_add_u32_e32 v108, 0x1a8, v107
	v_add3_u32 v107, v107, s6, 8
	s_mov_b64 s[6:7], 0
.LBB115_1005:                           ; =>This Inner Loop Header: Depth=1
	buffer_load_dword v109, v107, s[0:3], 0 offen
	buffer_load_dword v110, v107, s[0:3], 0 offen offset:4
	ds_read_b64 v[111:112], v108
	v_add_u32_e32 v0, 1, v0
	v_cmp_lt_u32_e32 vcc, 49, v0
	v_add_u32_e32 v108, 8, v108
	s_or_b64 s[6:7], vcc, s[6:7]
	v_add_u32_e32 v107, 8, v107
	s_waitcnt vmcnt(0) lgkmcnt(0)
	v_fma_f64 v[105:106], v[109:110], v[111:112], v[105:106]
	s_andn2_b64 exec, exec, s[6:7]
	s_cbranch_execnz .LBB115_1005
; %bb.1006:
	s_or_b64 exec, exec, s[6:7]
.LBB115_1007:
	s_or_b64 exec, exec, s[4:5]
	v_mov_b32_e32 v0, 0
	ds_read_b64 v[107:108], v0 offset:408
	s_waitcnt lgkmcnt(0)
	v_mul_f64 v[105:106], v[105:106], v[107:108]
	buffer_store_dword v106, off, s[0:3], 0 offset:412
	buffer_store_dword v105, off, s[0:3], 0 offset:408
.LBB115_1008:
	s_or_b64 exec, exec, s[8:9]
.LBB115_1009:
	buffer_load_dword v105, off, s[0:3], 0
	buffer_load_dword v106, off, s[0:3], 0 offset:4
	s_waitcnt vmcnt(0)
	flat_store_dwordx2 v[1:2], v[105:106]
	buffer_load_dword v0, off, s[0:3], 0 offset:8
	s_nop 0
	buffer_load_dword v1, off, s[0:3], 0 offset:12
	s_waitcnt vmcnt(0)
	flat_store_dwordx2 v[3:4], v[0:1]
	buffer_load_dword v0, off, s[0:3], 0 offset:16
	s_nop 0
	;; [unrolled: 5-line block ×51, first 2 shown]
	buffer_load_dword v1, off, s[0:3], 0 offset:412
	s_waitcnt vmcnt(0)
	flat_store_dwordx2 v[103:104], v[0:1]
.LBB115_1010:
	s_endpgm
	.section	.rodata,"a",@progbits
	.p2align	6, 0x0
	.amdhsa_kernel _ZN9rocsolver6v33100L18trti2_kernel_smallILi52EdPKPdEEv13rocblas_fill_17rocblas_diagonal_T1_iil
		.amdhsa_group_segment_fixed_size 832
		.amdhsa_private_segment_fixed_size 432
		.amdhsa_kernarg_size 32
		.amdhsa_user_sgpr_count 6
		.amdhsa_user_sgpr_private_segment_buffer 1
		.amdhsa_user_sgpr_dispatch_ptr 0
		.amdhsa_user_sgpr_queue_ptr 0
		.amdhsa_user_sgpr_kernarg_segment_ptr 1
		.amdhsa_user_sgpr_dispatch_id 0
		.amdhsa_user_sgpr_flat_scratch_init 0
		.amdhsa_user_sgpr_private_segment_size 0
		.amdhsa_uses_dynamic_stack 0
		.amdhsa_system_sgpr_private_segment_wavefront_offset 1
		.amdhsa_system_sgpr_workgroup_id_x 1
		.amdhsa_system_sgpr_workgroup_id_y 0
		.amdhsa_system_sgpr_workgroup_id_z 0
		.amdhsa_system_sgpr_workgroup_info 0
		.amdhsa_system_vgpr_workitem_id 0
		.amdhsa_next_free_vgpr 118
		.amdhsa_next_free_sgpr 65
		.amdhsa_reserve_vcc 1
		.amdhsa_reserve_flat_scratch 0
		.amdhsa_float_round_mode_32 0
		.amdhsa_float_round_mode_16_64 0
		.amdhsa_float_denorm_mode_32 3
		.amdhsa_float_denorm_mode_16_64 3
		.amdhsa_dx10_clamp 1
		.amdhsa_ieee_mode 1
		.amdhsa_fp16_overflow 0
		.amdhsa_exception_fp_ieee_invalid_op 0
		.amdhsa_exception_fp_denorm_src 0
		.amdhsa_exception_fp_ieee_div_zero 0
		.amdhsa_exception_fp_ieee_overflow 0
		.amdhsa_exception_fp_ieee_underflow 0
		.amdhsa_exception_fp_ieee_inexact 0
		.amdhsa_exception_int_div_zero 0
	.end_amdhsa_kernel
	.section	.text._ZN9rocsolver6v33100L18trti2_kernel_smallILi52EdPKPdEEv13rocblas_fill_17rocblas_diagonal_T1_iil,"axG",@progbits,_ZN9rocsolver6v33100L18trti2_kernel_smallILi52EdPKPdEEv13rocblas_fill_17rocblas_diagonal_T1_iil,comdat
.Lfunc_end115:
	.size	_ZN9rocsolver6v33100L18trti2_kernel_smallILi52EdPKPdEEv13rocblas_fill_17rocblas_diagonal_T1_iil, .Lfunc_end115-_ZN9rocsolver6v33100L18trti2_kernel_smallILi52EdPKPdEEv13rocblas_fill_17rocblas_diagonal_T1_iil
                                        ; -- End function
	.set _ZN9rocsolver6v33100L18trti2_kernel_smallILi52EdPKPdEEv13rocblas_fill_17rocblas_diagonal_T1_iil.num_vgpr, 118
	.set _ZN9rocsolver6v33100L18trti2_kernel_smallILi52EdPKPdEEv13rocblas_fill_17rocblas_diagonal_T1_iil.num_agpr, 0
	.set _ZN9rocsolver6v33100L18trti2_kernel_smallILi52EdPKPdEEv13rocblas_fill_17rocblas_diagonal_T1_iil.numbered_sgpr, 65
	.set _ZN9rocsolver6v33100L18trti2_kernel_smallILi52EdPKPdEEv13rocblas_fill_17rocblas_diagonal_T1_iil.num_named_barrier, 0
	.set _ZN9rocsolver6v33100L18trti2_kernel_smallILi52EdPKPdEEv13rocblas_fill_17rocblas_diagonal_T1_iil.private_seg_size, 432
	.set _ZN9rocsolver6v33100L18trti2_kernel_smallILi52EdPKPdEEv13rocblas_fill_17rocblas_diagonal_T1_iil.uses_vcc, 1
	.set _ZN9rocsolver6v33100L18trti2_kernel_smallILi52EdPKPdEEv13rocblas_fill_17rocblas_diagonal_T1_iil.uses_flat_scratch, 0
	.set _ZN9rocsolver6v33100L18trti2_kernel_smallILi52EdPKPdEEv13rocblas_fill_17rocblas_diagonal_T1_iil.has_dyn_sized_stack, 0
	.set _ZN9rocsolver6v33100L18trti2_kernel_smallILi52EdPKPdEEv13rocblas_fill_17rocblas_diagonal_T1_iil.has_recursion, 0
	.set _ZN9rocsolver6v33100L18trti2_kernel_smallILi52EdPKPdEEv13rocblas_fill_17rocblas_diagonal_T1_iil.has_indirect_call, 0
	.section	.AMDGPU.csdata,"",@progbits
; Kernel info:
; codeLenInByte = 30896
; TotalNumSgprs: 69
; NumVgprs: 118
; ScratchSize: 432
; MemoryBound: 0
; FloatMode: 240
; IeeeMode: 1
; LDSByteSize: 832 bytes/workgroup (compile time only)
; SGPRBlocks: 8
; VGPRBlocks: 29
; NumSGPRsForWavesPerEU: 69
; NumVGPRsForWavesPerEU: 118
; Occupancy: 2
; WaveLimiterHint : 1
; COMPUTE_PGM_RSRC2:SCRATCH_EN: 1
; COMPUTE_PGM_RSRC2:USER_SGPR: 6
; COMPUTE_PGM_RSRC2:TRAP_HANDLER: 0
; COMPUTE_PGM_RSRC2:TGID_X_EN: 1
; COMPUTE_PGM_RSRC2:TGID_Y_EN: 0
; COMPUTE_PGM_RSRC2:TGID_Z_EN: 0
; COMPUTE_PGM_RSRC2:TIDIG_COMP_CNT: 0
	.section	.text._ZN9rocsolver6v33100L18trti2_kernel_smallILi53EdPKPdEEv13rocblas_fill_17rocblas_diagonal_T1_iil,"axG",@progbits,_ZN9rocsolver6v33100L18trti2_kernel_smallILi53EdPKPdEEv13rocblas_fill_17rocblas_diagonal_T1_iil,comdat
	.globl	_ZN9rocsolver6v33100L18trti2_kernel_smallILi53EdPKPdEEv13rocblas_fill_17rocblas_diagonal_T1_iil ; -- Begin function _ZN9rocsolver6v33100L18trti2_kernel_smallILi53EdPKPdEEv13rocblas_fill_17rocblas_diagonal_T1_iil
	.p2align	8
	.type	_ZN9rocsolver6v33100L18trti2_kernel_smallILi53EdPKPdEEv13rocblas_fill_17rocblas_diagonal_T1_iil,@function
_ZN9rocsolver6v33100L18trti2_kernel_smallILi53EdPKPdEEv13rocblas_fill_17rocblas_diagonal_T1_iil: ; @_ZN9rocsolver6v33100L18trti2_kernel_smallILi53EdPKPdEEv13rocblas_fill_17rocblas_diagonal_T1_iil
; %bb.0:
	s_add_u32 s0, s0, s7
	s_addc_u32 s1, s1, 0
	v_cmp_gt_u32_e32 vcc, 53, v0
	s_and_saveexec_b64 s[8:9], vcc
	s_cbranch_execz .LBB116_1030
; %bb.1:
	s_load_dwordx2 s[12:13], s[4:5], 0x10
	s_load_dwordx4 s[8:11], s[4:5], 0x0
	s_ashr_i32 s7, s6, 31
	s_lshl_b64 s[6:7], s[6:7], 3
	v_lshlrev_b32_e32 v109, 3, v0
	s_waitcnt lgkmcnt(0)
	s_ashr_i32 s5, s12, 31
	s_add_u32 s6, s10, s6
	s_addc_u32 s7, s11, s7
	s_load_dwordx2 s[6:7], s[6:7], 0x0
	s_mov_b32 s4, s12
	s_lshl_b64 s[4:5], s[4:5], 3
	s_waitcnt lgkmcnt(0)
	s_add_u32 s4, s6, s4
	s_addc_u32 s5, s7, s5
	v_mov_b32_e32 v2, s5
	v_add_co_u32_e32 v1, vcc, s4, v109
	v_addc_co_u32_e32 v2, vcc, 0, v2, vcc
	flat_load_dwordx2 v[5:6], v[1:2]
	s_mov_b32 s6, s13
	s_ashr_i32 s7, s13, 31
	s_lshl_b64 s[6:7], s[6:7], 3
	v_mov_b32_e32 v4, s7
	v_add_co_u32_e32 v3, vcc, s6, v1
	v_addc_co_u32_e32 v4, vcc, v2, v4, vcc
	s_add_i32 s6, s13, s13
	v_add_u32_e32 v9, s6, v0
	v_ashrrev_i32_e32 v10, 31, v9
	v_mov_b32_e32 v11, s5
	v_add_u32_e32 v12, s13, v9
	v_ashrrev_i32_e32 v13, 31, v12
	v_mov_b32_e32 v14, s5
	v_mov_b32_e32 v15, s5
	;; [unrolled: 1-line block ×49, first 2 shown]
	s_cmpk_lg_i32 s9, 0x84
	s_cselect_b64 s[10:11], -1, 0
	s_cmpk_eq_i32 s9, 0x84
	s_waitcnt vmcnt(0) lgkmcnt(0)
	buffer_store_dword v6, off, s[0:3], 0 offset:4
	buffer_store_dword v5, off, s[0:3], 0
	flat_load_dwordx2 v[7:8], v[3:4]
	v_lshlrev_b64 v[5:6], 3, v[9:10]
	s_waitcnt vmcnt(0) lgkmcnt(0)
	buffer_store_dword v8, off, s[0:3], 0 offset:12
	buffer_store_dword v7, off, s[0:3], 0 offset:8
	v_add_co_u32_e32 v5, vcc, s4, v5
	v_addc_co_u32_e32 v6, vcc, v11, v6, vcc
	flat_load_dwordx2 v[10:11], v[5:6]
	v_lshlrev_b64 v[7:8], 3, v[12:13]
	s_waitcnt vmcnt(0) lgkmcnt(0)
	buffer_store_dword v11, off, s[0:3], 0 offset:20
	buffer_store_dword v10, off, s[0:3], 0 offset:16
	v_add_co_u32_e32 v7, vcc, s4, v7
	v_addc_co_u32_e32 v8, vcc, v14, v8, vcc
	flat_load_dwordx2 v[13:14], v[7:8]
	v_add_u32_e32 v11, s13, v12
	v_ashrrev_i32_e32 v12, 31, v11
	v_lshlrev_b64 v[9:10], 3, v[11:12]
	s_waitcnt vmcnt(0) lgkmcnt(0)
	buffer_store_dword v14, off, s[0:3], 0 offset:28
	buffer_store_dword v13, off, s[0:3], 0 offset:24
	v_add_co_u32_e32 v9, vcc, s4, v9
	v_addc_co_u32_e32 v10, vcc, v15, v10, vcc
	flat_load_dwordx2 v[13:14], v[9:10]
	v_add_u32_e32 v15, s13, v11
	v_ashrrev_i32_e32 v16, 31, v15
	v_lshlrev_b64 v[11:12], 3, v[15:16]
	v_add_u32_e32 v18, s13, v15
	v_add_co_u32_e32 v11, vcc, s4, v11
	v_addc_co_u32_e32 v12, vcc, v17, v12, vcc
	v_ashrrev_i32_e32 v19, 31, v18
	s_waitcnt vmcnt(0) lgkmcnt(0)
	buffer_store_dword v14, off, s[0:3], 0 offset:36
	buffer_store_dword v13, off, s[0:3], 0 offset:32
	flat_load_dwordx2 v[16:17], v[11:12]
	v_lshlrev_b64 v[13:14], 3, v[18:19]
	s_waitcnt vmcnt(0) lgkmcnt(0)
	buffer_store_dword v17, off, s[0:3], 0 offset:44
	buffer_store_dword v16, off, s[0:3], 0 offset:40
	v_add_co_u32_e32 v13, vcc, s4, v13
	v_addc_co_u32_e32 v14, vcc, v20, v14, vcc
	flat_load_dwordx2 v[19:20], v[13:14]
	v_add_u32_e32 v17, s13, v18
	v_ashrrev_i32_e32 v18, 31, v17
	v_lshlrev_b64 v[15:16], 3, v[17:18]
	s_waitcnt vmcnt(0) lgkmcnt(0)
	buffer_store_dword v20, off, s[0:3], 0 offset:52
	buffer_store_dword v19, off, s[0:3], 0 offset:48
	v_add_co_u32_e32 v15, vcc, s4, v15
	v_addc_co_u32_e32 v16, vcc, v21, v16, vcc
	flat_load_dwordx2 v[19:20], v[15:16]
	v_add_u32_e32 v21, s13, v17
	v_ashrrev_i32_e32 v22, 31, v21
	v_lshlrev_b64 v[17:18], 3, v[21:22]
	v_add_u32_e32 v24, s13, v21
	v_add_co_u32_e32 v17, vcc, s4, v17
	v_addc_co_u32_e32 v18, vcc, v23, v18, vcc
	v_ashrrev_i32_e32 v25, 31, v24
	s_waitcnt vmcnt(0) lgkmcnt(0)
	buffer_store_dword v20, off, s[0:3], 0 offset:60
	buffer_store_dword v19, off, s[0:3], 0 offset:56
	;; [unrolled: 27-line block ×7, first 2 shown]
	flat_load_dwordx2 v[52:53], v[47:48]
	v_lshlrev_b64 v[49:50], 3, v[54:55]
	s_waitcnt vmcnt(0) lgkmcnt(0)
	buffer_store_dword v53, off, s[0:3], 0 offset:188
	buffer_store_dword v52, off, s[0:3], 0 offset:184
	v_add_co_u32_e32 v49, vcc, s4, v49
	v_addc_co_u32_e32 v50, vcc, v56, v50, vcc
	flat_load_dwordx2 v[55:56], v[49:50]
	v_add_u32_e32 v53, s13, v54
	v_ashrrev_i32_e32 v54, 31, v53
	v_lshlrev_b64 v[51:52], 3, v[53:54]
	s_waitcnt vmcnt(0) lgkmcnt(0)
	buffer_store_dword v56, off, s[0:3], 0 offset:196
	buffer_store_dword v55, off, s[0:3], 0 offset:192
	v_add_co_u32_e32 v51, vcc, s4, v51
	v_addc_co_u32_e32 v52, vcc, v57, v52, vcc
	flat_load_dwordx2 v[55:56], v[51:52]
	v_add_u32_e32 v57, s13, v53
	v_ashrrev_i32_e32 v58, 31, v57
	v_lshlrev_b64 v[53:54], 3, v[57:58]
	v_add_u32_e32 v60, s13, v57
	v_add_co_u32_e32 v53, vcc, s4, v53
	v_addc_co_u32_e32 v54, vcc, v59, v54, vcc
	s_waitcnt vmcnt(0) lgkmcnt(0)
	buffer_store_dword v56, off, s[0:3], 0 offset:204
	buffer_store_dword v55, off, s[0:3], 0 offset:200
	flat_load_dwordx2 v[58:59], v[53:54]
	v_ashrrev_i32_e32 v61, 31, v60
	v_lshlrev_b64 v[55:56], 3, v[60:61]
	s_waitcnt vmcnt(0) lgkmcnt(0)
	buffer_store_dword v59, off, s[0:3], 0 offset:212
	buffer_store_dword v58, off, s[0:3], 0 offset:208
	v_add_co_u32_e32 v55, vcc, s4, v55
	v_addc_co_u32_e32 v56, vcc, v62, v56, vcc
	flat_load_dwordx2 v[61:62], v[55:56]
	v_add_u32_e32 v59, s13, v60
	v_ashrrev_i32_e32 v60, 31, v59
	v_lshlrev_b64 v[57:58], 3, v[59:60]
	s_waitcnt vmcnt(0) lgkmcnt(0)
	buffer_store_dword v62, off, s[0:3], 0 offset:220
	buffer_store_dword v61, off, s[0:3], 0 offset:216
	v_add_co_u32_e32 v57, vcc, s4, v57
	v_addc_co_u32_e32 v58, vcc, v63, v58, vcc
	flat_load_dwordx2 v[61:62], v[57:58]
	v_add_u32_e32 v63, s13, v59
	;; [unrolled: 9-line block ×25, first 2 shown]
	v_ashrrev_i32_e32 v106, 31, v105
	v_lshlrev_b64 v[105:106], 3, v[105:106]
	v_mov_b32_e32 v111, s5
	v_add_co_u32_e32 v105, vcc, s4, v105
	v_addc_co_u32_e32 v106, vcc, v111, v106, vcc
	s_waitcnt vmcnt(0) lgkmcnt(0)
	buffer_store_dword v108, off, s[0:3], 0 offset:412
	buffer_store_dword v107, off, s[0:3], 0 offset:408
	flat_load_dwordx2 v[110:111], v[105:106]
	v_mov_b32_e32 v107, 0
	v_mov_b32_e32 v108, 0xbff00000
	s_waitcnt vmcnt(0) lgkmcnt(0)
	buffer_store_dword v111, off, s[0:3], 0 offset:420
	buffer_store_dword v110, off, s[0:3], 0 offset:416
	s_cbranch_scc1 .LBB116_3
; %bb.2:
	v_mov_b32_e32 v107, 0
	v_lshl_add_u32 v118, v0, 3, v107
	buffer_load_dword v107, v118, s[0:3], 0 offen
	buffer_load_dword v108, v118, s[0:3], 0 offen offset:4
	s_waitcnt vmcnt(0)
	v_div_scale_f64 v[110:111], s[4:5], v[107:108], v[107:108], 1.0
	v_rcp_f64_e32 v[112:113], v[110:111]
	v_fma_f64 v[114:115], -v[110:111], v[112:113], 1.0
	v_fma_f64 v[112:113], v[112:113], v[114:115], v[112:113]
	v_div_scale_f64 v[114:115], vcc, 1.0, v[107:108], 1.0
	v_fma_f64 v[116:117], -v[110:111], v[112:113], 1.0
	v_fma_f64 v[112:113], v[112:113], v[116:117], v[112:113]
	v_mul_f64 v[116:117], v[114:115], v[112:113]
	v_fma_f64 v[110:111], -v[110:111], v[116:117], v[114:115]
	v_div_fmas_f64 v[110:111], v[110:111], v[112:113], v[116:117]
	v_div_fixup_f64 v[107:108], v[110:111], v[107:108], 1.0
	buffer_store_dword v107, v118, s[0:3], 0 offen
	buffer_store_dword v108, v118, s[0:3], 0 offen offset:4
	v_xor_b32_e32 v108, 0x80000000, v108
.LBB116_3:
	s_cmpk_eq_i32 s8, 0x79
	v_add_u32_e32 v110, 0x1b0, v109
	v_mov_b32_e32 v111, v109
	s_mov_b64 s[4:5], -1
	ds_write_b64 v109, v[107:108]
	s_cbranch_scc1 .LBB116_517
; %bb.4:
	buffer_load_dword v107, off, s[0:3], 0 offset:408
	buffer_load_dword v108, off, s[0:3], 0 offset:412
	s_movk_i32 s12, 0x48
	s_movk_i32 s13, 0x50
	;; [unrolled: 1-line block ×42, first 2 shown]
	v_cmp_eq_u32_e64 s[4:5], 52, v0
	s_waitcnt vmcnt(0)
	ds_write_b64 v110, v[107:108]
	s_waitcnt lgkmcnt(0)
	; wave barrier
	s_and_saveexec_b64 s[6:7], s[4:5]
	s_cbranch_execz .LBB116_10
; %bb.5:
	s_and_b64 vcc, exec, s[10:11]
	s_cbranch_vccz .LBB116_7
; %bb.6:
	buffer_load_dword v107, v111, s[0:3], 0 offen
	buffer_load_dword v108, v111, s[0:3], 0 offen offset:4
	ds_read_b64 v[112:113], v110
	s_waitcnt vmcnt(0) lgkmcnt(0)
	v_mul_f64 v[107:108], v[107:108], v[112:113]
	s_cbranch_execz .LBB116_8
	s_branch .LBB116_9
.LBB116_7:
                                        ; implicit-def: $vgpr107_vgpr108
.LBB116_8:
	ds_read_b64 v[107:108], v110
.LBB116_9:
	v_mov_b32_e32 v112, 0
	ds_read_b64 v[112:113], v112 offset:408
	s_waitcnt lgkmcnt(0)
	v_mul_f64 v[107:108], v[107:108], v[112:113]
	buffer_store_dword v108, off, s[0:3], 0 offset:412
	buffer_store_dword v107, off, s[0:3], 0 offset:408
.LBB116_10:
	s_or_b64 exec, exec, s[6:7]
	buffer_load_dword v107, off, s[0:3], 0 offset:400
	buffer_load_dword v108, off, s[0:3], 0 offset:404
	s_or_b32 s14, 0, 8
	s_mov_b32 s15, 16
	s_mov_b32 s16, 24
	;; [unrolled: 1-line block ×9, first 2 shown]
	v_cmp_lt_u32_e64 s[6:7], 50, v0
	s_waitcnt vmcnt(0)
	ds_write_b64 v110, v[107:108]
	s_waitcnt lgkmcnt(0)
	; wave barrier
	s_and_saveexec_b64 s[8:9], s[6:7]
	s_cbranch_execz .LBB116_16
; %bb.11:
	s_andn2_b64 vcc, exec, s[10:11]
	s_cbranch_vccnz .LBB116_13
; %bb.12:
	buffer_load_dword v107, v111, s[0:3], 0 offen
	buffer_load_dword v108, v111, s[0:3], 0 offen offset:4
	ds_read_b64 v[112:113], v110
	s_waitcnt vmcnt(0) lgkmcnt(0)
	v_mul_f64 v[107:108], v[107:108], v[112:113]
	s_cbranch_execz .LBB116_14
	s_branch .LBB116_15
.LBB116_13:
                                        ; implicit-def: $vgpr107_vgpr108
.LBB116_14:
	ds_read_b64 v[107:108], v110
.LBB116_15:
	buffer_load_dword v116, off, s[0:3], 0 offset:408
	buffer_load_dword v117, off, s[0:3], 0 offset:412
	v_mov_b32_e32 v112, 0
	ds_read2_b64 v[112:115], v112 offset0:50 offset1:105
	s_waitcnt vmcnt(0) lgkmcnt(0)
	v_fma_f64 v[114:115], v[116:117], v[114:115], v[107:108]
	v_cndmask_b32_e64 v108, v108, v115, s[4:5]
	v_cndmask_b32_e64 v107, v107, v114, s[4:5]
	v_mul_f64 v[107:108], v[107:108], v[112:113]
	buffer_store_dword v108, off, s[0:3], 0 offset:404
	buffer_store_dword v107, off, s[0:3], 0 offset:400
.LBB116_16:
	s_or_b64 exec, exec, s[8:9]
	buffer_load_dword v107, off, s[0:3], 0 offset:392
	buffer_load_dword v108, off, s[0:3], 0 offset:396
	v_cmp_lt_u32_e64 s[4:5], 49, v0
	s_waitcnt vmcnt(0)
	ds_write_b64 v110, v[107:108]
	s_waitcnt lgkmcnt(0)
	; wave barrier
	s_and_saveexec_b64 s[8:9], s[4:5]
	s_cbranch_execz .LBB116_26
; %bb.17:
	s_andn2_b64 vcc, exec, s[10:11]
	s_cbranch_vccnz .LBB116_19
; %bb.18:
	buffer_load_dword v107, v111, s[0:3], 0 offen
	buffer_load_dword v108, v111, s[0:3], 0 offen offset:4
	ds_read_b64 v[112:113], v110
	s_waitcnt vmcnt(0) lgkmcnt(0)
	v_mul_f64 v[107:108], v[107:108], v[112:113]
	s_cbranch_execz .LBB116_20
	s_branch .LBB116_21
.LBB116_19:
                                        ; implicit-def: $vgpr107_vgpr108
.LBB116_20:
	ds_read_b64 v[107:108], v110
.LBB116_21:
	s_and_saveexec_b64 s[12:13], s[6:7]
	s_cbranch_execz .LBB116_25
; %bb.22:
	v_subrev_u32_e32 v112, 50, v0
	s_movk_i32 s65, 0x340
	s_mov_b64 s[6:7], 0
.LBB116_23:                             ; =>This Inner Loop Header: Depth=1
	v_mov_b32_e32 v114, s64
	buffer_load_dword v113, v114, s[0:3], 0 offen
	s_nop 0
	buffer_load_dword v114, v114, s[0:3], 0 offen offset:4
	v_mov_b32_e32 v115, s65
	ds_read_b64 v[115:116], v115
	v_add_u32_e32 v112, -1, v112
	s_add_i32 s65, s65, 8
	s_add_i32 s64, s64, 8
	v_cmp_eq_u32_e32 vcc, 0, v112
	s_or_b64 s[6:7], vcc, s[6:7]
	s_waitcnt vmcnt(0) lgkmcnt(0)
	v_fma_f64 v[107:108], v[113:114], v[115:116], v[107:108]
	s_andn2_b64 exec, exec, s[6:7]
	s_cbranch_execnz .LBB116_23
; %bb.24:
	s_or_b64 exec, exec, s[6:7]
.LBB116_25:
	s_or_b64 exec, exec, s[12:13]
	v_mov_b32_e32 v112, 0
	ds_read_b64 v[112:113], v112 offset:392
	s_waitcnt lgkmcnt(0)
	v_mul_f64 v[107:108], v[107:108], v[112:113]
	buffer_store_dword v108, off, s[0:3], 0 offset:396
	buffer_store_dword v107, off, s[0:3], 0 offset:392
.LBB116_26:
	s_or_b64 exec, exec, s[8:9]
	buffer_load_dword v107, off, s[0:3], 0 offset:384
	buffer_load_dword v108, off, s[0:3], 0 offset:388
	v_cmp_lt_u32_e64 s[6:7], 48, v0
	s_waitcnt vmcnt(0)
	ds_write_b64 v110, v[107:108]
	s_waitcnt lgkmcnt(0)
	; wave barrier
	s_and_saveexec_b64 s[8:9], s[6:7]
	s_cbranch_execz .LBB116_36
; %bb.27:
	s_andn2_b64 vcc, exec, s[10:11]
	s_cbranch_vccnz .LBB116_29
; %bb.28:
	buffer_load_dword v107, v111, s[0:3], 0 offen
	buffer_load_dword v108, v111, s[0:3], 0 offen offset:4
	ds_read_b64 v[112:113], v110
	s_waitcnt vmcnt(0) lgkmcnt(0)
	v_mul_f64 v[107:108], v[107:108], v[112:113]
	s_cbranch_execz .LBB116_30
	s_branch .LBB116_31
.LBB116_29:
                                        ; implicit-def: $vgpr107_vgpr108
.LBB116_30:
	ds_read_b64 v[107:108], v110
.LBB116_31:
	s_and_saveexec_b64 s[12:13], s[4:5]
	s_cbranch_execz .LBB116_35
; %bb.32:
	v_subrev_u32_e32 v112, 49, v0
	s_movk_i32 s64, 0x338
	s_mov_b64 s[4:5], 0
.LBB116_33:                             ; =>This Inner Loop Header: Depth=1
	v_mov_b32_e32 v114, s63
	buffer_load_dword v113, v114, s[0:3], 0 offen
	s_nop 0
	buffer_load_dword v114, v114, s[0:3], 0 offen offset:4
	v_mov_b32_e32 v115, s64
	ds_read_b64 v[115:116], v115
	v_add_u32_e32 v112, -1, v112
	s_add_i32 s64, s64, 8
	s_add_i32 s63, s63, 8
	v_cmp_eq_u32_e32 vcc, 0, v112
	s_or_b64 s[4:5], vcc, s[4:5]
	s_waitcnt vmcnt(0) lgkmcnt(0)
	v_fma_f64 v[107:108], v[113:114], v[115:116], v[107:108]
	s_andn2_b64 exec, exec, s[4:5]
	s_cbranch_execnz .LBB116_33
; %bb.34:
	s_or_b64 exec, exec, s[4:5]
.LBB116_35:
	s_or_b64 exec, exec, s[12:13]
	v_mov_b32_e32 v112, 0
	ds_read_b64 v[112:113], v112 offset:384
	s_waitcnt lgkmcnt(0)
	v_mul_f64 v[107:108], v[107:108], v[112:113]
	buffer_store_dword v108, off, s[0:3], 0 offset:388
	buffer_store_dword v107, off, s[0:3], 0 offset:384
.LBB116_36:
	;; [unrolled: 59-line block ×8, first 2 shown]
	s_or_b64 exec, exec, s[8:9]
	buffer_load_dword v107, off, s[0:3], 0 offset:328
	buffer_load_dword v108, off, s[0:3], 0 offset:332
	v_cmp_lt_u32_e64 s[4:5], 41, v0
	s_waitcnt vmcnt(0)
	ds_write_b64 v110, v[107:108]
	s_waitcnt lgkmcnt(0)
	; wave barrier
	s_and_saveexec_b64 s[8:9], s[4:5]
	s_cbranch_execz .LBB116_106
; %bb.97:
	s_andn2_b64 vcc, exec, s[10:11]
	s_cbranch_vccnz .LBB116_99
; %bb.98:
	buffer_load_dword v107, v111, s[0:3], 0 offen
	buffer_load_dword v108, v111, s[0:3], 0 offen offset:4
	ds_read_b64 v[112:113], v110
	s_waitcnt vmcnt(0) lgkmcnt(0)
	v_mul_f64 v[107:108], v[107:108], v[112:113]
	s_cbranch_execz .LBB116_100
	s_branch .LBB116_101
.LBB116_99:
                                        ; implicit-def: $vgpr107_vgpr108
.LBB116_100:
	ds_read_b64 v[107:108], v110
.LBB116_101:
	s_and_saveexec_b64 s[12:13], s[6:7]
	s_cbranch_execz .LBB116_105
; %bb.102:
	v_subrev_u32_e32 v112, 42, v0
	s_movk_i32 s57, 0x300
	s_mov_b64 s[6:7], 0
.LBB116_103:                            ; =>This Inner Loop Header: Depth=1
	v_mov_b32_e32 v114, s56
	buffer_load_dword v113, v114, s[0:3], 0 offen
	s_nop 0
	buffer_load_dword v114, v114, s[0:3], 0 offen offset:4
	v_mov_b32_e32 v115, s57
	ds_read_b64 v[115:116], v115
	v_add_u32_e32 v112, -1, v112
	s_add_i32 s57, s57, 8
	s_add_i32 s56, s56, 8
	v_cmp_eq_u32_e32 vcc, 0, v112
	s_or_b64 s[6:7], vcc, s[6:7]
	s_waitcnt vmcnt(0) lgkmcnt(0)
	v_fma_f64 v[107:108], v[113:114], v[115:116], v[107:108]
	s_andn2_b64 exec, exec, s[6:7]
	s_cbranch_execnz .LBB116_103
; %bb.104:
	s_or_b64 exec, exec, s[6:7]
.LBB116_105:
	s_or_b64 exec, exec, s[12:13]
	v_mov_b32_e32 v112, 0
	ds_read_b64 v[112:113], v112 offset:328
	s_waitcnt lgkmcnt(0)
	v_mul_f64 v[107:108], v[107:108], v[112:113]
	buffer_store_dword v108, off, s[0:3], 0 offset:332
	buffer_store_dword v107, off, s[0:3], 0 offset:328
.LBB116_106:
	s_or_b64 exec, exec, s[8:9]
	buffer_load_dword v107, off, s[0:3], 0 offset:320
	buffer_load_dword v108, off, s[0:3], 0 offset:324
	v_cmp_lt_u32_e64 s[6:7], 40, v0
	s_waitcnt vmcnt(0)
	ds_write_b64 v110, v[107:108]
	s_waitcnt lgkmcnt(0)
	; wave barrier
	s_and_saveexec_b64 s[8:9], s[6:7]
	s_cbranch_execz .LBB116_116
; %bb.107:
	s_andn2_b64 vcc, exec, s[10:11]
	s_cbranch_vccnz .LBB116_109
; %bb.108:
	buffer_load_dword v107, v111, s[0:3], 0 offen
	buffer_load_dword v108, v111, s[0:3], 0 offen offset:4
	ds_read_b64 v[112:113], v110
	s_waitcnt vmcnt(0) lgkmcnt(0)
	v_mul_f64 v[107:108], v[107:108], v[112:113]
	s_cbranch_execz .LBB116_110
	s_branch .LBB116_111
.LBB116_109:
                                        ; implicit-def: $vgpr107_vgpr108
.LBB116_110:
	ds_read_b64 v[107:108], v110
.LBB116_111:
	s_and_saveexec_b64 s[12:13], s[4:5]
	s_cbranch_execz .LBB116_115
; %bb.112:
	v_subrev_u32_e32 v112, 41, v0
	s_movk_i32 s56, 0x2f8
	s_mov_b64 s[4:5], 0
.LBB116_113:                            ; =>This Inner Loop Header: Depth=1
	v_mov_b32_e32 v114, s55
	buffer_load_dword v113, v114, s[0:3], 0 offen
	s_nop 0
	buffer_load_dword v114, v114, s[0:3], 0 offen offset:4
	v_mov_b32_e32 v115, s56
	ds_read_b64 v[115:116], v115
	v_add_u32_e32 v112, -1, v112
	s_add_i32 s56, s56, 8
	s_add_i32 s55, s55, 8
	v_cmp_eq_u32_e32 vcc, 0, v112
	s_or_b64 s[4:5], vcc, s[4:5]
	s_waitcnt vmcnt(0) lgkmcnt(0)
	v_fma_f64 v[107:108], v[113:114], v[115:116], v[107:108]
	s_andn2_b64 exec, exec, s[4:5]
	s_cbranch_execnz .LBB116_113
; %bb.114:
	s_or_b64 exec, exec, s[4:5]
.LBB116_115:
	s_or_b64 exec, exec, s[12:13]
	v_mov_b32_e32 v112, 0
	ds_read_b64 v[112:113], v112 offset:320
	s_waitcnt lgkmcnt(0)
	v_mul_f64 v[107:108], v[107:108], v[112:113]
	buffer_store_dword v108, off, s[0:3], 0 offset:324
	buffer_store_dword v107, off, s[0:3], 0 offset:320
.LBB116_116:
	;; [unrolled: 59-line block ×6, first 2 shown]
	s_or_b64 exec, exec, s[8:9]
	buffer_load_dword v107, off, s[0:3], 0 offset:280
	buffer_load_dword v108, off, s[0:3], 0 offset:284
	v_cmp_lt_u32_e64 s[4:5], 35, v0
	s_waitcnt vmcnt(0)
	ds_write_b64 v110, v[107:108]
	s_waitcnt lgkmcnt(0)
	; wave barrier
	s_and_saveexec_b64 s[8:9], s[4:5]
	s_cbranch_execz .LBB116_166
; %bb.157:
	s_andn2_b64 vcc, exec, s[10:11]
	s_cbranch_vccnz .LBB116_159
; %bb.158:
	buffer_load_dword v107, v111, s[0:3], 0 offen
	buffer_load_dword v108, v111, s[0:3], 0 offen offset:4
	ds_read_b64 v[112:113], v110
	s_waitcnt vmcnt(0) lgkmcnt(0)
	v_mul_f64 v[107:108], v[107:108], v[112:113]
	s_cbranch_execz .LBB116_160
	s_branch .LBB116_161
.LBB116_159:
                                        ; implicit-def: $vgpr107_vgpr108
.LBB116_160:
	ds_read_b64 v[107:108], v110
.LBB116_161:
	s_and_saveexec_b64 s[12:13], s[6:7]
	s_cbranch_execz .LBB116_165
; %bb.162:
	v_subrev_u32_e32 v112, 36, v0
	s_movk_i32 s51, 0x2d0
	s_mov_b64 s[6:7], 0
.LBB116_163:                            ; =>This Inner Loop Header: Depth=1
	v_mov_b32_e32 v115, s50
	buffer_load_dword v113, v115, s[0:3], 0 offen
	buffer_load_dword v114, v115, s[0:3], 0 offen offset:4
	v_mov_b32_e32 v115, s51
	ds_read_b64 v[115:116], v115
	v_add_u32_e32 v112, -1, v112
	s_add_i32 s51, s51, 8
	s_add_i32 s50, s50, 8
	v_cmp_eq_u32_e32 vcc, 0, v112
	s_or_b64 s[6:7], vcc, s[6:7]
	s_waitcnt vmcnt(0) lgkmcnt(0)
	v_fma_f64 v[107:108], v[113:114], v[115:116], v[107:108]
	s_andn2_b64 exec, exec, s[6:7]
	s_cbranch_execnz .LBB116_163
; %bb.164:
	s_or_b64 exec, exec, s[6:7]
.LBB116_165:
	s_or_b64 exec, exec, s[12:13]
	v_mov_b32_e32 v112, 0
	ds_read_b64 v[112:113], v112 offset:280
	s_waitcnt lgkmcnt(0)
	v_mul_f64 v[107:108], v[107:108], v[112:113]
	buffer_store_dword v108, off, s[0:3], 0 offset:284
	buffer_store_dword v107, off, s[0:3], 0 offset:280
.LBB116_166:
	s_or_b64 exec, exec, s[8:9]
	buffer_load_dword v107, off, s[0:3], 0 offset:272
	buffer_load_dword v108, off, s[0:3], 0 offset:276
	v_cmp_lt_u32_e64 s[6:7], 34, v0
	s_waitcnt vmcnt(0)
	ds_write_b64 v110, v[107:108]
	s_waitcnt lgkmcnt(0)
	; wave barrier
	s_and_saveexec_b64 s[8:9], s[6:7]
	s_cbranch_execz .LBB116_176
; %bb.167:
	s_andn2_b64 vcc, exec, s[10:11]
	s_cbranch_vccnz .LBB116_169
; %bb.168:
	buffer_load_dword v107, v111, s[0:3], 0 offen
	buffer_load_dword v108, v111, s[0:3], 0 offen offset:4
	ds_read_b64 v[112:113], v110
	s_waitcnt vmcnt(0) lgkmcnt(0)
	v_mul_f64 v[107:108], v[107:108], v[112:113]
	s_cbranch_execz .LBB116_170
	s_branch .LBB116_171
.LBB116_169:
                                        ; implicit-def: $vgpr107_vgpr108
.LBB116_170:
	ds_read_b64 v[107:108], v110
.LBB116_171:
	s_and_saveexec_b64 s[12:13], s[4:5]
	s_cbranch_execz .LBB116_175
; %bb.172:
	v_subrev_u32_e32 v112, 35, v0
	s_movk_i32 s50, 0x2c8
	s_mov_b64 s[4:5], 0
.LBB116_173:                            ; =>This Inner Loop Header: Depth=1
	v_mov_b32_e32 v115, s49
	buffer_load_dword v113, v115, s[0:3], 0 offen
	buffer_load_dword v114, v115, s[0:3], 0 offen offset:4
	v_mov_b32_e32 v115, s50
	ds_read_b64 v[115:116], v115
	v_add_u32_e32 v112, -1, v112
	s_add_i32 s50, s50, 8
	s_add_i32 s49, s49, 8
	v_cmp_eq_u32_e32 vcc, 0, v112
	s_or_b64 s[4:5], vcc, s[4:5]
	s_waitcnt vmcnt(0) lgkmcnt(0)
	v_fma_f64 v[107:108], v[113:114], v[115:116], v[107:108]
	s_andn2_b64 exec, exec, s[4:5]
	s_cbranch_execnz .LBB116_173
; %bb.174:
	s_or_b64 exec, exec, s[4:5]
.LBB116_175:
	s_or_b64 exec, exec, s[12:13]
	v_mov_b32_e32 v112, 0
	ds_read_b64 v[112:113], v112 offset:272
	s_waitcnt lgkmcnt(0)
	v_mul_f64 v[107:108], v[107:108], v[112:113]
	buffer_store_dword v108, off, s[0:3], 0 offset:276
	buffer_store_dword v107, off, s[0:3], 0 offset:272
.LBB116_176:
	;; [unrolled: 58-line block ×20, first 2 shown]
	s_or_b64 exec, exec, s[8:9]
	buffer_load_dword v107, off, s[0:3], 0 offset:120
	buffer_load_dword v108, off, s[0:3], 0 offset:124
	v_cmp_lt_u32_e64 s[4:5], 15, v0
	s_waitcnt vmcnt(0)
	ds_write_b64 v110, v[107:108]
	s_waitcnt lgkmcnt(0)
	; wave barrier
	s_and_saveexec_b64 s[8:9], s[4:5]
	s_cbranch_execz .LBB116_366
; %bb.357:
	s_andn2_b64 vcc, exec, s[10:11]
	s_cbranch_vccnz .LBB116_359
; %bb.358:
	buffer_load_dword v107, v111, s[0:3], 0 offen
	buffer_load_dword v108, v111, s[0:3], 0 offen offset:4
	ds_read_b64 v[112:113], v110
	s_waitcnt vmcnt(0) lgkmcnt(0)
	v_mul_f64 v[107:108], v[107:108], v[112:113]
	s_cbranch_execz .LBB116_360
	s_branch .LBB116_361
.LBB116_359:
                                        ; implicit-def: $vgpr107_vgpr108
.LBB116_360:
	ds_read_b64 v[107:108], v110
.LBB116_361:
	s_and_saveexec_b64 s[12:13], s[6:7]
	s_cbranch_execz .LBB116_365
; %bb.362:
	v_add_u32_e32 v112, -16, v0
	s_movk_i32 s30, 0x230
	s_mov_b64 s[6:7], 0
.LBB116_363:                            ; =>This Inner Loop Header: Depth=1
	v_mov_b32_e32 v115, s29
	buffer_load_dword v113, v115, s[0:3], 0 offen
	buffer_load_dword v114, v115, s[0:3], 0 offen offset:4
	v_mov_b32_e32 v115, s30
	ds_read_b64 v[115:116], v115
	v_add_u32_e32 v112, -1, v112
	s_add_i32 s30, s30, 8
	s_add_i32 s29, s29, 8
	v_cmp_eq_u32_e32 vcc, 0, v112
	s_or_b64 s[6:7], vcc, s[6:7]
	s_waitcnt vmcnt(0) lgkmcnt(0)
	v_fma_f64 v[107:108], v[113:114], v[115:116], v[107:108]
	s_andn2_b64 exec, exec, s[6:7]
	s_cbranch_execnz .LBB116_363
; %bb.364:
	s_or_b64 exec, exec, s[6:7]
.LBB116_365:
	s_or_b64 exec, exec, s[12:13]
	v_mov_b32_e32 v112, 0
	ds_read_b64 v[112:113], v112 offset:120
	s_waitcnt lgkmcnt(0)
	v_mul_f64 v[107:108], v[107:108], v[112:113]
	buffer_store_dword v108, off, s[0:3], 0 offset:124
	buffer_store_dword v107, off, s[0:3], 0 offset:120
.LBB116_366:
	s_or_b64 exec, exec, s[8:9]
	buffer_load_dword v107, off, s[0:3], 0 offset:112
	buffer_load_dword v108, off, s[0:3], 0 offset:116
	v_cmp_lt_u32_e64 s[6:7], 14, v0
	s_waitcnt vmcnt(0)
	ds_write_b64 v110, v[107:108]
	s_waitcnt lgkmcnt(0)
	; wave barrier
	s_and_saveexec_b64 s[8:9], s[6:7]
	s_cbranch_execz .LBB116_376
; %bb.367:
	s_andn2_b64 vcc, exec, s[10:11]
	s_cbranch_vccnz .LBB116_369
; %bb.368:
	buffer_load_dword v107, v111, s[0:3], 0 offen
	buffer_load_dword v108, v111, s[0:3], 0 offen offset:4
	ds_read_b64 v[112:113], v110
	s_waitcnt vmcnt(0) lgkmcnt(0)
	v_mul_f64 v[107:108], v[107:108], v[112:113]
	s_cbranch_execz .LBB116_370
	s_branch .LBB116_371
.LBB116_369:
                                        ; implicit-def: $vgpr107_vgpr108
.LBB116_370:
	ds_read_b64 v[107:108], v110
.LBB116_371:
	s_and_saveexec_b64 s[12:13], s[4:5]
	s_cbranch_execz .LBB116_375
; %bb.372:
	v_add_u32_e32 v112, -15, v0
	s_movk_i32 s29, 0x228
	s_mov_b64 s[4:5], 0
.LBB116_373:                            ; =>This Inner Loop Header: Depth=1
	v_mov_b32_e32 v115, s28
	buffer_load_dword v113, v115, s[0:3], 0 offen
	buffer_load_dword v114, v115, s[0:3], 0 offen offset:4
	v_mov_b32_e32 v115, s29
	ds_read_b64 v[115:116], v115
	v_add_u32_e32 v112, -1, v112
	s_add_i32 s29, s29, 8
	s_add_i32 s28, s28, 8
	v_cmp_eq_u32_e32 vcc, 0, v112
	s_or_b64 s[4:5], vcc, s[4:5]
	s_waitcnt vmcnt(0) lgkmcnt(0)
	v_fma_f64 v[107:108], v[113:114], v[115:116], v[107:108]
	s_andn2_b64 exec, exec, s[4:5]
	s_cbranch_execnz .LBB116_373
; %bb.374:
	s_or_b64 exec, exec, s[4:5]
.LBB116_375:
	s_or_b64 exec, exec, s[12:13]
	v_mov_b32_e32 v112, 0
	ds_read_b64 v[112:113], v112 offset:112
	s_waitcnt lgkmcnt(0)
	v_mul_f64 v[107:108], v[107:108], v[112:113]
	buffer_store_dword v108, off, s[0:3], 0 offset:116
	buffer_store_dword v107, off, s[0:3], 0 offset:112
.LBB116_376:
	;; [unrolled: 58-line block ×15, first 2 shown]
	s_or_b64 exec, exec, s[8:9]
	buffer_load_dword v107, off, s[0:3], 0
	buffer_load_dword v108, off, s[0:3], 0 offset:4
	v_cmp_ne_u32_e32 vcc, 0, v0
	s_waitcnt vmcnt(0)
	ds_write_b64 v110, v[107:108]
	s_waitcnt lgkmcnt(0)
	; wave barrier
	s_and_saveexec_b64 s[6:7], vcc
	s_cbranch_execz .LBB116_516
; %bb.507:
	s_andn2_b64 vcc, exec, s[10:11]
	s_cbranch_vccnz .LBB116_509
; %bb.508:
	buffer_load_dword v107, v111, s[0:3], 0 offen
	buffer_load_dword v108, v111, s[0:3], 0 offen offset:4
	ds_read_b64 v[112:113], v110
	s_waitcnt vmcnt(0) lgkmcnt(0)
	v_mul_f64 v[107:108], v[107:108], v[112:113]
	s_cbranch_execz .LBB116_510
	s_branch .LBB116_511
.LBB116_509:
                                        ; implicit-def: $vgpr107_vgpr108
.LBB116_510:
	ds_read_b64 v[107:108], v110
.LBB116_511:
	s_and_saveexec_b64 s[8:9], s[4:5]
	s_cbranch_execz .LBB116_515
; %bb.512:
	v_add_u32_e32 v112, -1, v0
	s_movk_i32 s12, 0x1b8
	s_mov_b64 s[4:5], 0
.LBB116_513:                            ; =>This Inner Loop Header: Depth=1
	v_mov_b32_e32 v115, s14
	buffer_load_dword v113, v115, s[0:3], 0 offen
	buffer_load_dword v114, v115, s[0:3], 0 offen offset:4
	v_mov_b32_e32 v115, s12
	ds_read_b64 v[115:116], v115
	v_add_u32_e32 v112, -1, v112
	s_add_i32 s12, s12, 8
	s_add_i32 s14, s14, 8
	v_cmp_eq_u32_e32 vcc, 0, v112
	s_or_b64 s[4:5], vcc, s[4:5]
	s_waitcnt vmcnt(0) lgkmcnt(0)
	v_fma_f64 v[107:108], v[113:114], v[115:116], v[107:108]
	s_andn2_b64 exec, exec, s[4:5]
	s_cbranch_execnz .LBB116_513
; %bb.514:
	s_or_b64 exec, exec, s[4:5]
.LBB116_515:
	s_or_b64 exec, exec, s[8:9]
	v_mov_b32_e32 v112, 0
	ds_read_b64 v[112:113], v112
	s_waitcnt lgkmcnt(0)
	v_mul_f64 v[107:108], v[107:108], v[112:113]
	buffer_store_dword v108, off, s[0:3], 0 offset:4
	buffer_store_dword v107, off, s[0:3], 0
.LBB116_516:
	s_or_b64 exec, exec, s[6:7]
	s_mov_b64 s[4:5], 0
.LBB116_517:
	s_and_b64 vcc, exec, s[4:5]
	s_cbranch_vccz .LBB116_1029
; %bb.518:
	buffer_load_dword v107, off, s[0:3], 0 offset:8
	buffer_load_dword v108, off, s[0:3], 0 offset:12
	v_cmp_eq_u32_e64 s[6:7], 0, v0
	s_waitcnt vmcnt(0)
	ds_write_b64 v110, v[107:108]
	s_waitcnt lgkmcnt(0)
	; wave barrier
	s_and_saveexec_b64 s[4:5], s[6:7]
	s_cbranch_execz .LBB116_524
; %bb.519:
	s_and_b64 vcc, exec, s[10:11]
	s_cbranch_vccz .LBB116_521
; %bb.520:
	buffer_load_dword v107, v111, s[0:3], 0 offen
	buffer_load_dword v108, v111, s[0:3], 0 offen offset:4
	ds_read_b64 v[112:113], v110
	s_waitcnt vmcnt(0) lgkmcnt(0)
	v_mul_f64 v[107:108], v[107:108], v[112:113]
	s_cbranch_execz .LBB116_522
	s_branch .LBB116_523
.LBB116_521:
                                        ; implicit-def: $vgpr107_vgpr108
.LBB116_522:
	ds_read_b64 v[107:108], v110
.LBB116_523:
	v_mov_b32_e32 v112, 0
	ds_read_b64 v[112:113], v112 offset:8
	s_waitcnt lgkmcnt(0)
	v_mul_f64 v[107:108], v[107:108], v[112:113]
	buffer_store_dword v108, off, s[0:3], 0 offset:12
	buffer_store_dword v107, off, s[0:3], 0 offset:8
.LBB116_524:
	s_or_b64 exec, exec, s[4:5]
	buffer_load_dword v107, off, s[0:3], 0 offset:16
	buffer_load_dword v108, off, s[0:3], 0 offset:20
	v_cndmask_b32_e64 v112, 0, 1, s[10:11]
	v_cmp_gt_u32_e32 vcc, 2, v0
	v_cmp_ne_u32_e64 s[4:5], 1, v112
	s_waitcnt vmcnt(0)
	ds_write_b64 v110, v[107:108]
	s_waitcnt lgkmcnt(0)
	; wave barrier
	s_and_saveexec_b64 s[8:9], vcc
	s_cbranch_execz .LBB116_530
; %bb.525:
	s_and_b64 vcc, exec, s[4:5]
	s_cbranch_vccnz .LBB116_527
; %bb.526:
	buffer_load_dword v107, v111, s[0:3], 0 offen
	buffer_load_dword v108, v111, s[0:3], 0 offen offset:4
	ds_read_b64 v[112:113], v110
	s_waitcnt vmcnt(0) lgkmcnt(0)
	v_mul_f64 v[107:108], v[107:108], v[112:113]
	s_cbranch_execz .LBB116_528
	s_branch .LBB116_529
.LBB116_527:
                                        ; implicit-def: $vgpr107_vgpr108
.LBB116_528:
	ds_read_b64 v[107:108], v110
.LBB116_529:
	buffer_load_dword v116, off, s[0:3], 0 offset:8
	buffer_load_dword v117, off, s[0:3], 0 offset:12
	v_mov_b32_e32 v112, 0
	ds_read2_b64 v[112:115], v112 offset0:2 offset1:55
	s_waitcnt vmcnt(0) lgkmcnt(0)
	v_fma_f64 v[114:115], v[116:117], v[114:115], v[107:108]
	v_cndmask_b32_e64 v108, v108, v115, s[6:7]
	v_cndmask_b32_e64 v107, v107, v114, s[6:7]
	v_mul_f64 v[107:108], v[107:108], v[112:113]
	buffer_store_dword v108, off, s[0:3], 0 offset:20
	buffer_store_dword v107, off, s[0:3], 0 offset:16
.LBB116_530:
	s_or_b64 exec, exec, s[8:9]
	buffer_load_dword v107, off, s[0:3], 0 offset:24
	buffer_load_dword v108, off, s[0:3], 0 offset:28
	v_cmp_gt_u32_e32 vcc, 3, v0
	s_waitcnt vmcnt(0)
	ds_write_b64 v110, v[107:108]
	s_waitcnt lgkmcnt(0)
	; wave barrier
	s_and_saveexec_b64 s[8:9], vcc
	s_cbranch_execz .LBB116_538
; %bb.531:
	s_and_b64 vcc, exec, s[4:5]
	s_cbranch_vccnz .LBB116_533
; %bb.532:
	buffer_load_dword v107, v111, s[0:3], 0 offen
	buffer_load_dword v108, v111, s[0:3], 0 offen offset:4
	ds_read_b64 v[112:113], v110
	s_waitcnt vmcnt(0) lgkmcnt(0)
	v_mul_f64 v[107:108], v[107:108], v[112:113]
	s_cbranch_execz .LBB116_534
	s_branch .LBB116_535
.LBB116_533:
                                        ; implicit-def: $vgpr107_vgpr108
.LBB116_534:
	ds_read_b64 v[107:108], v110
.LBB116_535:
	v_cmp_ne_u32_e32 vcc, 2, v0
	s_and_saveexec_b64 s[10:11], vcc
	s_cbranch_execz .LBB116_537
; %bb.536:
	buffer_load_dword v112, v111, s[0:3], 0 offen offset:8
	buffer_load_dword v113, v111, s[0:3], 0 offen offset:12
	buffer_load_dword v114, off, s[0:3], 0 offset:16
	buffer_load_dword v115, off, s[0:3], 0 offset:20
	ds_read_b64 v[116:117], v110 offset:8
	v_mov_b32_e32 v118, 0
	ds_read_b64 v[118:119], v118 offset:448
	s_waitcnt vmcnt(2) lgkmcnt(1)
	v_fma_f64 v[107:108], v[112:113], v[116:117], v[107:108]
	s_waitcnt vmcnt(0) lgkmcnt(0)
	v_fma_f64 v[112:113], v[114:115], v[118:119], v[107:108]
	v_cndmask_b32_e64 v108, v108, v113, s[6:7]
	v_cndmask_b32_e64 v107, v107, v112, s[6:7]
.LBB116_537:
	s_or_b64 exec, exec, s[10:11]
	v_mov_b32_e32 v112, 0
	ds_read_b64 v[112:113], v112 offset:24
	s_waitcnt lgkmcnt(0)
	v_mul_f64 v[107:108], v[107:108], v[112:113]
	buffer_store_dword v108, off, s[0:3], 0 offset:28
	buffer_store_dword v107, off, s[0:3], 0 offset:24
.LBB116_538:
	s_or_b64 exec, exec, s[8:9]
	buffer_load_dword v107, off, s[0:3], 0 offset:32
	buffer_load_dword v108, off, s[0:3], 0 offset:36
	v_cmp_gt_u32_e32 vcc, 4, v0
	s_waitcnt vmcnt(0)
	ds_write_b64 v110, v[107:108]
	s_waitcnt lgkmcnt(0)
	; wave barrier
	s_and_saveexec_b64 s[6:7], vcc
	s_cbranch_execz .LBB116_548
; %bb.539:
	s_and_b64 vcc, exec, s[4:5]
	s_cbranch_vccnz .LBB116_541
; %bb.540:
	buffer_load_dword v107, v111, s[0:3], 0 offen
	buffer_load_dword v108, v111, s[0:3], 0 offen offset:4
	ds_read_b64 v[112:113], v110
	s_waitcnt vmcnt(0) lgkmcnt(0)
	v_mul_f64 v[107:108], v[107:108], v[112:113]
	s_cbranch_execz .LBB116_542
	s_branch .LBB116_543
.LBB116_541:
                                        ; implicit-def: $vgpr107_vgpr108
.LBB116_542:
	ds_read_b64 v[107:108], v110
.LBB116_543:
	v_cmp_ne_u32_e32 vcc, 3, v0
	s_and_saveexec_b64 s[8:9], vcc
	s_cbranch_execz .LBB116_547
; %bb.544:
	s_mov_b32 s10, 0
	v_add_u32_e32 v112, 0x1b8, v109
	v_add3_u32 v113, v109, s10, 8
	s_mov_b64 s[10:11], 0
	v_mov_b32_e32 v114, v0
.LBB116_545:                            ; =>This Inner Loop Header: Depth=1
	buffer_load_dword v115, v113, s[0:3], 0 offen
	buffer_load_dword v116, v113, s[0:3], 0 offen offset:4
	ds_read_b64 v[117:118], v112
	v_add_u32_e32 v114, 1, v114
	v_cmp_lt_u32_e32 vcc, 2, v114
	v_add_u32_e32 v112, 8, v112
	s_or_b64 s[10:11], vcc, s[10:11]
	v_add_u32_e32 v113, 8, v113
	s_waitcnt vmcnt(0) lgkmcnt(0)
	v_fma_f64 v[107:108], v[115:116], v[117:118], v[107:108]
	s_andn2_b64 exec, exec, s[10:11]
	s_cbranch_execnz .LBB116_545
; %bb.546:
	s_or_b64 exec, exec, s[10:11]
.LBB116_547:
	s_or_b64 exec, exec, s[8:9]
	v_mov_b32_e32 v112, 0
	ds_read_b64 v[112:113], v112 offset:32
	s_waitcnt lgkmcnt(0)
	v_mul_f64 v[107:108], v[107:108], v[112:113]
	buffer_store_dword v108, off, s[0:3], 0 offset:36
	buffer_store_dword v107, off, s[0:3], 0 offset:32
.LBB116_548:
	s_or_b64 exec, exec, s[6:7]
	buffer_load_dword v107, off, s[0:3], 0 offset:40
	buffer_load_dword v108, off, s[0:3], 0 offset:44
	v_cmp_gt_u32_e32 vcc, 5, v0
	s_waitcnt vmcnt(0)
	ds_write_b64 v110, v[107:108]
	s_waitcnt lgkmcnt(0)
	; wave barrier
	s_and_saveexec_b64 s[6:7], vcc
	s_cbranch_execz .LBB116_558
; %bb.549:
	s_and_b64 vcc, exec, s[4:5]
	s_cbranch_vccnz .LBB116_551
; %bb.550:
	buffer_load_dword v107, v111, s[0:3], 0 offen
	buffer_load_dword v108, v111, s[0:3], 0 offen offset:4
	ds_read_b64 v[112:113], v110
	s_waitcnt vmcnt(0) lgkmcnt(0)
	v_mul_f64 v[107:108], v[107:108], v[112:113]
	s_cbranch_execz .LBB116_552
	s_branch .LBB116_553
.LBB116_551:
                                        ; implicit-def: $vgpr107_vgpr108
.LBB116_552:
	ds_read_b64 v[107:108], v110
.LBB116_553:
	v_cmp_ne_u32_e32 vcc, 4, v0
	s_and_saveexec_b64 s[8:9], vcc
	s_cbranch_execz .LBB116_557
; %bb.554:
	s_mov_b32 s10, 0
	v_add_u32_e32 v112, 0x1b8, v109
	v_add3_u32 v113, v109, s10, 8
	s_mov_b64 s[10:11], 0
	v_mov_b32_e32 v114, v0
.LBB116_555:                            ; =>This Inner Loop Header: Depth=1
	buffer_load_dword v115, v113, s[0:3], 0 offen
	buffer_load_dword v116, v113, s[0:3], 0 offen offset:4
	ds_read_b64 v[117:118], v112
	v_add_u32_e32 v114, 1, v114
	v_cmp_lt_u32_e32 vcc, 3, v114
	v_add_u32_e32 v112, 8, v112
	s_or_b64 s[10:11], vcc, s[10:11]
	v_add_u32_e32 v113, 8, v113
	s_waitcnt vmcnt(0) lgkmcnt(0)
	v_fma_f64 v[107:108], v[115:116], v[117:118], v[107:108]
	s_andn2_b64 exec, exec, s[10:11]
	s_cbranch_execnz .LBB116_555
; %bb.556:
	s_or_b64 exec, exec, s[10:11]
.LBB116_557:
	s_or_b64 exec, exec, s[8:9]
	v_mov_b32_e32 v112, 0
	ds_read_b64 v[112:113], v112 offset:40
	s_waitcnt lgkmcnt(0)
	v_mul_f64 v[107:108], v[107:108], v[112:113]
	buffer_store_dword v108, off, s[0:3], 0 offset:44
	buffer_store_dword v107, off, s[0:3], 0 offset:40
.LBB116_558:
	;; [unrolled: 59-line block ×46, first 2 shown]
	s_or_b64 exec, exec, s[6:7]
	buffer_load_dword v107, off, s[0:3], 0 offset:400
	buffer_load_dword v108, off, s[0:3], 0 offset:404
	v_cmp_gt_u32_e32 vcc, 50, v0
	s_waitcnt vmcnt(0)
	ds_write_b64 v110, v[107:108]
	s_waitcnt lgkmcnt(0)
	; wave barrier
	s_and_saveexec_b64 s[6:7], vcc
	s_cbranch_execz .LBB116_1008
; %bb.999:
	s_and_b64 vcc, exec, s[4:5]
	s_cbranch_vccnz .LBB116_1001
; %bb.1000:
	buffer_load_dword v107, v111, s[0:3], 0 offen
	buffer_load_dword v108, v111, s[0:3], 0 offen offset:4
	ds_read_b64 v[112:113], v110
	s_waitcnt vmcnt(0) lgkmcnt(0)
	v_mul_f64 v[107:108], v[107:108], v[112:113]
	s_cbranch_execz .LBB116_1002
	s_branch .LBB116_1003
.LBB116_1001:
                                        ; implicit-def: $vgpr107_vgpr108
.LBB116_1002:
	ds_read_b64 v[107:108], v110
.LBB116_1003:
	v_cmp_ne_u32_e32 vcc, 49, v0
	s_and_saveexec_b64 s[8:9], vcc
	s_cbranch_execz .LBB116_1007
; %bb.1004:
	s_mov_b32 s10, 0
	v_add_u32_e32 v112, 0x1b8, v109
	v_add3_u32 v113, v109, s10, 8
	s_mov_b64 s[10:11], 0
	v_mov_b32_e32 v114, v0
.LBB116_1005:                           ; =>This Inner Loop Header: Depth=1
	buffer_load_dword v115, v113, s[0:3], 0 offen
	buffer_load_dword v116, v113, s[0:3], 0 offen offset:4
	ds_read_b64 v[117:118], v112
	v_add_u32_e32 v114, 1, v114
	v_cmp_lt_u32_e32 vcc, 48, v114
	v_add_u32_e32 v112, 8, v112
	s_or_b64 s[10:11], vcc, s[10:11]
	v_add_u32_e32 v113, 8, v113
	s_waitcnt vmcnt(0) lgkmcnt(0)
	v_fma_f64 v[107:108], v[115:116], v[117:118], v[107:108]
	s_andn2_b64 exec, exec, s[10:11]
	s_cbranch_execnz .LBB116_1005
; %bb.1006:
	s_or_b64 exec, exec, s[10:11]
.LBB116_1007:
	s_or_b64 exec, exec, s[8:9]
	v_mov_b32_e32 v112, 0
	ds_read_b64 v[112:113], v112 offset:400
	s_waitcnt lgkmcnt(0)
	v_mul_f64 v[107:108], v[107:108], v[112:113]
	buffer_store_dword v108, off, s[0:3], 0 offset:404
	buffer_store_dword v107, off, s[0:3], 0 offset:400
.LBB116_1008:
	s_or_b64 exec, exec, s[6:7]
	buffer_load_dword v107, off, s[0:3], 0 offset:408
	buffer_load_dword v108, off, s[0:3], 0 offset:412
	v_cmp_gt_u32_e64 s[6:7], 51, v0
	s_waitcnt vmcnt(0)
	ds_write_b64 v110, v[107:108]
	s_waitcnt lgkmcnt(0)
	; wave barrier
	s_and_saveexec_b64 s[8:9], s[6:7]
	s_cbranch_execz .LBB116_1018
; %bb.1009:
	s_and_b64 vcc, exec, s[4:5]
	s_cbranch_vccnz .LBB116_1011
; %bb.1010:
	buffer_load_dword v107, v111, s[0:3], 0 offen
	buffer_load_dword v108, v111, s[0:3], 0 offen offset:4
	ds_read_b64 v[112:113], v110
	s_waitcnt vmcnt(0) lgkmcnt(0)
	v_mul_f64 v[107:108], v[107:108], v[112:113]
	s_cbranch_execz .LBB116_1012
	s_branch .LBB116_1013
.LBB116_1011:
                                        ; implicit-def: $vgpr107_vgpr108
.LBB116_1012:
	ds_read_b64 v[107:108], v110
.LBB116_1013:
	v_cmp_ne_u32_e32 vcc, 50, v0
	s_and_saveexec_b64 s[10:11], vcc
	s_cbranch_execz .LBB116_1017
; %bb.1014:
	s_mov_b32 s12, 0
	v_add_u32_e32 v112, 0x1b8, v109
	v_add3_u32 v113, v109, s12, 8
	s_mov_b64 s[12:13], 0
	v_mov_b32_e32 v114, v0
.LBB116_1015:                           ; =>This Inner Loop Header: Depth=1
	buffer_load_dword v115, v113, s[0:3], 0 offen
	buffer_load_dword v116, v113, s[0:3], 0 offen offset:4
	ds_read_b64 v[117:118], v112
	v_add_u32_e32 v114, 1, v114
	v_cmp_lt_u32_e32 vcc, 49, v114
	v_add_u32_e32 v112, 8, v112
	s_or_b64 s[12:13], vcc, s[12:13]
	v_add_u32_e32 v113, 8, v113
	s_waitcnt vmcnt(0) lgkmcnt(0)
	v_fma_f64 v[107:108], v[115:116], v[117:118], v[107:108]
	s_andn2_b64 exec, exec, s[12:13]
	s_cbranch_execnz .LBB116_1015
; %bb.1016:
	s_or_b64 exec, exec, s[12:13]
.LBB116_1017:
	s_or_b64 exec, exec, s[10:11]
	v_mov_b32_e32 v112, 0
	ds_read_b64 v[112:113], v112 offset:408
	s_waitcnt lgkmcnt(0)
	v_mul_f64 v[107:108], v[107:108], v[112:113]
	buffer_store_dword v108, off, s[0:3], 0 offset:412
	buffer_store_dword v107, off, s[0:3], 0 offset:408
.LBB116_1018:
	s_or_b64 exec, exec, s[8:9]
	buffer_load_dword v107, off, s[0:3], 0 offset:416
	buffer_load_dword v108, off, s[0:3], 0 offset:420
	v_cmp_ne_u32_e32 vcc, 52, v0
	s_waitcnt vmcnt(0)
	ds_write_b64 v110, v[107:108]
	s_waitcnt lgkmcnt(0)
	; wave barrier
	s_and_saveexec_b64 s[8:9], vcc
	s_cbranch_execz .LBB116_1028
; %bb.1019:
	s_and_b64 vcc, exec, s[4:5]
	s_cbranch_vccnz .LBB116_1021
; %bb.1020:
	buffer_load_dword v107, v111, s[0:3], 0 offen
	buffer_load_dword v108, v111, s[0:3], 0 offen offset:4
	ds_read_b64 v[111:112], v110
	s_waitcnt vmcnt(0) lgkmcnt(0)
	v_mul_f64 v[107:108], v[107:108], v[111:112]
	s_cbranch_execz .LBB116_1022
	s_branch .LBB116_1023
.LBB116_1021:
                                        ; implicit-def: $vgpr107_vgpr108
.LBB116_1022:
	ds_read_b64 v[107:108], v110
.LBB116_1023:
	s_and_saveexec_b64 s[4:5], s[6:7]
	s_cbranch_execz .LBB116_1027
; %bb.1024:
	s_mov_b32 s6, 0
	v_add_u32_e32 v110, 0x1b8, v109
	v_add3_u32 v109, v109, s6, 8
	s_mov_b64 s[6:7], 0
.LBB116_1025:                           ; =>This Inner Loop Header: Depth=1
	buffer_load_dword v111, v109, s[0:3], 0 offen
	buffer_load_dword v112, v109, s[0:3], 0 offen offset:4
	ds_read_b64 v[113:114], v110
	v_add_u32_e32 v0, 1, v0
	v_cmp_lt_u32_e32 vcc, 50, v0
	v_add_u32_e32 v110, 8, v110
	s_or_b64 s[6:7], vcc, s[6:7]
	v_add_u32_e32 v109, 8, v109
	s_waitcnt vmcnt(0) lgkmcnt(0)
	v_fma_f64 v[107:108], v[111:112], v[113:114], v[107:108]
	s_andn2_b64 exec, exec, s[6:7]
	s_cbranch_execnz .LBB116_1025
; %bb.1026:
	s_or_b64 exec, exec, s[6:7]
.LBB116_1027:
	s_or_b64 exec, exec, s[4:5]
	v_mov_b32_e32 v0, 0
	ds_read_b64 v[109:110], v0 offset:416
	s_waitcnt lgkmcnt(0)
	v_mul_f64 v[107:108], v[107:108], v[109:110]
	buffer_store_dword v108, off, s[0:3], 0 offset:420
	buffer_store_dword v107, off, s[0:3], 0 offset:416
.LBB116_1028:
	s_or_b64 exec, exec, s[8:9]
.LBB116_1029:
	buffer_load_dword v107, off, s[0:3], 0
	buffer_load_dword v108, off, s[0:3], 0 offset:4
	s_waitcnt vmcnt(0)
	flat_store_dwordx2 v[1:2], v[107:108]
	buffer_load_dword v0, off, s[0:3], 0 offset:8
	s_nop 0
	buffer_load_dword v1, off, s[0:3], 0 offset:12
	s_waitcnt vmcnt(0)
	flat_store_dwordx2 v[3:4], v[0:1]
	buffer_load_dword v0, off, s[0:3], 0 offset:16
	s_nop 0
	;; [unrolled: 5-line block ×52, first 2 shown]
	buffer_load_dword v1, off, s[0:3], 0 offset:420
	s_waitcnt vmcnt(0)
	flat_store_dwordx2 v[105:106], v[0:1]
.LBB116_1030:
	s_endpgm
	.section	.rodata,"a",@progbits
	.p2align	6, 0x0
	.amdhsa_kernel _ZN9rocsolver6v33100L18trti2_kernel_smallILi53EdPKPdEEv13rocblas_fill_17rocblas_diagonal_T1_iil
		.amdhsa_group_segment_fixed_size 856
		.amdhsa_private_segment_fixed_size 432
		.amdhsa_kernarg_size 32
		.amdhsa_user_sgpr_count 6
		.amdhsa_user_sgpr_private_segment_buffer 1
		.amdhsa_user_sgpr_dispatch_ptr 0
		.amdhsa_user_sgpr_queue_ptr 0
		.amdhsa_user_sgpr_kernarg_segment_ptr 1
		.amdhsa_user_sgpr_dispatch_id 0
		.amdhsa_user_sgpr_flat_scratch_init 0
		.amdhsa_user_sgpr_private_segment_size 0
		.amdhsa_uses_dynamic_stack 0
		.amdhsa_system_sgpr_private_segment_wavefront_offset 1
		.amdhsa_system_sgpr_workgroup_id_x 1
		.amdhsa_system_sgpr_workgroup_id_y 0
		.amdhsa_system_sgpr_workgroup_id_z 0
		.amdhsa_system_sgpr_workgroup_info 0
		.amdhsa_system_vgpr_workitem_id 0
		.amdhsa_next_free_vgpr 120
		.amdhsa_next_free_sgpr 66
		.amdhsa_reserve_vcc 1
		.amdhsa_reserve_flat_scratch 0
		.amdhsa_float_round_mode_32 0
		.amdhsa_float_round_mode_16_64 0
		.amdhsa_float_denorm_mode_32 3
		.amdhsa_float_denorm_mode_16_64 3
		.amdhsa_dx10_clamp 1
		.amdhsa_ieee_mode 1
		.amdhsa_fp16_overflow 0
		.amdhsa_exception_fp_ieee_invalid_op 0
		.amdhsa_exception_fp_denorm_src 0
		.amdhsa_exception_fp_ieee_div_zero 0
		.amdhsa_exception_fp_ieee_overflow 0
		.amdhsa_exception_fp_ieee_underflow 0
		.amdhsa_exception_fp_ieee_inexact 0
		.amdhsa_exception_int_div_zero 0
	.end_amdhsa_kernel
	.section	.text._ZN9rocsolver6v33100L18trti2_kernel_smallILi53EdPKPdEEv13rocblas_fill_17rocblas_diagonal_T1_iil,"axG",@progbits,_ZN9rocsolver6v33100L18trti2_kernel_smallILi53EdPKPdEEv13rocblas_fill_17rocblas_diagonal_T1_iil,comdat
.Lfunc_end116:
	.size	_ZN9rocsolver6v33100L18trti2_kernel_smallILi53EdPKPdEEv13rocblas_fill_17rocblas_diagonal_T1_iil, .Lfunc_end116-_ZN9rocsolver6v33100L18trti2_kernel_smallILi53EdPKPdEEv13rocblas_fill_17rocblas_diagonal_T1_iil
                                        ; -- End function
	.set _ZN9rocsolver6v33100L18trti2_kernel_smallILi53EdPKPdEEv13rocblas_fill_17rocblas_diagonal_T1_iil.num_vgpr, 120
	.set _ZN9rocsolver6v33100L18trti2_kernel_smallILi53EdPKPdEEv13rocblas_fill_17rocblas_diagonal_T1_iil.num_agpr, 0
	.set _ZN9rocsolver6v33100L18trti2_kernel_smallILi53EdPKPdEEv13rocblas_fill_17rocblas_diagonal_T1_iil.numbered_sgpr, 66
	.set _ZN9rocsolver6v33100L18trti2_kernel_smallILi53EdPKPdEEv13rocblas_fill_17rocblas_diagonal_T1_iil.num_named_barrier, 0
	.set _ZN9rocsolver6v33100L18trti2_kernel_smallILi53EdPKPdEEv13rocblas_fill_17rocblas_diagonal_T1_iil.private_seg_size, 432
	.set _ZN9rocsolver6v33100L18trti2_kernel_smallILi53EdPKPdEEv13rocblas_fill_17rocblas_diagonal_T1_iil.uses_vcc, 1
	.set _ZN9rocsolver6v33100L18trti2_kernel_smallILi53EdPKPdEEv13rocblas_fill_17rocblas_diagonal_T1_iil.uses_flat_scratch, 0
	.set _ZN9rocsolver6v33100L18trti2_kernel_smallILi53EdPKPdEEv13rocblas_fill_17rocblas_diagonal_T1_iil.has_dyn_sized_stack, 0
	.set _ZN9rocsolver6v33100L18trti2_kernel_smallILi53EdPKPdEEv13rocblas_fill_17rocblas_diagonal_T1_iil.has_recursion, 0
	.set _ZN9rocsolver6v33100L18trti2_kernel_smallILi53EdPKPdEEv13rocblas_fill_17rocblas_diagonal_T1_iil.has_indirect_call, 0
	.section	.AMDGPU.csdata,"",@progbits
; Kernel info:
; codeLenInByte = 31504
; TotalNumSgprs: 70
; NumVgprs: 120
; ScratchSize: 432
; MemoryBound: 0
; FloatMode: 240
; IeeeMode: 1
; LDSByteSize: 856 bytes/workgroup (compile time only)
; SGPRBlocks: 8
; VGPRBlocks: 29
; NumSGPRsForWavesPerEU: 70
; NumVGPRsForWavesPerEU: 120
; Occupancy: 2
; WaveLimiterHint : 1
; COMPUTE_PGM_RSRC2:SCRATCH_EN: 1
; COMPUTE_PGM_RSRC2:USER_SGPR: 6
; COMPUTE_PGM_RSRC2:TRAP_HANDLER: 0
; COMPUTE_PGM_RSRC2:TGID_X_EN: 1
; COMPUTE_PGM_RSRC2:TGID_Y_EN: 0
; COMPUTE_PGM_RSRC2:TGID_Z_EN: 0
; COMPUTE_PGM_RSRC2:TIDIG_COMP_CNT: 0
	.section	.text._ZN9rocsolver6v33100L18trti2_kernel_smallILi54EdPKPdEEv13rocblas_fill_17rocblas_diagonal_T1_iil,"axG",@progbits,_ZN9rocsolver6v33100L18trti2_kernel_smallILi54EdPKPdEEv13rocblas_fill_17rocblas_diagonal_T1_iil,comdat
	.globl	_ZN9rocsolver6v33100L18trti2_kernel_smallILi54EdPKPdEEv13rocblas_fill_17rocblas_diagonal_T1_iil ; -- Begin function _ZN9rocsolver6v33100L18trti2_kernel_smallILi54EdPKPdEEv13rocblas_fill_17rocblas_diagonal_T1_iil
	.p2align	8
	.type	_ZN9rocsolver6v33100L18trti2_kernel_smallILi54EdPKPdEEv13rocblas_fill_17rocblas_diagonal_T1_iil,@function
_ZN9rocsolver6v33100L18trti2_kernel_smallILi54EdPKPdEEv13rocblas_fill_17rocblas_diagonal_T1_iil: ; @_ZN9rocsolver6v33100L18trti2_kernel_smallILi54EdPKPdEEv13rocblas_fill_17rocblas_diagonal_T1_iil
; %bb.0:
	s_add_u32 s0, s0, s7
	s_addc_u32 s1, s1, 0
	v_cmp_gt_u32_e32 vcc, 54, v0
	s_and_saveexec_b64 s[8:9], vcc
	s_cbranch_execz .LBB117_1050
; %bb.1:
	s_load_dwordx2 s[12:13], s[4:5], 0x10
	s_load_dwordx4 s[8:11], s[4:5], 0x0
	s_ashr_i32 s7, s6, 31
	s_lshl_b64 s[6:7], s[6:7], 3
	v_lshlrev_b32_e32 v111, 3, v0
	s_waitcnt lgkmcnt(0)
	s_ashr_i32 s5, s12, 31
	s_add_u32 s6, s10, s6
	s_addc_u32 s7, s11, s7
	s_load_dwordx2 s[6:7], s[6:7], 0x0
	s_mov_b32 s4, s12
	s_lshl_b64 s[4:5], s[4:5], 3
	s_waitcnt lgkmcnt(0)
	s_add_u32 s4, s6, s4
	s_addc_u32 s5, s7, s5
	v_mov_b32_e32 v2, s5
	v_add_co_u32_e32 v1, vcc, s4, v111
	v_addc_co_u32_e32 v2, vcc, 0, v2, vcc
	flat_load_dwordx2 v[5:6], v[1:2]
	s_mov_b32 s6, s13
	s_ashr_i32 s7, s13, 31
	s_lshl_b64 s[6:7], s[6:7], 3
	v_mov_b32_e32 v4, s7
	v_add_co_u32_e32 v3, vcc, s6, v1
	v_addc_co_u32_e32 v4, vcc, v2, v4, vcc
	s_add_i32 s6, s13, s13
	v_add_u32_e32 v9, s6, v0
	v_ashrrev_i32_e32 v10, 31, v9
	v_mov_b32_e32 v11, s5
	v_add_u32_e32 v12, s13, v9
	v_ashrrev_i32_e32 v13, 31, v12
	v_mov_b32_e32 v14, s5
	v_mov_b32_e32 v15, s5
	;; [unrolled: 1-line block ×50, first 2 shown]
	s_cmpk_lg_i32 s9, 0x84
	s_cselect_b64 s[10:11], -1, 0
	s_cmpk_eq_i32 s9, 0x84
	s_waitcnt vmcnt(0) lgkmcnt(0)
	buffer_store_dword v6, off, s[0:3], 0 offset:4
	buffer_store_dword v5, off, s[0:3], 0
	flat_load_dwordx2 v[7:8], v[3:4]
	v_lshlrev_b64 v[5:6], 3, v[9:10]
	s_waitcnt vmcnt(0) lgkmcnt(0)
	buffer_store_dword v8, off, s[0:3], 0 offset:12
	buffer_store_dword v7, off, s[0:3], 0 offset:8
	v_add_co_u32_e32 v5, vcc, s4, v5
	v_addc_co_u32_e32 v6, vcc, v11, v6, vcc
	flat_load_dwordx2 v[10:11], v[5:6]
	v_lshlrev_b64 v[7:8], 3, v[12:13]
	s_waitcnt vmcnt(0) lgkmcnt(0)
	buffer_store_dword v11, off, s[0:3], 0 offset:20
	buffer_store_dword v10, off, s[0:3], 0 offset:16
	v_add_co_u32_e32 v7, vcc, s4, v7
	v_addc_co_u32_e32 v8, vcc, v14, v8, vcc
	flat_load_dwordx2 v[13:14], v[7:8]
	v_add_u32_e32 v11, s13, v12
	v_ashrrev_i32_e32 v12, 31, v11
	v_lshlrev_b64 v[9:10], 3, v[11:12]
	s_waitcnt vmcnt(0) lgkmcnt(0)
	buffer_store_dword v14, off, s[0:3], 0 offset:28
	buffer_store_dword v13, off, s[0:3], 0 offset:24
	v_add_co_u32_e32 v9, vcc, s4, v9
	v_addc_co_u32_e32 v10, vcc, v15, v10, vcc
	flat_load_dwordx2 v[13:14], v[9:10]
	v_add_u32_e32 v15, s13, v11
	v_ashrrev_i32_e32 v16, 31, v15
	v_lshlrev_b64 v[11:12], 3, v[15:16]
	v_add_u32_e32 v18, s13, v15
	v_add_co_u32_e32 v11, vcc, s4, v11
	v_addc_co_u32_e32 v12, vcc, v17, v12, vcc
	v_ashrrev_i32_e32 v19, 31, v18
	s_waitcnt vmcnt(0) lgkmcnt(0)
	buffer_store_dword v14, off, s[0:3], 0 offset:36
	buffer_store_dword v13, off, s[0:3], 0 offset:32
	flat_load_dwordx2 v[16:17], v[11:12]
	v_lshlrev_b64 v[13:14], 3, v[18:19]
	s_waitcnt vmcnt(0) lgkmcnt(0)
	buffer_store_dword v17, off, s[0:3], 0 offset:44
	buffer_store_dword v16, off, s[0:3], 0 offset:40
	v_add_co_u32_e32 v13, vcc, s4, v13
	v_addc_co_u32_e32 v14, vcc, v20, v14, vcc
	flat_load_dwordx2 v[19:20], v[13:14]
	v_add_u32_e32 v17, s13, v18
	v_ashrrev_i32_e32 v18, 31, v17
	v_lshlrev_b64 v[15:16], 3, v[17:18]
	s_waitcnt vmcnt(0) lgkmcnt(0)
	buffer_store_dword v20, off, s[0:3], 0 offset:52
	buffer_store_dword v19, off, s[0:3], 0 offset:48
	v_add_co_u32_e32 v15, vcc, s4, v15
	v_addc_co_u32_e32 v16, vcc, v21, v16, vcc
	flat_load_dwordx2 v[19:20], v[15:16]
	v_add_u32_e32 v21, s13, v17
	v_ashrrev_i32_e32 v22, 31, v21
	v_lshlrev_b64 v[17:18], 3, v[21:22]
	v_add_u32_e32 v24, s13, v21
	v_add_co_u32_e32 v17, vcc, s4, v17
	v_addc_co_u32_e32 v18, vcc, v23, v18, vcc
	v_ashrrev_i32_e32 v25, 31, v24
	s_waitcnt vmcnt(0) lgkmcnt(0)
	buffer_store_dword v20, off, s[0:3], 0 offset:60
	buffer_store_dword v19, off, s[0:3], 0 offset:56
	;; [unrolled: 27-line block ×7, first 2 shown]
	flat_load_dwordx2 v[52:53], v[47:48]
	v_lshlrev_b64 v[49:50], 3, v[54:55]
	s_waitcnt vmcnt(0) lgkmcnt(0)
	buffer_store_dword v53, off, s[0:3], 0 offset:188
	buffer_store_dword v52, off, s[0:3], 0 offset:184
	v_add_co_u32_e32 v49, vcc, s4, v49
	v_addc_co_u32_e32 v50, vcc, v56, v50, vcc
	flat_load_dwordx2 v[55:56], v[49:50]
	v_add_u32_e32 v53, s13, v54
	v_ashrrev_i32_e32 v54, 31, v53
	v_lshlrev_b64 v[51:52], 3, v[53:54]
	s_waitcnt vmcnt(0) lgkmcnt(0)
	buffer_store_dword v56, off, s[0:3], 0 offset:196
	buffer_store_dword v55, off, s[0:3], 0 offset:192
	v_add_co_u32_e32 v51, vcc, s4, v51
	v_addc_co_u32_e32 v52, vcc, v57, v52, vcc
	flat_load_dwordx2 v[55:56], v[51:52]
	v_add_u32_e32 v57, s13, v53
	v_ashrrev_i32_e32 v58, 31, v57
	v_lshlrev_b64 v[53:54], 3, v[57:58]
	v_add_u32_e32 v60, s13, v57
	v_add_co_u32_e32 v53, vcc, s4, v53
	v_addc_co_u32_e32 v54, vcc, v59, v54, vcc
	s_waitcnt vmcnt(0) lgkmcnt(0)
	buffer_store_dword v56, off, s[0:3], 0 offset:204
	buffer_store_dword v55, off, s[0:3], 0 offset:200
	flat_load_dwordx2 v[58:59], v[53:54]
	v_ashrrev_i32_e32 v61, 31, v60
	v_lshlrev_b64 v[55:56], 3, v[60:61]
	s_waitcnt vmcnt(0) lgkmcnt(0)
	buffer_store_dword v59, off, s[0:3], 0 offset:212
	buffer_store_dword v58, off, s[0:3], 0 offset:208
	v_add_co_u32_e32 v55, vcc, s4, v55
	v_addc_co_u32_e32 v56, vcc, v62, v56, vcc
	flat_load_dwordx2 v[61:62], v[55:56]
	v_add_u32_e32 v59, s13, v60
	v_ashrrev_i32_e32 v60, 31, v59
	v_lshlrev_b64 v[57:58], 3, v[59:60]
	s_waitcnt vmcnt(0) lgkmcnt(0)
	buffer_store_dword v62, off, s[0:3], 0 offset:220
	buffer_store_dword v61, off, s[0:3], 0 offset:216
	v_add_co_u32_e32 v57, vcc, s4, v57
	v_addc_co_u32_e32 v58, vcc, v63, v58, vcc
	flat_load_dwordx2 v[61:62], v[57:58]
	v_add_u32_e32 v63, s13, v59
	;; [unrolled: 9-line block ×26, first 2 shown]
	v_ashrrev_i32_e32 v108, 31, v107
	v_lshlrev_b64 v[107:108], 3, v[107:108]
	s_waitcnt vmcnt(0) lgkmcnt(0)
	buffer_store_dword v110, off, s[0:3], 0 offset:420
	buffer_store_dword v109, off, s[0:3], 0 offset:416
	v_add_co_u32_e32 v107, vcc, s4, v107
	v_addc_co_u32_e32 v108, vcc, v112, v108, vcc
	flat_load_dwordx2 v[112:113], v[107:108]
	v_mov_b32_e32 v109, 0
	v_mov_b32_e32 v110, 0xbff00000
	s_waitcnt vmcnt(0) lgkmcnt(0)
	buffer_store_dword v113, off, s[0:3], 0 offset:428
	buffer_store_dword v112, off, s[0:3], 0 offset:424
	s_cbranch_scc1 .LBB117_3
; %bb.2:
	v_mov_b32_e32 v109, 0
	v_lshl_add_u32 v120, v0, 3, v109
	buffer_load_dword v109, v120, s[0:3], 0 offen
	buffer_load_dword v110, v120, s[0:3], 0 offen offset:4
	s_waitcnt vmcnt(0)
	v_div_scale_f64 v[112:113], s[4:5], v[109:110], v[109:110], 1.0
	v_rcp_f64_e32 v[114:115], v[112:113]
	v_fma_f64 v[116:117], -v[112:113], v[114:115], 1.0
	v_fma_f64 v[114:115], v[114:115], v[116:117], v[114:115]
	v_div_scale_f64 v[116:117], vcc, 1.0, v[109:110], 1.0
	v_fma_f64 v[118:119], -v[112:113], v[114:115], 1.0
	v_fma_f64 v[114:115], v[114:115], v[118:119], v[114:115]
	v_mul_f64 v[118:119], v[116:117], v[114:115]
	v_fma_f64 v[112:113], -v[112:113], v[118:119], v[116:117]
	v_div_fmas_f64 v[112:113], v[112:113], v[114:115], v[118:119]
	v_div_fixup_f64 v[109:110], v[112:113], v[109:110], 1.0
	buffer_store_dword v109, v120, s[0:3], 0 offen
	buffer_store_dword v110, v120, s[0:3], 0 offen offset:4
	v_xor_b32_e32 v110, 0x80000000, v110
.LBB117_3:
	s_cmpk_eq_i32 s8, 0x79
	v_add_u32_e32 v112, 0x1b0, v111
	v_mov_b32_e32 v113, v111
	s_mov_b64 s[4:5], -1
	ds_write_b64 v111, v[109:110]
	s_cbranch_scc1 .LBB117_527
; %bb.4:
	buffer_load_dword v109, off, s[0:3], 0 offset:416
	buffer_load_dword v110, off, s[0:3], 0 offset:420
	s_movk_i32 s12, 0x48
	s_movk_i32 s13, 0x50
	;; [unrolled: 1-line block ×43, first 2 shown]
	v_cmp_eq_u32_e64 s[4:5], 53, v0
	s_waitcnt vmcnt(0)
	ds_write_b64 v112, v[109:110]
	s_waitcnt lgkmcnt(0)
	; wave barrier
	s_and_saveexec_b64 s[6:7], s[4:5]
	s_cbranch_execz .LBB117_10
; %bb.5:
	s_and_b64 vcc, exec, s[10:11]
	s_cbranch_vccz .LBB117_7
; %bb.6:
	buffer_load_dword v109, v113, s[0:3], 0 offen
	buffer_load_dword v110, v113, s[0:3], 0 offen offset:4
	ds_read_b64 v[114:115], v112
	s_waitcnt vmcnt(0) lgkmcnt(0)
	v_mul_f64 v[109:110], v[109:110], v[114:115]
	s_cbranch_execz .LBB117_8
	s_branch .LBB117_9
.LBB117_7:
                                        ; implicit-def: $vgpr109_vgpr110
.LBB117_8:
	ds_read_b64 v[109:110], v112
.LBB117_9:
	v_mov_b32_e32 v114, 0
	ds_read_b64 v[114:115], v114 offset:416
	s_waitcnt lgkmcnt(0)
	v_mul_f64 v[109:110], v[109:110], v[114:115]
	buffer_store_dword v110, off, s[0:3], 0 offset:420
	buffer_store_dword v109, off, s[0:3], 0 offset:416
.LBB117_10:
	s_or_b64 exec, exec, s[6:7]
	buffer_load_dword v109, off, s[0:3], 0 offset:408
	buffer_load_dword v110, off, s[0:3], 0 offset:412
	s_or_b32 s14, 0, 8
	s_mov_b32 s15, 16
	s_mov_b32 s16, 24
	;; [unrolled: 1-line block ×9, first 2 shown]
	v_cmp_lt_u32_e64 s[6:7], 51, v0
	s_waitcnt vmcnt(0)
	ds_write_b64 v112, v[109:110]
	s_waitcnt lgkmcnt(0)
	; wave barrier
	s_and_saveexec_b64 s[8:9], s[6:7]
	s_cbranch_execz .LBB117_16
; %bb.11:
	s_andn2_b64 vcc, exec, s[10:11]
	s_cbranch_vccnz .LBB117_13
; %bb.12:
	buffer_load_dword v109, v113, s[0:3], 0 offen
	buffer_load_dword v110, v113, s[0:3], 0 offen offset:4
	ds_read_b64 v[114:115], v112
	s_waitcnt vmcnt(0) lgkmcnt(0)
	v_mul_f64 v[109:110], v[109:110], v[114:115]
	s_cbranch_execz .LBB117_14
	s_branch .LBB117_15
.LBB117_13:
                                        ; implicit-def: $vgpr109_vgpr110
.LBB117_14:
	ds_read_b64 v[109:110], v112
.LBB117_15:
	buffer_load_dword v118, off, s[0:3], 0 offset:416
	buffer_load_dword v119, off, s[0:3], 0 offset:420
	v_mov_b32_e32 v114, 0
	ds_read2_b64 v[114:117], v114 offset0:51 offset1:106
	s_waitcnt vmcnt(0) lgkmcnt(0)
	v_fma_f64 v[116:117], v[118:119], v[116:117], v[109:110]
	v_cndmask_b32_e64 v110, v110, v117, s[4:5]
	v_cndmask_b32_e64 v109, v109, v116, s[4:5]
	v_mul_f64 v[109:110], v[109:110], v[114:115]
	buffer_store_dword v110, off, s[0:3], 0 offset:412
	buffer_store_dword v109, off, s[0:3], 0 offset:408
.LBB117_16:
	s_or_b64 exec, exec, s[8:9]
	buffer_load_dword v109, off, s[0:3], 0 offset:400
	buffer_load_dword v110, off, s[0:3], 0 offset:404
	v_cmp_lt_u32_e64 s[4:5], 50, v0
	s_waitcnt vmcnt(0)
	ds_write_b64 v112, v[109:110]
	s_waitcnt lgkmcnt(0)
	; wave barrier
	s_and_saveexec_b64 s[8:9], s[4:5]
	s_cbranch_execz .LBB117_26
; %bb.17:
	s_andn2_b64 vcc, exec, s[10:11]
	s_cbranch_vccnz .LBB117_19
; %bb.18:
	buffer_load_dword v109, v113, s[0:3], 0 offen
	buffer_load_dword v110, v113, s[0:3], 0 offen offset:4
	ds_read_b64 v[114:115], v112
	s_waitcnt vmcnt(0) lgkmcnt(0)
	v_mul_f64 v[109:110], v[109:110], v[114:115]
	s_cbranch_execz .LBB117_20
	s_branch .LBB117_21
.LBB117_19:
                                        ; implicit-def: $vgpr109_vgpr110
.LBB117_20:
	ds_read_b64 v[109:110], v112
.LBB117_21:
	s_and_saveexec_b64 s[12:13], s[6:7]
	s_cbranch_execz .LBB117_25
; %bb.22:
	v_subrev_u32_e32 v114, 51, v0
	s_movk_i32 s66, 0x348
	s_mov_b64 s[6:7], 0
.LBB117_23:                             ; =>This Inner Loop Header: Depth=1
	v_mov_b32_e32 v116, s65
	buffer_load_dword v115, v116, s[0:3], 0 offen
	s_nop 0
	buffer_load_dword v116, v116, s[0:3], 0 offen offset:4
	v_mov_b32_e32 v117, s66
	ds_read_b64 v[117:118], v117
	v_add_u32_e32 v114, -1, v114
	s_add_i32 s66, s66, 8
	s_add_i32 s65, s65, 8
	v_cmp_eq_u32_e32 vcc, 0, v114
	s_or_b64 s[6:7], vcc, s[6:7]
	s_waitcnt vmcnt(0) lgkmcnt(0)
	v_fma_f64 v[109:110], v[115:116], v[117:118], v[109:110]
	s_andn2_b64 exec, exec, s[6:7]
	s_cbranch_execnz .LBB117_23
; %bb.24:
	s_or_b64 exec, exec, s[6:7]
.LBB117_25:
	s_or_b64 exec, exec, s[12:13]
	v_mov_b32_e32 v114, 0
	ds_read_b64 v[114:115], v114 offset:400
	s_waitcnt lgkmcnt(0)
	v_mul_f64 v[109:110], v[109:110], v[114:115]
	buffer_store_dword v110, off, s[0:3], 0 offset:404
	buffer_store_dword v109, off, s[0:3], 0 offset:400
.LBB117_26:
	s_or_b64 exec, exec, s[8:9]
	buffer_load_dword v109, off, s[0:3], 0 offset:392
	buffer_load_dword v110, off, s[0:3], 0 offset:396
	v_cmp_lt_u32_e64 s[6:7], 49, v0
	s_waitcnt vmcnt(0)
	ds_write_b64 v112, v[109:110]
	s_waitcnt lgkmcnt(0)
	; wave barrier
	s_and_saveexec_b64 s[8:9], s[6:7]
	s_cbranch_execz .LBB117_36
; %bb.27:
	s_andn2_b64 vcc, exec, s[10:11]
	s_cbranch_vccnz .LBB117_29
; %bb.28:
	buffer_load_dword v109, v113, s[0:3], 0 offen
	buffer_load_dword v110, v113, s[0:3], 0 offen offset:4
	ds_read_b64 v[114:115], v112
	s_waitcnt vmcnt(0) lgkmcnt(0)
	v_mul_f64 v[109:110], v[109:110], v[114:115]
	s_cbranch_execz .LBB117_30
	s_branch .LBB117_31
.LBB117_29:
                                        ; implicit-def: $vgpr109_vgpr110
.LBB117_30:
	ds_read_b64 v[109:110], v112
.LBB117_31:
	s_and_saveexec_b64 s[12:13], s[4:5]
	s_cbranch_execz .LBB117_35
; %bb.32:
	v_subrev_u32_e32 v114, 50, v0
	s_movk_i32 s65, 0x340
	s_mov_b64 s[4:5], 0
.LBB117_33:                             ; =>This Inner Loop Header: Depth=1
	v_mov_b32_e32 v116, s64
	buffer_load_dword v115, v116, s[0:3], 0 offen
	s_nop 0
	buffer_load_dword v116, v116, s[0:3], 0 offen offset:4
	v_mov_b32_e32 v117, s65
	ds_read_b64 v[117:118], v117
	v_add_u32_e32 v114, -1, v114
	s_add_i32 s65, s65, 8
	s_add_i32 s64, s64, 8
	v_cmp_eq_u32_e32 vcc, 0, v114
	s_or_b64 s[4:5], vcc, s[4:5]
	s_waitcnt vmcnt(0) lgkmcnt(0)
	v_fma_f64 v[109:110], v[115:116], v[117:118], v[109:110]
	s_andn2_b64 exec, exec, s[4:5]
	s_cbranch_execnz .LBB117_33
; %bb.34:
	s_or_b64 exec, exec, s[4:5]
.LBB117_35:
	s_or_b64 exec, exec, s[12:13]
	v_mov_b32_e32 v114, 0
	ds_read_b64 v[114:115], v114 offset:392
	s_waitcnt lgkmcnt(0)
	v_mul_f64 v[109:110], v[109:110], v[114:115]
	buffer_store_dword v110, off, s[0:3], 0 offset:396
	buffer_store_dword v109, off, s[0:3], 0 offset:392
.LBB117_36:
	;; [unrolled: 59-line block ×8, first 2 shown]
	s_or_b64 exec, exec, s[8:9]
	buffer_load_dword v109, off, s[0:3], 0 offset:336
	buffer_load_dword v110, off, s[0:3], 0 offset:340
	v_cmp_lt_u32_e64 s[4:5], 42, v0
	s_waitcnt vmcnt(0)
	ds_write_b64 v112, v[109:110]
	s_waitcnt lgkmcnt(0)
	; wave barrier
	s_and_saveexec_b64 s[8:9], s[4:5]
	s_cbranch_execz .LBB117_106
; %bb.97:
	s_andn2_b64 vcc, exec, s[10:11]
	s_cbranch_vccnz .LBB117_99
; %bb.98:
	buffer_load_dword v109, v113, s[0:3], 0 offen
	buffer_load_dword v110, v113, s[0:3], 0 offen offset:4
	ds_read_b64 v[114:115], v112
	s_waitcnt vmcnt(0) lgkmcnt(0)
	v_mul_f64 v[109:110], v[109:110], v[114:115]
	s_cbranch_execz .LBB117_100
	s_branch .LBB117_101
.LBB117_99:
                                        ; implicit-def: $vgpr109_vgpr110
.LBB117_100:
	ds_read_b64 v[109:110], v112
.LBB117_101:
	s_and_saveexec_b64 s[12:13], s[6:7]
	s_cbranch_execz .LBB117_105
; %bb.102:
	v_subrev_u32_e32 v114, 43, v0
	s_movk_i32 s58, 0x308
	s_mov_b64 s[6:7], 0
.LBB117_103:                            ; =>This Inner Loop Header: Depth=1
	v_mov_b32_e32 v116, s57
	buffer_load_dword v115, v116, s[0:3], 0 offen
	s_nop 0
	buffer_load_dword v116, v116, s[0:3], 0 offen offset:4
	v_mov_b32_e32 v117, s58
	ds_read_b64 v[117:118], v117
	v_add_u32_e32 v114, -1, v114
	s_add_i32 s58, s58, 8
	s_add_i32 s57, s57, 8
	v_cmp_eq_u32_e32 vcc, 0, v114
	s_or_b64 s[6:7], vcc, s[6:7]
	s_waitcnt vmcnt(0) lgkmcnt(0)
	v_fma_f64 v[109:110], v[115:116], v[117:118], v[109:110]
	s_andn2_b64 exec, exec, s[6:7]
	s_cbranch_execnz .LBB117_103
; %bb.104:
	s_or_b64 exec, exec, s[6:7]
.LBB117_105:
	s_or_b64 exec, exec, s[12:13]
	v_mov_b32_e32 v114, 0
	ds_read_b64 v[114:115], v114 offset:336
	s_waitcnt lgkmcnt(0)
	v_mul_f64 v[109:110], v[109:110], v[114:115]
	buffer_store_dword v110, off, s[0:3], 0 offset:340
	buffer_store_dword v109, off, s[0:3], 0 offset:336
.LBB117_106:
	s_or_b64 exec, exec, s[8:9]
	buffer_load_dword v109, off, s[0:3], 0 offset:328
	buffer_load_dword v110, off, s[0:3], 0 offset:332
	v_cmp_lt_u32_e64 s[6:7], 41, v0
	s_waitcnt vmcnt(0)
	ds_write_b64 v112, v[109:110]
	s_waitcnt lgkmcnt(0)
	; wave barrier
	s_and_saveexec_b64 s[8:9], s[6:7]
	s_cbranch_execz .LBB117_116
; %bb.107:
	s_andn2_b64 vcc, exec, s[10:11]
	s_cbranch_vccnz .LBB117_109
; %bb.108:
	buffer_load_dword v109, v113, s[0:3], 0 offen
	buffer_load_dword v110, v113, s[0:3], 0 offen offset:4
	ds_read_b64 v[114:115], v112
	s_waitcnt vmcnt(0) lgkmcnt(0)
	v_mul_f64 v[109:110], v[109:110], v[114:115]
	s_cbranch_execz .LBB117_110
	s_branch .LBB117_111
.LBB117_109:
                                        ; implicit-def: $vgpr109_vgpr110
.LBB117_110:
	ds_read_b64 v[109:110], v112
.LBB117_111:
	s_and_saveexec_b64 s[12:13], s[4:5]
	s_cbranch_execz .LBB117_115
; %bb.112:
	v_subrev_u32_e32 v114, 42, v0
	s_movk_i32 s57, 0x300
	s_mov_b64 s[4:5], 0
.LBB117_113:                            ; =>This Inner Loop Header: Depth=1
	v_mov_b32_e32 v116, s56
	buffer_load_dword v115, v116, s[0:3], 0 offen
	s_nop 0
	buffer_load_dword v116, v116, s[0:3], 0 offen offset:4
	v_mov_b32_e32 v117, s57
	ds_read_b64 v[117:118], v117
	v_add_u32_e32 v114, -1, v114
	s_add_i32 s57, s57, 8
	s_add_i32 s56, s56, 8
	v_cmp_eq_u32_e32 vcc, 0, v114
	s_or_b64 s[4:5], vcc, s[4:5]
	s_waitcnt vmcnt(0) lgkmcnt(0)
	v_fma_f64 v[109:110], v[115:116], v[117:118], v[109:110]
	s_andn2_b64 exec, exec, s[4:5]
	s_cbranch_execnz .LBB117_113
; %bb.114:
	s_or_b64 exec, exec, s[4:5]
.LBB117_115:
	s_or_b64 exec, exec, s[12:13]
	v_mov_b32_e32 v114, 0
	ds_read_b64 v[114:115], v114 offset:328
	s_waitcnt lgkmcnt(0)
	v_mul_f64 v[109:110], v[109:110], v[114:115]
	buffer_store_dword v110, off, s[0:3], 0 offset:332
	buffer_store_dword v109, off, s[0:3], 0 offset:328
.LBB117_116:
	;; [unrolled: 59-line block ×7, first 2 shown]
	s_or_b64 exec, exec, s[4:5]
	buffer_load_dword v109, off, s[0:3], 0 offset:280
	buffer_load_dword v110, off, s[0:3], 0 offset:284
	v_cmp_lt_u32_e64 s[4:5], 35, v0
	s_waitcnt vmcnt(0)
	ds_write_b64 v112, v[109:110]
	s_waitcnt lgkmcnt(0)
	; wave barrier
	s_and_saveexec_b64 s[6:7], s[4:5]
	s_cbranch_execz .LBB117_176
; %bb.167:
	s_andn2_b64 vcc, exec, s[10:11]
	s_cbranch_vccnz .LBB117_169
; %bb.168:
	buffer_load_dword v109, v113, s[0:3], 0 offen
	buffer_load_dword v110, v113, s[0:3], 0 offen offset:4
	ds_read_b64 v[114:115], v112
	s_waitcnt vmcnt(0) lgkmcnt(0)
	v_mul_f64 v[109:110], v[109:110], v[114:115]
	s_cbranch_execz .LBB117_170
	s_branch .LBB117_171
.LBB117_169:
                                        ; implicit-def: $vgpr109_vgpr110
.LBB117_170:
	ds_read_b64 v[109:110], v112
.LBB117_171:
	s_and_saveexec_b64 s[12:13], s[8:9]
	s_cbranch_execz .LBB117_175
; %bb.172:
	v_subrev_u32_e32 v114, 36, v0
	s_movk_i32 s51, 0x2d0
	s_mov_b64 s[8:9], 0
.LBB117_173:                            ; =>This Inner Loop Header: Depth=1
	v_mov_b32_e32 v117, s50
	buffer_load_dword v115, v117, s[0:3], 0 offen
	buffer_load_dword v116, v117, s[0:3], 0 offen offset:4
	v_mov_b32_e32 v117, s51
	ds_read_b64 v[117:118], v117
	v_add_u32_e32 v114, -1, v114
	s_add_i32 s51, s51, 8
	s_add_i32 s50, s50, 8
	v_cmp_eq_u32_e32 vcc, 0, v114
	s_or_b64 s[8:9], vcc, s[8:9]
	s_waitcnt vmcnt(0) lgkmcnt(0)
	v_fma_f64 v[109:110], v[115:116], v[117:118], v[109:110]
	s_andn2_b64 exec, exec, s[8:9]
	s_cbranch_execnz .LBB117_173
; %bb.174:
	s_or_b64 exec, exec, s[8:9]
.LBB117_175:
	s_or_b64 exec, exec, s[12:13]
	v_mov_b32_e32 v114, 0
	ds_read_b64 v[114:115], v114 offset:280
	s_waitcnt lgkmcnt(0)
	v_mul_f64 v[109:110], v[109:110], v[114:115]
	buffer_store_dword v110, off, s[0:3], 0 offset:284
	buffer_store_dword v109, off, s[0:3], 0 offset:280
.LBB117_176:
	s_or_b64 exec, exec, s[6:7]
	buffer_load_dword v109, off, s[0:3], 0 offset:272
	buffer_load_dword v110, off, s[0:3], 0 offset:276
	v_cmp_lt_u32_e64 s[6:7], 34, v0
	s_waitcnt vmcnt(0)
	ds_write_b64 v112, v[109:110]
	s_waitcnt lgkmcnt(0)
	; wave barrier
	s_and_saveexec_b64 s[8:9], s[6:7]
	s_cbranch_execz .LBB117_186
; %bb.177:
	s_andn2_b64 vcc, exec, s[10:11]
	s_cbranch_vccnz .LBB117_179
; %bb.178:
	buffer_load_dword v109, v113, s[0:3], 0 offen
	buffer_load_dword v110, v113, s[0:3], 0 offen offset:4
	ds_read_b64 v[114:115], v112
	s_waitcnt vmcnt(0) lgkmcnt(0)
	v_mul_f64 v[109:110], v[109:110], v[114:115]
	s_cbranch_execz .LBB117_180
	s_branch .LBB117_181
.LBB117_179:
                                        ; implicit-def: $vgpr109_vgpr110
.LBB117_180:
	ds_read_b64 v[109:110], v112
.LBB117_181:
	s_and_saveexec_b64 s[12:13], s[4:5]
	s_cbranch_execz .LBB117_185
; %bb.182:
	v_subrev_u32_e32 v114, 35, v0
	s_movk_i32 s50, 0x2c8
	s_mov_b64 s[4:5], 0
.LBB117_183:                            ; =>This Inner Loop Header: Depth=1
	v_mov_b32_e32 v117, s49
	buffer_load_dword v115, v117, s[0:3], 0 offen
	buffer_load_dword v116, v117, s[0:3], 0 offen offset:4
	v_mov_b32_e32 v117, s50
	ds_read_b64 v[117:118], v117
	v_add_u32_e32 v114, -1, v114
	s_add_i32 s50, s50, 8
	s_add_i32 s49, s49, 8
	v_cmp_eq_u32_e32 vcc, 0, v114
	s_or_b64 s[4:5], vcc, s[4:5]
	s_waitcnt vmcnt(0) lgkmcnt(0)
	v_fma_f64 v[109:110], v[115:116], v[117:118], v[109:110]
	s_andn2_b64 exec, exec, s[4:5]
	s_cbranch_execnz .LBB117_183
; %bb.184:
	s_or_b64 exec, exec, s[4:5]
.LBB117_185:
	s_or_b64 exec, exec, s[12:13]
	v_mov_b32_e32 v114, 0
	ds_read_b64 v[114:115], v114 offset:272
	s_waitcnt lgkmcnt(0)
	v_mul_f64 v[109:110], v[109:110], v[114:115]
	buffer_store_dword v110, off, s[0:3], 0 offset:276
	buffer_store_dword v109, off, s[0:3], 0 offset:272
.LBB117_186:
	;; [unrolled: 58-line block ×20, first 2 shown]
	s_or_b64 exec, exec, s[8:9]
	buffer_load_dword v109, off, s[0:3], 0 offset:120
	buffer_load_dword v110, off, s[0:3], 0 offset:124
	v_cmp_lt_u32_e64 s[4:5], 15, v0
	s_waitcnt vmcnt(0)
	ds_write_b64 v112, v[109:110]
	s_waitcnt lgkmcnt(0)
	; wave barrier
	s_and_saveexec_b64 s[8:9], s[4:5]
	s_cbranch_execz .LBB117_376
; %bb.367:
	s_andn2_b64 vcc, exec, s[10:11]
	s_cbranch_vccnz .LBB117_369
; %bb.368:
	buffer_load_dword v109, v113, s[0:3], 0 offen
	buffer_load_dword v110, v113, s[0:3], 0 offen offset:4
	ds_read_b64 v[114:115], v112
	s_waitcnt vmcnt(0) lgkmcnt(0)
	v_mul_f64 v[109:110], v[109:110], v[114:115]
	s_cbranch_execz .LBB117_370
	s_branch .LBB117_371
.LBB117_369:
                                        ; implicit-def: $vgpr109_vgpr110
.LBB117_370:
	ds_read_b64 v[109:110], v112
.LBB117_371:
	s_and_saveexec_b64 s[12:13], s[6:7]
	s_cbranch_execz .LBB117_375
; %bb.372:
	v_add_u32_e32 v114, -16, v0
	s_movk_i32 s30, 0x230
	s_mov_b64 s[6:7], 0
.LBB117_373:                            ; =>This Inner Loop Header: Depth=1
	v_mov_b32_e32 v117, s29
	buffer_load_dword v115, v117, s[0:3], 0 offen
	buffer_load_dword v116, v117, s[0:3], 0 offen offset:4
	v_mov_b32_e32 v117, s30
	ds_read_b64 v[117:118], v117
	v_add_u32_e32 v114, -1, v114
	s_add_i32 s30, s30, 8
	s_add_i32 s29, s29, 8
	v_cmp_eq_u32_e32 vcc, 0, v114
	s_or_b64 s[6:7], vcc, s[6:7]
	s_waitcnt vmcnt(0) lgkmcnt(0)
	v_fma_f64 v[109:110], v[115:116], v[117:118], v[109:110]
	s_andn2_b64 exec, exec, s[6:7]
	s_cbranch_execnz .LBB117_373
; %bb.374:
	s_or_b64 exec, exec, s[6:7]
.LBB117_375:
	s_or_b64 exec, exec, s[12:13]
	v_mov_b32_e32 v114, 0
	ds_read_b64 v[114:115], v114 offset:120
	s_waitcnt lgkmcnt(0)
	v_mul_f64 v[109:110], v[109:110], v[114:115]
	buffer_store_dword v110, off, s[0:3], 0 offset:124
	buffer_store_dword v109, off, s[0:3], 0 offset:120
.LBB117_376:
	s_or_b64 exec, exec, s[8:9]
	buffer_load_dword v109, off, s[0:3], 0 offset:112
	buffer_load_dword v110, off, s[0:3], 0 offset:116
	v_cmp_lt_u32_e64 s[6:7], 14, v0
	s_waitcnt vmcnt(0)
	ds_write_b64 v112, v[109:110]
	s_waitcnt lgkmcnt(0)
	; wave barrier
	s_and_saveexec_b64 s[8:9], s[6:7]
	s_cbranch_execz .LBB117_386
; %bb.377:
	s_andn2_b64 vcc, exec, s[10:11]
	s_cbranch_vccnz .LBB117_379
; %bb.378:
	buffer_load_dword v109, v113, s[0:3], 0 offen
	buffer_load_dword v110, v113, s[0:3], 0 offen offset:4
	ds_read_b64 v[114:115], v112
	s_waitcnt vmcnt(0) lgkmcnt(0)
	v_mul_f64 v[109:110], v[109:110], v[114:115]
	s_cbranch_execz .LBB117_380
	s_branch .LBB117_381
.LBB117_379:
                                        ; implicit-def: $vgpr109_vgpr110
.LBB117_380:
	ds_read_b64 v[109:110], v112
.LBB117_381:
	s_and_saveexec_b64 s[12:13], s[4:5]
	s_cbranch_execz .LBB117_385
; %bb.382:
	v_add_u32_e32 v114, -15, v0
	s_movk_i32 s29, 0x228
	s_mov_b64 s[4:5], 0
.LBB117_383:                            ; =>This Inner Loop Header: Depth=1
	v_mov_b32_e32 v117, s28
	buffer_load_dword v115, v117, s[0:3], 0 offen
	buffer_load_dword v116, v117, s[0:3], 0 offen offset:4
	v_mov_b32_e32 v117, s29
	ds_read_b64 v[117:118], v117
	v_add_u32_e32 v114, -1, v114
	s_add_i32 s29, s29, 8
	s_add_i32 s28, s28, 8
	v_cmp_eq_u32_e32 vcc, 0, v114
	s_or_b64 s[4:5], vcc, s[4:5]
	s_waitcnt vmcnt(0) lgkmcnt(0)
	v_fma_f64 v[109:110], v[115:116], v[117:118], v[109:110]
	s_andn2_b64 exec, exec, s[4:5]
	s_cbranch_execnz .LBB117_383
; %bb.384:
	s_or_b64 exec, exec, s[4:5]
.LBB117_385:
	s_or_b64 exec, exec, s[12:13]
	v_mov_b32_e32 v114, 0
	ds_read_b64 v[114:115], v114 offset:112
	s_waitcnt lgkmcnt(0)
	v_mul_f64 v[109:110], v[109:110], v[114:115]
	buffer_store_dword v110, off, s[0:3], 0 offset:116
	buffer_store_dword v109, off, s[0:3], 0 offset:112
.LBB117_386:
	;; [unrolled: 58-line block ×15, first 2 shown]
	s_or_b64 exec, exec, s[8:9]
	buffer_load_dword v109, off, s[0:3], 0
	buffer_load_dword v110, off, s[0:3], 0 offset:4
	v_cmp_ne_u32_e32 vcc, 0, v0
	s_waitcnt vmcnt(0)
	ds_write_b64 v112, v[109:110]
	s_waitcnt lgkmcnt(0)
	; wave barrier
	s_and_saveexec_b64 s[6:7], vcc
	s_cbranch_execz .LBB117_526
; %bb.517:
	s_andn2_b64 vcc, exec, s[10:11]
	s_cbranch_vccnz .LBB117_519
; %bb.518:
	buffer_load_dword v109, v113, s[0:3], 0 offen
	buffer_load_dword v110, v113, s[0:3], 0 offen offset:4
	ds_read_b64 v[114:115], v112
	s_waitcnt vmcnt(0) lgkmcnt(0)
	v_mul_f64 v[109:110], v[109:110], v[114:115]
	s_cbranch_execz .LBB117_520
	s_branch .LBB117_521
.LBB117_519:
                                        ; implicit-def: $vgpr109_vgpr110
.LBB117_520:
	ds_read_b64 v[109:110], v112
.LBB117_521:
	s_and_saveexec_b64 s[8:9], s[4:5]
	s_cbranch_execz .LBB117_525
; %bb.522:
	v_add_u32_e32 v114, -1, v0
	s_movk_i32 s12, 0x1b8
	s_mov_b64 s[4:5], 0
.LBB117_523:                            ; =>This Inner Loop Header: Depth=1
	v_mov_b32_e32 v117, s14
	buffer_load_dword v115, v117, s[0:3], 0 offen
	buffer_load_dword v116, v117, s[0:3], 0 offen offset:4
	v_mov_b32_e32 v117, s12
	ds_read_b64 v[117:118], v117
	v_add_u32_e32 v114, -1, v114
	s_add_i32 s12, s12, 8
	s_add_i32 s14, s14, 8
	v_cmp_eq_u32_e32 vcc, 0, v114
	s_or_b64 s[4:5], vcc, s[4:5]
	s_waitcnt vmcnt(0) lgkmcnt(0)
	v_fma_f64 v[109:110], v[115:116], v[117:118], v[109:110]
	s_andn2_b64 exec, exec, s[4:5]
	s_cbranch_execnz .LBB117_523
; %bb.524:
	s_or_b64 exec, exec, s[4:5]
.LBB117_525:
	s_or_b64 exec, exec, s[8:9]
	v_mov_b32_e32 v114, 0
	ds_read_b64 v[114:115], v114
	s_waitcnt lgkmcnt(0)
	v_mul_f64 v[109:110], v[109:110], v[114:115]
	buffer_store_dword v110, off, s[0:3], 0 offset:4
	buffer_store_dword v109, off, s[0:3], 0
.LBB117_526:
	s_or_b64 exec, exec, s[6:7]
	s_mov_b64 s[4:5], 0
.LBB117_527:
	s_and_b64 vcc, exec, s[4:5]
	s_cbranch_vccz .LBB117_1049
; %bb.528:
	buffer_load_dword v109, off, s[0:3], 0 offset:8
	buffer_load_dword v110, off, s[0:3], 0 offset:12
	v_cmp_eq_u32_e64 s[6:7], 0, v0
	s_waitcnt vmcnt(0)
	ds_write_b64 v112, v[109:110]
	s_waitcnt lgkmcnt(0)
	; wave barrier
	s_and_saveexec_b64 s[4:5], s[6:7]
	s_cbranch_execz .LBB117_534
; %bb.529:
	s_and_b64 vcc, exec, s[10:11]
	s_cbranch_vccz .LBB117_531
; %bb.530:
	buffer_load_dword v109, v113, s[0:3], 0 offen
	buffer_load_dword v110, v113, s[0:3], 0 offen offset:4
	ds_read_b64 v[114:115], v112
	s_waitcnt vmcnt(0) lgkmcnt(0)
	v_mul_f64 v[109:110], v[109:110], v[114:115]
	s_cbranch_execz .LBB117_532
	s_branch .LBB117_533
.LBB117_531:
                                        ; implicit-def: $vgpr109_vgpr110
.LBB117_532:
	ds_read_b64 v[109:110], v112
.LBB117_533:
	v_mov_b32_e32 v114, 0
	ds_read_b64 v[114:115], v114 offset:8
	s_waitcnt lgkmcnt(0)
	v_mul_f64 v[109:110], v[109:110], v[114:115]
	buffer_store_dword v110, off, s[0:3], 0 offset:12
	buffer_store_dword v109, off, s[0:3], 0 offset:8
.LBB117_534:
	s_or_b64 exec, exec, s[4:5]
	buffer_load_dword v109, off, s[0:3], 0 offset:16
	buffer_load_dword v110, off, s[0:3], 0 offset:20
	v_cndmask_b32_e64 v114, 0, 1, s[10:11]
	v_cmp_gt_u32_e32 vcc, 2, v0
	v_cmp_ne_u32_e64 s[4:5], 1, v114
	s_waitcnt vmcnt(0)
	ds_write_b64 v112, v[109:110]
	s_waitcnt lgkmcnt(0)
	; wave barrier
	s_and_saveexec_b64 s[8:9], vcc
	s_cbranch_execz .LBB117_540
; %bb.535:
	s_and_b64 vcc, exec, s[4:5]
	s_cbranch_vccnz .LBB117_537
; %bb.536:
	buffer_load_dword v109, v113, s[0:3], 0 offen
	buffer_load_dword v110, v113, s[0:3], 0 offen offset:4
	ds_read_b64 v[114:115], v112
	s_waitcnt vmcnt(0) lgkmcnt(0)
	v_mul_f64 v[109:110], v[109:110], v[114:115]
	s_cbranch_execz .LBB117_538
	s_branch .LBB117_539
.LBB117_537:
                                        ; implicit-def: $vgpr109_vgpr110
.LBB117_538:
	ds_read_b64 v[109:110], v112
.LBB117_539:
	buffer_load_dword v118, off, s[0:3], 0 offset:8
	buffer_load_dword v119, off, s[0:3], 0 offset:12
	v_mov_b32_e32 v114, 0
	ds_read2_b64 v[114:117], v114 offset0:2 offset1:55
	s_waitcnt vmcnt(0) lgkmcnt(0)
	v_fma_f64 v[116:117], v[118:119], v[116:117], v[109:110]
	v_cndmask_b32_e64 v110, v110, v117, s[6:7]
	v_cndmask_b32_e64 v109, v109, v116, s[6:7]
	v_mul_f64 v[109:110], v[109:110], v[114:115]
	buffer_store_dword v110, off, s[0:3], 0 offset:20
	buffer_store_dword v109, off, s[0:3], 0 offset:16
.LBB117_540:
	s_or_b64 exec, exec, s[8:9]
	buffer_load_dword v109, off, s[0:3], 0 offset:24
	buffer_load_dword v110, off, s[0:3], 0 offset:28
	v_cmp_gt_u32_e32 vcc, 3, v0
	s_waitcnt vmcnt(0)
	ds_write_b64 v112, v[109:110]
	s_waitcnt lgkmcnt(0)
	; wave barrier
	s_and_saveexec_b64 s[8:9], vcc
	s_cbranch_execz .LBB117_548
; %bb.541:
	s_and_b64 vcc, exec, s[4:5]
	s_cbranch_vccnz .LBB117_543
; %bb.542:
	buffer_load_dword v109, v113, s[0:3], 0 offen
	buffer_load_dword v110, v113, s[0:3], 0 offen offset:4
	ds_read_b64 v[114:115], v112
	s_waitcnt vmcnt(0) lgkmcnt(0)
	v_mul_f64 v[109:110], v[109:110], v[114:115]
	s_cbranch_execz .LBB117_544
	s_branch .LBB117_545
.LBB117_543:
                                        ; implicit-def: $vgpr109_vgpr110
.LBB117_544:
	ds_read_b64 v[109:110], v112
.LBB117_545:
	v_cmp_ne_u32_e32 vcc, 2, v0
	s_and_saveexec_b64 s[10:11], vcc
	s_cbranch_execz .LBB117_547
; %bb.546:
	buffer_load_dword v114, v113, s[0:3], 0 offen offset:8
	buffer_load_dword v115, v113, s[0:3], 0 offen offset:12
	buffer_load_dword v116, off, s[0:3], 0 offset:16
	buffer_load_dword v117, off, s[0:3], 0 offset:20
	ds_read_b64 v[118:119], v112 offset:8
	v_mov_b32_e32 v120, 0
	ds_read_b64 v[120:121], v120 offset:448
	s_waitcnt vmcnt(2) lgkmcnt(1)
	v_fma_f64 v[109:110], v[114:115], v[118:119], v[109:110]
	s_waitcnt vmcnt(0) lgkmcnt(0)
	v_fma_f64 v[114:115], v[116:117], v[120:121], v[109:110]
	v_cndmask_b32_e64 v110, v110, v115, s[6:7]
	v_cndmask_b32_e64 v109, v109, v114, s[6:7]
.LBB117_547:
	s_or_b64 exec, exec, s[10:11]
	v_mov_b32_e32 v114, 0
	ds_read_b64 v[114:115], v114 offset:24
	s_waitcnt lgkmcnt(0)
	v_mul_f64 v[109:110], v[109:110], v[114:115]
	buffer_store_dword v110, off, s[0:3], 0 offset:28
	buffer_store_dword v109, off, s[0:3], 0 offset:24
.LBB117_548:
	s_or_b64 exec, exec, s[8:9]
	buffer_load_dword v109, off, s[0:3], 0 offset:32
	buffer_load_dword v110, off, s[0:3], 0 offset:36
	v_cmp_gt_u32_e32 vcc, 4, v0
	s_waitcnt vmcnt(0)
	ds_write_b64 v112, v[109:110]
	s_waitcnt lgkmcnt(0)
	; wave barrier
	s_and_saveexec_b64 s[6:7], vcc
	s_cbranch_execz .LBB117_558
; %bb.549:
	s_and_b64 vcc, exec, s[4:5]
	s_cbranch_vccnz .LBB117_551
; %bb.550:
	buffer_load_dword v109, v113, s[0:3], 0 offen
	buffer_load_dword v110, v113, s[0:3], 0 offen offset:4
	ds_read_b64 v[114:115], v112
	s_waitcnt vmcnt(0) lgkmcnt(0)
	v_mul_f64 v[109:110], v[109:110], v[114:115]
	s_cbranch_execz .LBB117_552
	s_branch .LBB117_553
.LBB117_551:
                                        ; implicit-def: $vgpr109_vgpr110
.LBB117_552:
	ds_read_b64 v[109:110], v112
.LBB117_553:
	v_cmp_ne_u32_e32 vcc, 3, v0
	s_and_saveexec_b64 s[8:9], vcc
	s_cbranch_execz .LBB117_557
; %bb.554:
	s_mov_b32 s10, 0
	v_add_u32_e32 v114, 0x1b8, v111
	v_add3_u32 v115, v111, s10, 8
	s_mov_b64 s[10:11], 0
	v_mov_b32_e32 v116, v0
.LBB117_555:                            ; =>This Inner Loop Header: Depth=1
	buffer_load_dword v117, v115, s[0:3], 0 offen
	buffer_load_dword v118, v115, s[0:3], 0 offen offset:4
	ds_read_b64 v[119:120], v114
	v_add_u32_e32 v116, 1, v116
	v_cmp_lt_u32_e32 vcc, 2, v116
	v_add_u32_e32 v114, 8, v114
	s_or_b64 s[10:11], vcc, s[10:11]
	v_add_u32_e32 v115, 8, v115
	s_waitcnt vmcnt(0) lgkmcnt(0)
	v_fma_f64 v[109:110], v[117:118], v[119:120], v[109:110]
	s_andn2_b64 exec, exec, s[10:11]
	s_cbranch_execnz .LBB117_555
; %bb.556:
	s_or_b64 exec, exec, s[10:11]
.LBB117_557:
	s_or_b64 exec, exec, s[8:9]
	v_mov_b32_e32 v114, 0
	ds_read_b64 v[114:115], v114 offset:32
	s_waitcnt lgkmcnt(0)
	v_mul_f64 v[109:110], v[109:110], v[114:115]
	buffer_store_dword v110, off, s[0:3], 0 offset:36
	buffer_store_dword v109, off, s[0:3], 0 offset:32
.LBB117_558:
	s_or_b64 exec, exec, s[6:7]
	buffer_load_dword v109, off, s[0:3], 0 offset:40
	buffer_load_dword v110, off, s[0:3], 0 offset:44
	v_cmp_gt_u32_e32 vcc, 5, v0
	s_waitcnt vmcnt(0)
	ds_write_b64 v112, v[109:110]
	s_waitcnt lgkmcnt(0)
	; wave barrier
	s_and_saveexec_b64 s[6:7], vcc
	s_cbranch_execz .LBB117_568
; %bb.559:
	s_and_b64 vcc, exec, s[4:5]
	s_cbranch_vccnz .LBB117_561
; %bb.560:
	buffer_load_dword v109, v113, s[0:3], 0 offen
	buffer_load_dword v110, v113, s[0:3], 0 offen offset:4
	ds_read_b64 v[114:115], v112
	s_waitcnt vmcnt(0) lgkmcnt(0)
	v_mul_f64 v[109:110], v[109:110], v[114:115]
	s_cbranch_execz .LBB117_562
	s_branch .LBB117_563
.LBB117_561:
                                        ; implicit-def: $vgpr109_vgpr110
.LBB117_562:
	ds_read_b64 v[109:110], v112
.LBB117_563:
	v_cmp_ne_u32_e32 vcc, 4, v0
	s_and_saveexec_b64 s[8:9], vcc
	s_cbranch_execz .LBB117_567
; %bb.564:
	s_mov_b32 s10, 0
	v_add_u32_e32 v114, 0x1b8, v111
	v_add3_u32 v115, v111, s10, 8
	s_mov_b64 s[10:11], 0
	v_mov_b32_e32 v116, v0
.LBB117_565:                            ; =>This Inner Loop Header: Depth=1
	buffer_load_dword v117, v115, s[0:3], 0 offen
	buffer_load_dword v118, v115, s[0:3], 0 offen offset:4
	ds_read_b64 v[119:120], v114
	v_add_u32_e32 v116, 1, v116
	v_cmp_lt_u32_e32 vcc, 3, v116
	v_add_u32_e32 v114, 8, v114
	s_or_b64 s[10:11], vcc, s[10:11]
	v_add_u32_e32 v115, 8, v115
	s_waitcnt vmcnt(0) lgkmcnt(0)
	v_fma_f64 v[109:110], v[117:118], v[119:120], v[109:110]
	s_andn2_b64 exec, exec, s[10:11]
	s_cbranch_execnz .LBB117_565
; %bb.566:
	s_or_b64 exec, exec, s[10:11]
.LBB117_567:
	s_or_b64 exec, exec, s[8:9]
	v_mov_b32_e32 v114, 0
	ds_read_b64 v[114:115], v114 offset:40
	s_waitcnt lgkmcnt(0)
	v_mul_f64 v[109:110], v[109:110], v[114:115]
	buffer_store_dword v110, off, s[0:3], 0 offset:44
	buffer_store_dword v109, off, s[0:3], 0 offset:40
.LBB117_568:
	;; [unrolled: 59-line block ×45, first 2 shown]
	s_or_b64 exec, exec, s[6:7]
	buffer_load_dword v109, off, s[0:3], 0 offset:392
	buffer_load_dword v110, off, s[0:3], 0 offset:396
	v_cmp_gt_u32_e32 vcc, 49, v0
	s_waitcnt vmcnt(0)
	ds_write_b64 v112, v[109:110]
	s_waitcnt lgkmcnt(0)
	; wave barrier
	s_and_saveexec_b64 s[6:7], vcc
	s_cbranch_execz .LBB117_1008
; %bb.999:
	s_and_b64 vcc, exec, s[4:5]
	s_cbranch_vccnz .LBB117_1001
; %bb.1000:
	buffer_load_dword v109, v113, s[0:3], 0 offen
	buffer_load_dword v110, v113, s[0:3], 0 offen offset:4
	ds_read_b64 v[114:115], v112
	s_waitcnt vmcnt(0) lgkmcnt(0)
	v_mul_f64 v[109:110], v[109:110], v[114:115]
	s_cbranch_execz .LBB117_1002
	s_branch .LBB117_1003
.LBB117_1001:
                                        ; implicit-def: $vgpr109_vgpr110
.LBB117_1002:
	ds_read_b64 v[109:110], v112
.LBB117_1003:
	v_cmp_ne_u32_e32 vcc, 48, v0
	s_and_saveexec_b64 s[8:9], vcc
	s_cbranch_execz .LBB117_1007
; %bb.1004:
	s_mov_b32 s10, 0
	v_add_u32_e32 v114, 0x1b8, v111
	v_add3_u32 v115, v111, s10, 8
	s_mov_b64 s[10:11], 0
	v_mov_b32_e32 v116, v0
.LBB117_1005:                           ; =>This Inner Loop Header: Depth=1
	buffer_load_dword v117, v115, s[0:3], 0 offen
	buffer_load_dword v118, v115, s[0:3], 0 offen offset:4
	ds_read_b64 v[119:120], v114
	v_add_u32_e32 v116, 1, v116
	v_cmp_lt_u32_e32 vcc, 47, v116
	v_add_u32_e32 v114, 8, v114
	s_or_b64 s[10:11], vcc, s[10:11]
	v_add_u32_e32 v115, 8, v115
	s_waitcnt vmcnt(0) lgkmcnt(0)
	v_fma_f64 v[109:110], v[117:118], v[119:120], v[109:110]
	s_andn2_b64 exec, exec, s[10:11]
	s_cbranch_execnz .LBB117_1005
; %bb.1006:
	s_or_b64 exec, exec, s[10:11]
.LBB117_1007:
	s_or_b64 exec, exec, s[8:9]
	v_mov_b32_e32 v114, 0
	ds_read_b64 v[114:115], v114 offset:392
	s_waitcnt lgkmcnt(0)
	v_mul_f64 v[109:110], v[109:110], v[114:115]
	buffer_store_dword v110, off, s[0:3], 0 offset:396
	buffer_store_dword v109, off, s[0:3], 0 offset:392
.LBB117_1008:
	s_or_b64 exec, exec, s[6:7]
	buffer_load_dword v109, off, s[0:3], 0 offset:400
	buffer_load_dword v110, off, s[0:3], 0 offset:404
	v_cmp_gt_u32_e32 vcc, 50, v0
	s_waitcnt vmcnt(0)
	ds_write_b64 v112, v[109:110]
	s_waitcnt lgkmcnt(0)
	; wave barrier
	s_and_saveexec_b64 s[6:7], vcc
	s_cbranch_execz .LBB117_1018
; %bb.1009:
	s_and_b64 vcc, exec, s[4:5]
	s_cbranch_vccnz .LBB117_1011
; %bb.1010:
	buffer_load_dword v109, v113, s[0:3], 0 offen
	buffer_load_dword v110, v113, s[0:3], 0 offen offset:4
	ds_read_b64 v[114:115], v112
	s_waitcnt vmcnt(0) lgkmcnt(0)
	v_mul_f64 v[109:110], v[109:110], v[114:115]
	s_cbranch_execz .LBB117_1012
	s_branch .LBB117_1013
.LBB117_1011:
                                        ; implicit-def: $vgpr109_vgpr110
.LBB117_1012:
	ds_read_b64 v[109:110], v112
.LBB117_1013:
	v_cmp_ne_u32_e32 vcc, 49, v0
	s_and_saveexec_b64 s[8:9], vcc
	s_cbranch_execz .LBB117_1017
; %bb.1014:
	s_mov_b32 s10, 0
	v_add_u32_e32 v114, 0x1b8, v111
	v_add3_u32 v115, v111, s10, 8
	s_mov_b64 s[10:11], 0
	v_mov_b32_e32 v116, v0
.LBB117_1015:                           ; =>This Inner Loop Header: Depth=1
	buffer_load_dword v117, v115, s[0:3], 0 offen
	buffer_load_dword v118, v115, s[0:3], 0 offen offset:4
	ds_read_b64 v[119:120], v114
	v_add_u32_e32 v116, 1, v116
	v_cmp_lt_u32_e32 vcc, 48, v116
	v_add_u32_e32 v114, 8, v114
	s_or_b64 s[10:11], vcc, s[10:11]
	v_add_u32_e32 v115, 8, v115
	s_waitcnt vmcnt(0) lgkmcnt(0)
	v_fma_f64 v[109:110], v[117:118], v[119:120], v[109:110]
	s_andn2_b64 exec, exec, s[10:11]
	s_cbranch_execnz .LBB117_1015
; %bb.1016:
	s_or_b64 exec, exec, s[10:11]
.LBB117_1017:
	s_or_b64 exec, exec, s[8:9]
	v_mov_b32_e32 v114, 0
	ds_read_b64 v[114:115], v114 offset:400
	s_waitcnt lgkmcnt(0)
	v_mul_f64 v[109:110], v[109:110], v[114:115]
	buffer_store_dword v110, off, s[0:3], 0 offset:404
	buffer_store_dword v109, off, s[0:3], 0 offset:400
.LBB117_1018:
	;; [unrolled: 59-line block ×3, first 2 shown]
	s_or_b64 exec, exec, s[6:7]
	buffer_load_dword v109, off, s[0:3], 0 offset:416
	buffer_load_dword v110, off, s[0:3], 0 offset:420
	v_cmp_gt_u32_e64 s[6:7], 52, v0
	s_waitcnt vmcnt(0)
	ds_write_b64 v112, v[109:110]
	s_waitcnt lgkmcnt(0)
	; wave barrier
	s_and_saveexec_b64 s[8:9], s[6:7]
	s_cbranch_execz .LBB117_1038
; %bb.1029:
	s_and_b64 vcc, exec, s[4:5]
	s_cbranch_vccnz .LBB117_1031
; %bb.1030:
	buffer_load_dword v109, v113, s[0:3], 0 offen
	buffer_load_dword v110, v113, s[0:3], 0 offen offset:4
	ds_read_b64 v[114:115], v112
	s_waitcnt vmcnt(0) lgkmcnt(0)
	v_mul_f64 v[109:110], v[109:110], v[114:115]
	s_cbranch_execz .LBB117_1032
	s_branch .LBB117_1033
.LBB117_1031:
                                        ; implicit-def: $vgpr109_vgpr110
.LBB117_1032:
	ds_read_b64 v[109:110], v112
.LBB117_1033:
	v_cmp_ne_u32_e32 vcc, 51, v0
	s_and_saveexec_b64 s[10:11], vcc
	s_cbranch_execz .LBB117_1037
; %bb.1034:
	s_mov_b32 s12, 0
	v_add_u32_e32 v114, 0x1b8, v111
	v_add3_u32 v115, v111, s12, 8
	s_mov_b64 s[12:13], 0
	v_mov_b32_e32 v116, v0
.LBB117_1035:                           ; =>This Inner Loop Header: Depth=1
	buffer_load_dword v117, v115, s[0:3], 0 offen
	buffer_load_dword v118, v115, s[0:3], 0 offen offset:4
	ds_read_b64 v[119:120], v114
	v_add_u32_e32 v116, 1, v116
	v_cmp_lt_u32_e32 vcc, 50, v116
	v_add_u32_e32 v114, 8, v114
	s_or_b64 s[12:13], vcc, s[12:13]
	v_add_u32_e32 v115, 8, v115
	s_waitcnt vmcnt(0) lgkmcnt(0)
	v_fma_f64 v[109:110], v[117:118], v[119:120], v[109:110]
	s_andn2_b64 exec, exec, s[12:13]
	s_cbranch_execnz .LBB117_1035
; %bb.1036:
	s_or_b64 exec, exec, s[12:13]
.LBB117_1037:
	s_or_b64 exec, exec, s[10:11]
	v_mov_b32_e32 v114, 0
	ds_read_b64 v[114:115], v114 offset:416
	s_waitcnt lgkmcnt(0)
	v_mul_f64 v[109:110], v[109:110], v[114:115]
	buffer_store_dword v110, off, s[0:3], 0 offset:420
	buffer_store_dword v109, off, s[0:3], 0 offset:416
.LBB117_1038:
	s_or_b64 exec, exec, s[8:9]
	buffer_load_dword v109, off, s[0:3], 0 offset:424
	buffer_load_dword v110, off, s[0:3], 0 offset:428
	v_cmp_ne_u32_e32 vcc, 53, v0
	s_waitcnt vmcnt(0)
	ds_write_b64 v112, v[109:110]
	s_waitcnt lgkmcnt(0)
	; wave barrier
	s_and_saveexec_b64 s[8:9], vcc
	s_cbranch_execz .LBB117_1048
; %bb.1039:
	s_and_b64 vcc, exec, s[4:5]
	s_cbranch_vccnz .LBB117_1041
; %bb.1040:
	buffer_load_dword v109, v113, s[0:3], 0 offen
	buffer_load_dword v110, v113, s[0:3], 0 offen offset:4
	ds_read_b64 v[113:114], v112
	s_waitcnt vmcnt(0) lgkmcnt(0)
	v_mul_f64 v[109:110], v[109:110], v[113:114]
	s_cbranch_execz .LBB117_1042
	s_branch .LBB117_1043
.LBB117_1041:
                                        ; implicit-def: $vgpr109_vgpr110
.LBB117_1042:
	ds_read_b64 v[109:110], v112
.LBB117_1043:
	s_and_saveexec_b64 s[4:5], s[6:7]
	s_cbranch_execz .LBB117_1047
; %bb.1044:
	s_mov_b32 s6, 0
	v_add_u32_e32 v112, 0x1b8, v111
	v_add3_u32 v111, v111, s6, 8
	s_mov_b64 s[6:7], 0
.LBB117_1045:                           ; =>This Inner Loop Header: Depth=1
	buffer_load_dword v113, v111, s[0:3], 0 offen
	buffer_load_dword v114, v111, s[0:3], 0 offen offset:4
	ds_read_b64 v[115:116], v112
	v_add_u32_e32 v0, 1, v0
	v_cmp_lt_u32_e32 vcc, 51, v0
	v_add_u32_e32 v112, 8, v112
	s_or_b64 s[6:7], vcc, s[6:7]
	v_add_u32_e32 v111, 8, v111
	s_waitcnt vmcnt(0) lgkmcnt(0)
	v_fma_f64 v[109:110], v[113:114], v[115:116], v[109:110]
	s_andn2_b64 exec, exec, s[6:7]
	s_cbranch_execnz .LBB117_1045
; %bb.1046:
	s_or_b64 exec, exec, s[6:7]
.LBB117_1047:
	s_or_b64 exec, exec, s[4:5]
	v_mov_b32_e32 v0, 0
	ds_read_b64 v[111:112], v0 offset:424
	s_waitcnt lgkmcnt(0)
	v_mul_f64 v[109:110], v[109:110], v[111:112]
	buffer_store_dword v110, off, s[0:3], 0 offset:428
	buffer_store_dword v109, off, s[0:3], 0 offset:424
.LBB117_1048:
	s_or_b64 exec, exec, s[8:9]
.LBB117_1049:
	buffer_load_dword v109, off, s[0:3], 0
	buffer_load_dword v110, off, s[0:3], 0 offset:4
	s_waitcnt vmcnt(0)
	flat_store_dwordx2 v[1:2], v[109:110]
	buffer_load_dword v0, off, s[0:3], 0 offset:8
	s_nop 0
	buffer_load_dword v1, off, s[0:3], 0 offset:12
	s_waitcnt vmcnt(0)
	flat_store_dwordx2 v[3:4], v[0:1]
	buffer_load_dword v0, off, s[0:3], 0 offset:16
	s_nop 0
	;; [unrolled: 5-line block ×53, first 2 shown]
	buffer_load_dword v1, off, s[0:3], 0 offset:428
	s_waitcnt vmcnt(0)
	flat_store_dwordx2 v[107:108], v[0:1]
.LBB117_1050:
	s_endpgm
	.section	.rodata,"a",@progbits
	.p2align	6, 0x0
	.amdhsa_kernel _ZN9rocsolver6v33100L18trti2_kernel_smallILi54EdPKPdEEv13rocblas_fill_17rocblas_diagonal_T1_iil
		.amdhsa_group_segment_fixed_size 864
		.amdhsa_private_segment_fixed_size 448
		.amdhsa_kernarg_size 32
		.amdhsa_user_sgpr_count 6
		.amdhsa_user_sgpr_private_segment_buffer 1
		.amdhsa_user_sgpr_dispatch_ptr 0
		.amdhsa_user_sgpr_queue_ptr 0
		.amdhsa_user_sgpr_kernarg_segment_ptr 1
		.amdhsa_user_sgpr_dispatch_id 0
		.amdhsa_user_sgpr_flat_scratch_init 0
		.amdhsa_user_sgpr_private_segment_size 0
		.amdhsa_uses_dynamic_stack 0
		.amdhsa_system_sgpr_private_segment_wavefront_offset 1
		.amdhsa_system_sgpr_workgroup_id_x 1
		.amdhsa_system_sgpr_workgroup_id_y 0
		.amdhsa_system_sgpr_workgroup_id_z 0
		.amdhsa_system_sgpr_workgroup_info 0
		.amdhsa_system_vgpr_workitem_id 0
		.amdhsa_next_free_vgpr 122
		.amdhsa_next_free_sgpr 67
		.amdhsa_reserve_vcc 1
		.amdhsa_reserve_flat_scratch 0
		.amdhsa_float_round_mode_32 0
		.amdhsa_float_round_mode_16_64 0
		.amdhsa_float_denorm_mode_32 3
		.amdhsa_float_denorm_mode_16_64 3
		.amdhsa_dx10_clamp 1
		.amdhsa_ieee_mode 1
		.amdhsa_fp16_overflow 0
		.amdhsa_exception_fp_ieee_invalid_op 0
		.amdhsa_exception_fp_denorm_src 0
		.amdhsa_exception_fp_ieee_div_zero 0
		.amdhsa_exception_fp_ieee_overflow 0
		.amdhsa_exception_fp_ieee_underflow 0
		.amdhsa_exception_fp_ieee_inexact 0
		.amdhsa_exception_int_div_zero 0
	.end_amdhsa_kernel
	.section	.text._ZN9rocsolver6v33100L18trti2_kernel_smallILi54EdPKPdEEv13rocblas_fill_17rocblas_diagonal_T1_iil,"axG",@progbits,_ZN9rocsolver6v33100L18trti2_kernel_smallILi54EdPKPdEEv13rocblas_fill_17rocblas_diagonal_T1_iil,comdat
.Lfunc_end117:
	.size	_ZN9rocsolver6v33100L18trti2_kernel_smallILi54EdPKPdEEv13rocblas_fill_17rocblas_diagonal_T1_iil, .Lfunc_end117-_ZN9rocsolver6v33100L18trti2_kernel_smallILi54EdPKPdEEv13rocblas_fill_17rocblas_diagonal_T1_iil
                                        ; -- End function
	.set _ZN9rocsolver6v33100L18trti2_kernel_smallILi54EdPKPdEEv13rocblas_fill_17rocblas_diagonal_T1_iil.num_vgpr, 122
	.set _ZN9rocsolver6v33100L18trti2_kernel_smallILi54EdPKPdEEv13rocblas_fill_17rocblas_diagonal_T1_iil.num_agpr, 0
	.set _ZN9rocsolver6v33100L18trti2_kernel_smallILi54EdPKPdEEv13rocblas_fill_17rocblas_diagonal_T1_iil.numbered_sgpr, 67
	.set _ZN9rocsolver6v33100L18trti2_kernel_smallILi54EdPKPdEEv13rocblas_fill_17rocblas_diagonal_T1_iil.num_named_barrier, 0
	.set _ZN9rocsolver6v33100L18trti2_kernel_smallILi54EdPKPdEEv13rocblas_fill_17rocblas_diagonal_T1_iil.private_seg_size, 448
	.set _ZN9rocsolver6v33100L18trti2_kernel_smallILi54EdPKPdEEv13rocblas_fill_17rocblas_diagonal_T1_iil.uses_vcc, 1
	.set _ZN9rocsolver6v33100L18trti2_kernel_smallILi54EdPKPdEEv13rocblas_fill_17rocblas_diagonal_T1_iil.uses_flat_scratch, 0
	.set _ZN9rocsolver6v33100L18trti2_kernel_smallILi54EdPKPdEEv13rocblas_fill_17rocblas_diagonal_T1_iil.has_dyn_sized_stack, 0
	.set _ZN9rocsolver6v33100L18trti2_kernel_smallILi54EdPKPdEEv13rocblas_fill_17rocblas_diagonal_T1_iil.has_recursion, 0
	.set _ZN9rocsolver6v33100L18trti2_kernel_smallILi54EdPKPdEEv13rocblas_fill_17rocblas_diagonal_T1_iil.has_indirect_call, 0
	.section	.AMDGPU.csdata,"",@progbits
; Kernel info:
; codeLenInByte = 32108
; TotalNumSgprs: 71
; NumVgprs: 122
; ScratchSize: 448
; MemoryBound: 0
; FloatMode: 240
; IeeeMode: 1
; LDSByteSize: 864 bytes/workgroup (compile time only)
; SGPRBlocks: 8
; VGPRBlocks: 30
; NumSGPRsForWavesPerEU: 71
; NumVGPRsForWavesPerEU: 122
; Occupancy: 2
; WaveLimiterHint : 1
; COMPUTE_PGM_RSRC2:SCRATCH_EN: 1
; COMPUTE_PGM_RSRC2:USER_SGPR: 6
; COMPUTE_PGM_RSRC2:TRAP_HANDLER: 0
; COMPUTE_PGM_RSRC2:TGID_X_EN: 1
; COMPUTE_PGM_RSRC2:TGID_Y_EN: 0
; COMPUTE_PGM_RSRC2:TGID_Z_EN: 0
; COMPUTE_PGM_RSRC2:TIDIG_COMP_CNT: 0
	.section	.text._ZN9rocsolver6v33100L18trti2_kernel_smallILi55EdPKPdEEv13rocblas_fill_17rocblas_diagonal_T1_iil,"axG",@progbits,_ZN9rocsolver6v33100L18trti2_kernel_smallILi55EdPKPdEEv13rocblas_fill_17rocblas_diagonal_T1_iil,comdat
	.globl	_ZN9rocsolver6v33100L18trti2_kernel_smallILi55EdPKPdEEv13rocblas_fill_17rocblas_diagonal_T1_iil ; -- Begin function _ZN9rocsolver6v33100L18trti2_kernel_smallILi55EdPKPdEEv13rocblas_fill_17rocblas_diagonal_T1_iil
	.p2align	8
	.type	_ZN9rocsolver6v33100L18trti2_kernel_smallILi55EdPKPdEEv13rocblas_fill_17rocblas_diagonal_T1_iil,@function
_ZN9rocsolver6v33100L18trti2_kernel_smallILi55EdPKPdEEv13rocblas_fill_17rocblas_diagonal_T1_iil: ; @_ZN9rocsolver6v33100L18trti2_kernel_smallILi55EdPKPdEEv13rocblas_fill_17rocblas_diagonal_T1_iil
; %bb.0:
	s_add_u32 s0, s0, s7
	s_addc_u32 s1, s1, 0
	v_cmp_gt_u32_e32 vcc, 55, v0
	s_and_saveexec_b64 s[8:9], vcc
	s_cbranch_execz .LBB118_1070
; %bb.1:
	s_load_dwordx2 s[12:13], s[4:5], 0x10
	s_load_dwordx4 s[8:11], s[4:5], 0x0
	s_ashr_i32 s7, s6, 31
	s_lshl_b64 s[6:7], s[6:7], 3
	v_lshlrev_b32_e32 v113, 3, v0
	s_waitcnt lgkmcnt(0)
	s_ashr_i32 s5, s12, 31
	s_add_u32 s6, s10, s6
	s_addc_u32 s7, s11, s7
	s_load_dwordx2 s[6:7], s[6:7], 0x0
	s_mov_b32 s4, s12
	s_lshl_b64 s[4:5], s[4:5], 3
	s_waitcnt lgkmcnt(0)
	s_add_u32 s4, s6, s4
	s_addc_u32 s5, s7, s5
	v_mov_b32_e32 v2, s5
	v_add_co_u32_e32 v1, vcc, s4, v113
	v_addc_co_u32_e32 v2, vcc, 0, v2, vcc
	flat_load_dwordx2 v[5:6], v[1:2]
	s_mov_b32 s6, s13
	s_ashr_i32 s7, s13, 31
	s_lshl_b64 s[6:7], s[6:7], 3
	v_mov_b32_e32 v4, s7
	v_add_co_u32_e32 v3, vcc, s6, v1
	v_addc_co_u32_e32 v4, vcc, v2, v4, vcc
	s_add_i32 s6, s13, s13
	v_add_u32_e32 v9, s6, v0
	v_ashrrev_i32_e32 v10, 31, v9
	v_mov_b32_e32 v11, s5
	v_add_u32_e32 v12, s13, v9
	v_ashrrev_i32_e32 v13, 31, v12
	v_mov_b32_e32 v14, s5
	v_mov_b32_e32 v15, s5
	;; [unrolled: 1-line block ×51, first 2 shown]
	s_cmpk_lg_i32 s9, 0x84
	s_cselect_b64 s[10:11], -1, 0
	s_cmpk_eq_i32 s9, 0x84
	s_waitcnt vmcnt(0) lgkmcnt(0)
	buffer_store_dword v6, off, s[0:3], 0 offset:4
	buffer_store_dword v5, off, s[0:3], 0
	flat_load_dwordx2 v[7:8], v[3:4]
	v_lshlrev_b64 v[5:6], 3, v[9:10]
	s_waitcnt vmcnt(0) lgkmcnt(0)
	buffer_store_dword v8, off, s[0:3], 0 offset:12
	buffer_store_dword v7, off, s[0:3], 0 offset:8
	v_add_co_u32_e32 v5, vcc, s4, v5
	v_addc_co_u32_e32 v6, vcc, v11, v6, vcc
	flat_load_dwordx2 v[10:11], v[5:6]
	v_lshlrev_b64 v[7:8], 3, v[12:13]
	s_waitcnt vmcnt(0) lgkmcnt(0)
	buffer_store_dword v11, off, s[0:3], 0 offset:20
	buffer_store_dword v10, off, s[0:3], 0 offset:16
	v_add_co_u32_e32 v7, vcc, s4, v7
	v_addc_co_u32_e32 v8, vcc, v14, v8, vcc
	flat_load_dwordx2 v[13:14], v[7:8]
	v_add_u32_e32 v11, s13, v12
	v_ashrrev_i32_e32 v12, 31, v11
	v_lshlrev_b64 v[9:10], 3, v[11:12]
	s_waitcnt vmcnt(0) lgkmcnt(0)
	buffer_store_dword v14, off, s[0:3], 0 offset:28
	buffer_store_dword v13, off, s[0:3], 0 offset:24
	v_add_co_u32_e32 v9, vcc, s4, v9
	v_addc_co_u32_e32 v10, vcc, v15, v10, vcc
	flat_load_dwordx2 v[13:14], v[9:10]
	v_add_u32_e32 v15, s13, v11
	v_ashrrev_i32_e32 v16, 31, v15
	v_lshlrev_b64 v[11:12], 3, v[15:16]
	v_add_u32_e32 v18, s13, v15
	v_add_co_u32_e32 v11, vcc, s4, v11
	v_addc_co_u32_e32 v12, vcc, v17, v12, vcc
	v_ashrrev_i32_e32 v19, 31, v18
	s_waitcnt vmcnt(0) lgkmcnt(0)
	buffer_store_dword v14, off, s[0:3], 0 offset:36
	buffer_store_dword v13, off, s[0:3], 0 offset:32
	flat_load_dwordx2 v[16:17], v[11:12]
	v_lshlrev_b64 v[13:14], 3, v[18:19]
	s_waitcnt vmcnt(0) lgkmcnt(0)
	buffer_store_dword v17, off, s[0:3], 0 offset:44
	buffer_store_dword v16, off, s[0:3], 0 offset:40
	v_add_co_u32_e32 v13, vcc, s4, v13
	v_addc_co_u32_e32 v14, vcc, v20, v14, vcc
	flat_load_dwordx2 v[19:20], v[13:14]
	v_add_u32_e32 v17, s13, v18
	v_ashrrev_i32_e32 v18, 31, v17
	v_lshlrev_b64 v[15:16], 3, v[17:18]
	s_waitcnt vmcnt(0) lgkmcnt(0)
	buffer_store_dword v20, off, s[0:3], 0 offset:52
	buffer_store_dword v19, off, s[0:3], 0 offset:48
	v_add_co_u32_e32 v15, vcc, s4, v15
	v_addc_co_u32_e32 v16, vcc, v21, v16, vcc
	flat_load_dwordx2 v[19:20], v[15:16]
	v_add_u32_e32 v21, s13, v17
	v_ashrrev_i32_e32 v22, 31, v21
	v_lshlrev_b64 v[17:18], 3, v[21:22]
	v_add_u32_e32 v24, s13, v21
	v_add_co_u32_e32 v17, vcc, s4, v17
	v_addc_co_u32_e32 v18, vcc, v23, v18, vcc
	v_ashrrev_i32_e32 v25, 31, v24
	s_waitcnt vmcnt(0) lgkmcnt(0)
	buffer_store_dword v20, off, s[0:3], 0 offset:60
	buffer_store_dword v19, off, s[0:3], 0 offset:56
	;; [unrolled: 27-line block ×7, first 2 shown]
	flat_load_dwordx2 v[52:53], v[47:48]
	v_lshlrev_b64 v[49:50], 3, v[54:55]
	s_waitcnt vmcnt(0) lgkmcnt(0)
	buffer_store_dword v53, off, s[0:3], 0 offset:188
	buffer_store_dword v52, off, s[0:3], 0 offset:184
	v_add_co_u32_e32 v49, vcc, s4, v49
	v_addc_co_u32_e32 v50, vcc, v56, v50, vcc
	flat_load_dwordx2 v[55:56], v[49:50]
	v_add_u32_e32 v53, s13, v54
	v_ashrrev_i32_e32 v54, 31, v53
	v_lshlrev_b64 v[51:52], 3, v[53:54]
	s_waitcnt vmcnt(0) lgkmcnt(0)
	buffer_store_dword v56, off, s[0:3], 0 offset:196
	buffer_store_dword v55, off, s[0:3], 0 offset:192
	v_add_co_u32_e32 v51, vcc, s4, v51
	v_addc_co_u32_e32 v52, vcc, v57, v52, vcc
	flat_load_dwordx2 v[55:56], v[51:52]
	v_add_u32_e32 v57, s13, v53
	v_ashrrev_i32_e32 v58, 31, v57
	v_lshlrev_b64 v[53:54], 3, v[57:58]
	v_add_u32_e32 v60, s13, v57
	v_add_co_u32_e32 v53, vcc, s4, v53
	v_addc_co_u32_e32 v54, vcc, v59, v54, vcc
	s_waitcnt vmcnt(0) lgkmcnt(0)
	buffer_store_dword v56, off, s[0:3], 0 offset:204
	buffer_store_dword v55, off, s[0:3], 0 offset:200
	flat_load_dwordx2 v[58:59], v[53:54]
	v_ashrrev_i32_e32 v61, 31, v60
	v_lshlrev_b64 v[55:56], 3, v[60:61]
	s_waitcnt vmcnt(0) lgkmcnt(0)
	buffer_store_dword v59, off, s[0:3], 0 offset:212
	buffer_store_dword v58, off, s[0:3], 0 offset:208
	v_add_co_u32_e32 v55, vcc, s4, v55
	v_addc_co_u32_e32 v56, vcc, v62, v56, vcc
	flat_load_dwordx2 v[61:62], v[55:56]
	v_add_u32_e32 v59, s13, v60
	v_ashrrev_i32_e32 v60, 31, v59
	v_lshlrev_b64 v[57:58], 3, v[59:60]
	s_waitcnt vmcnt(0) lgkmcnt(0)
	buffer_store_dword v62, off, s[0:3], 0 offset:220
	buffer_store_dword v61, off, s[0:3], 0 offset:216
	v_add_co_u32_e32 v57, vcc, s4, v57
	v_addc_co_u32_e32 v58, vcc, v63, v58, vcc
	flat_load_dwordx2 v[61:62], v[57:58]
	v_add_u32_e32 v63, s13, v59
	;; [unrolled: 9-line block ×27, first 2 shown]
	v_ashrrev_i32_e32 v110, 31, v109
	v_lshlrev_b64 v[109:110], 3, v[109:110]
	v_mov_b32_e32 v112, s5
	v_add_co_u32_e32 v109, vcc, s4, v109
	v_addc_co_u32_e32 v110, vcc, v112, v110, vcc
	s_waitcnt vmcnt(0) lgkmcnt(0)
	buffer_store_dword v115, off, s[0:3], 0 offset:428
	buffer_store_dword v114, off, s[0:3], 0 offset:424
	flat_load_dwordx2 v[114:115], v[109:110]
	v_mov_b32_e32 v111, 0
	v_mov_b32_e32 v112, 0xbff00000
	s_waitcnt vmcnt(0) lgkmcnt(0)
	buffer_store_dword v115, off, s[0:3], 0 offset:436
	buffer_store_dword v114, off, s[0:3], 0 offset:432
	s_cbranch_scc1 .LBB118_3
; %bb.2:
	v_mov_b32_e32 v111, 0
	v_lshl_add_u32 v122, v0, 3, v111
	buffer_load_dword v111, v122, s[0:3], 0 offen
	buffer_load_dword v112, v122, s[0:3], 0 offen offset:4
	s_waitcnt vmcnt(0)
	v_div_scale_f64 v[114:115], s[4:5], v[111:112], v[111:112], 1.0
	v_rcp_f64_e32 v[116:117], v[114:115]
	v_fma_f64 v[118:119], -v[114:115], v[116:117], 1.0
	v_fma_f64 v[116:117], v[116:117], v[118:119], v[116:117]
	v_div_scale_f64 v[118:119], vcc, 1.0, v[111:112], 1.0
	v_fma_f64 v[120:121], -v[114:115], v[116:117], 1.0
	v_fma_f64 v[116:117], v[116:117], v[120:121], v[116:117]
	v_mul_f64 v[120:121], v[118:119], v[116:117]
	v_fma_f64 v[114:115], -v[114:115], v[120:121], v[118:119]
	v_div_fmas_f64 v[114:115], v[114:115], v[116:117], v[120:121]
	v_div_fixup_f64 v[111:112], v[114:115], v[111:112], 1.0
	buffer_store_dword v111, v122, s[0:3], 0 offen
	buffer_store_dword v112, v122, s[0:3], 0 offen offset:4
	v_xor_b32_e32 v112, 0x80000000, v112
.LBB118_3:
	s_cmpk_eq_i32 s8, 0x79
	v_add_u32_e32 v114, 0x1c0, v113
	v_mov_b32_e32 v115, v113
	s_mov_b64 s[4:5], -1
	ds_write_b64 v113, v[111:112]
	s_cbranch_scc1 .LBB118_537
; %bb.4:
	buffer_load_dword v111, off, s[0:3], 0 offset:424
	buffer_load_dword v112, off, s[0:3], 0 offset:428
	s_movk_i32 s12, 0x48
	s_movk_i32 s13, 0x50
	;; [unrolled: 1-line block ×44, first 2 shown]
	v_cmp_eq_u32_e64 s[4:5], 54, v0
	s_waitcnt vmcnt(0)
	ds_write_b64 v114, v[111:112]
	s_waitcnt lgkmcnt(0)
	; wave barrier
	s_and_saveexec_b64 s[6:7], s[4:5]
	s_cbranch_execz .LBB118_10
; %bb.5:
	s_and_b64 vcc, exec, s[10:11]
	s_cbranch_vccz .LBB118_7
; %bb.6:
	buffer_load_dword v111, v115, s[0:3], 0 offen
	buffer_load_dword v112, v115, s[0:3], 0 offen offset:4
	ds_read_b64 v[116:117], v114
	s_waitcnt vmcnt(0) lgkmcnt(0)
	v_mul_f64 v[111:112], v[111:112], v[116:117]
	s_cbranch_execz .LBB118_8
	s_branch .LBB118_9
.LBB118_7:
                                        ; implicit-def: $vgpr111_vgpr112
.LBB118_8:
	ds_read_b64 v[111:112], v114
.LBB118_9:
	v_mov_b32_e32 v116, 0
	ds_read_b64 v[116:117], v116 offset:424
	s_waitcnt lgkmcnt(0)
	v_mul_f64 v[111:112], v[111:112], v[116:117]
	buffer_store_dword v112, off, s[0:3], 0 offset:428
	buffer_store_dword v111, off, s[0:3], 0 offset:424
.LBB118_10:
	s_or_b64 exec, exec, s[6:7]
	buffer_load_dword v111, off, s[0:3], 0 offset:416
	buffer_load_dword v112, off, s[0:3], 0 offset:420
	s_or_b32 s14, 0, 8
	s_mov_b32 s15, 16
	s_mov_b32 s16, 24
	;; [unrolled: 1-line block ×9, first 2 shown]
	v_cmp_lt_u32_e64 s[6:7], 52, v0
	s_waitcnt vmcnt(0)
	ds_write_b64 v114, v[111:112]
	s_waitcnt lgkmcnt(0)
	; wave barrier
	s_and_saveexec_b64 s[8:9], s[6:7]
	s_cbranch_execz .LBB118_16
; %bb.11:
	s_andn2_b64 vcc, exec, s[10:11]
	s_cbranch_vccnz .LBB118_13
; %bb.12:
	buffer_load_dword v111, v115, s[0:3], 0 offen
	buffer_load_dword v112, v115, s[0:3], 0 offen offset:4
	ds_read_b64 v[116:117], v114
	s_waitcnt vmcnt(0) lgkmcnt(0)
	v_mul_f64 v[111:112], v[111:112], v[116:117]
	s_cbranch_execz .LBB118_14
	s_branch .LBB118_15
.LBB118_13:
                                        ; implicit-def: $vgpr111_vgpr112
.LBB118_14:
	ds_read_b64 v[111:112], v114
.LBB118_15:
	buffer_load_dword v120, off, s[0:3], 0 offset:424
	buffer_load_dword v121, off, s[0:3], 0 offset:428
	v_mov_b32_e32 v116, 0
	ds_read2_b64 v[116:119], v116 offset0:52 offset1:109
	s_waitcnt vmcnt(0) lgkmcnt(0)
	v_fma_f64 v[118:119], v[120:121], v[118:119], v[111:112]
	v_cndmask_b32_e64 v112, v112, v119, s[4:5]
	v_cndmask_b32_e64 v111, v111, v118, s[4:5]
	v_mul_f64 v[111:112], v[111:112], v[116:117]
	buffer_store_dword v112, off, s[0:3], 0 offset:420
	buffer_store_dword v111, off, s[0:3], 0 offset:416
.LBB118_16:
	s_or_b64 exec, exec, s[8:9]
	buffer_load_dword v111, off, s[0:3], 0 offset:408
	buffer_load_dword v112, off, s[0:3], 0 offset:412
	v_cmp_lt_u32_e64 s[4:5], 51, v0
	s_waitcnt vmcnt(0)
	ds_write_b64 v114, v[111:112]
	s_waitcnt lgkmcnt(0)
	; wave barrier
	s_and_saveexec_b64 s[8:9], s[4:5]
	s_cbranch_execz .LBB118_26
; %bb.17:
	s_andn2_b64 vcc, exec, s[10:11]
	s_cbranch_vccnz .LBB118_19
; %bb.18:
	buffer_load_dword v111, v115, s[0:3], 0 offen
	buffer_load_dword v112, v115, s[0:3], 0 offen offset:4
	ds_read_b64 v[116:117], v114
	s_waitcnt vmcnt(0) lgkmcnt(0)
	v_mul_f64 v[111:112], v[111:112], v[116:117]
	s_cbranch_execz .LBB118_20
	s_branch .LBB118_21
.LBB118_19:
                                        ; implicit-def: $vgpr111_vgpr112
.LBB118_20:
	ds_read_b64 v[111:112], v114
.LBB118_21:
	s_and_saveexec_b64 s[12:13], s[6:7]
	s_cbranch_execz .LBB118_25
; %bb.22:
	v_subrev_u32_e32 v116, 52, v0
	s_movk_i32 s67, 0x360
	s_mov_b64 s[6:7], 0
.LBB118_23:                             ; =>This Inner Loop Header: Depth=1
	v_mov_b32_e32 v118, s66
	buffer_load_dword v117, v118, s[0:3], 0 offen
	s_nop 0
	buffer_load_dword v118, v118, s[0:3], 0 offen offset:4
	v_mov_b32_e32 v119, s67
	ds_read_b64 v[119:120], v119
	v_add_u32_e32 v116, -1, v116
	s_add_i32 s67, s67, 8
	s_add_i32 s66, s66, 8
	v_cmp_eq_u32_e32 vcc, 0, v116
	s_or_b64 s[6:7], vcc, s[6:7]
	s_waitcnt vmcnt(0) lgkmcnt(0)
	v_fma_f64 v[111:112], v[117:118], v[119:120], v[111:112]
	s_andn2_b64 exec, exec, s[6:7]
	s_cbranch_execnz .LBB118_23
; %bb.24:
	s_or_b64 exec, exec, s[6:7]
.LBB118_25:
	s_or_b64 exec, exec, s[12:13]
	v_mov_b32_e32 v116, 0
	ds_read_b64 v[116:117], v116 offset:408
	s_waitcnt lgkmcnt(0)
	v_mul_f64 v[111:112], v[111:112], v[116:117]
	buffer_store_dword v112, off, s[0:3], 0 offset:412
	buffer_store_dword v111, off, s[0:3], 0 offset:408
.LBB118_26:
	s_or_b64 exec, exec, s[8:9]
	buffer_load_dword v111, off, s[0:3], 0 offset:400
	buffer_load_dword v112, off, s[0:3], 0 offset:404
	v_cmp_lt_u32_e64 s[6:7], 50, v0
	s_waitcnt vmcnt(0)
	ds_write_b64 v114, v[111:112]
	s_waitcnt lgkmcnt(0)
	; wave barrier
	s_and_saveexec_b64 s[8:9], s[6:7]
	s_cbranch_execz .LBB118_36
; %bb.27:
	s_andn2_b64 vcc, exec, s[10:11]
	s_cbranch_vccnz .LBB118_29
; %bb.28:
	buffer_load_dword v111, v115, s[0:3], 0 offen
	buffer_load_dword v112, v115, s[0:3], 0 offen offset:4
	ds_read_b64 v[116:117], v114
	s_waitcnt vmcnt(0) lgkmcnt(0)
	v_mul_f64 v[111:112], v[111:112], v[116:117]
	s_cbranch_execz .LBB118_30
	s_branch .LBB118_31
.LBB118_29:
                                        ; implicit-def: $vgpr111_vgpr112
.LBB118_30:
	ds_read_b64 v[111:112], v114
.LBB118_31:
	s_and_saveexec_b64 s[12:13], s[4:5]
	s_cbranch_execz .LBB118_35
; %bb.32:
	v_subrev_u32_e32 v116, 51, v0
	s_movk_i32 s66, 0x358
	s_mov_b64 s[4:5], 0
.LBB118_33:                             ; =>This Inner Loop Header: Depth=1
	v_mov_b32_e32 v118, s65
	buffer_load_dword v117, v118, s[0:3], 0 offen
	s_nop 0
	buffer_load_dword v118, v118, s[0:3], 0 offen offset:4
	v_mov_b32_e32 v119, s66
	ds_read_b64 v[119:120], v119
	v_add_u32_e32 v116, -1, v116
	s_add_i32 s66, s66, 8
	s_add_i32 s65, s65, 8
	v_cmp_eq_u32_e32 vcc, 0, v116
	s_or_b64 s[4:5], vcc, s[4:5]
	s_waitcnt vmcnt(0) lgkmcnt(0)
	v_fma_f64 v[111:112], v[117:118], v[119:120], v[111:112]
	s_andn2_b64 exec, exec, s[4:5]
	s_cbranch_execnz .LBB118_33
; %bb.34:
	s_or_b64 exec, exec, s[4:5]
.LBB118_35:
	s_or_b64 exec, exec, s[12:13]
	v_mov_b32_e32 v116, 0
	ds_read_b64 v[116:117], v116 offset:400
	s_waitcnt lgkmcnt(0)
	v_mul_f64 v[111:112], v[111:112], v[116:117]
	buffer_store_dword v112, off, s[0:3], 0 offset:404
	buffer_store_dword v111, off, s[0:3], 0 offset:400
.LBB118_36:
	;; [unrolled: 59-line block ×8, first 2 shown]
	s_or_b64 exec, exec, s[8:9]
	buffer_load_dword v111, off, s[0:3], 0 offset:344
	buffer_load_dword v112, off, s[0:3], 0 offset:348
	v_cmp_lt_u32_e64 s[4:5], 43, v0
	s_waitcnt vmcnt(0)
	ds_write_b64 v114, v[111:112]
	s_waitcnt lgkmcnt(0)
	; wave barrier
	s_and_saveexec_b64 s[8:9], s[4:5]
	s_cbranch_execz .LBB118_106
; %bb.97:
	s_andn2_b64 vcc, exec, s[10:11]
	s_cbranch_vccnz .LBB118_99
; %bb.98:
	buffer_load_dword v111, v115, s[0:3], 0 offen
	buffer_load_dword v112, v115, s[0:3], 0 offen offset:4
	ds_read_b64 v[116:117], v114
	s_waitcnt vmcnt(0) lgkmcnt(0)
	v_mul_f64 v[111:112], v[111:112], v[116:117]
	s_cbranch_execz .LBB118_100
	s_branch .LBB118_101
.LBB118_99:
                                        ; implicit-def: $vgpr111_vgpr112
.LBB118_100:
	ds_read_b64 v[111:112], v114
.LBB118_101:
	s_and_saveexec_b64 s[12:13], s[6:7]
	s_cbranch_execz .LBB118_105
; %bb.102:
	v_subrev_u32_e32 v116, 44, v0
	s_movk_i32 s59, 0x320
	s_mov_b64 s[6:7], 0
.LBB118_103:                            ; =>This Inner Loop Header: Depth=1
	v_mov_b32_e32 v118, s58
	buffer_load_dword v117, v118, s[0:3], 0 offen
	s_nop 0
	buffer_load_dword v118, v118, s[0:3], 0 offen offset:4
	v_mov_b32_e32 v119, s59
	ds_read_b64 v[119:120], v119
	v_add_u32_e32 v116, -1, v116
	s_add_i32 s59, s59, 8
	s_add_i32 s58, s58, 8
	v_cmp_eq_u32_e32 vcc, 0, v116
	s_or_b64 s[6:7], vcc, s[6:7]
	s_waitcnt vmcnt(0) lgkmcnt(0)
	v_fma_f64 v[111:112], v[117:118], v[119:120], v[111:112]
	s_andn2_b64 exec, exec, s[6:7]
	s_cbranch_execnz .LBB118_103
; %bb.104:
	s_or_b64 exec, exec, s[6:7]
.LBB118_105:
	s_or_b64 exec, exec, s[12:13]
	v_mov_b32_e32 v116, 0
	ds_read_b64 v[116:117], v116 offset:344
	s_waitcnt lgkmcnt(0)
	v_mul_f64 v[111:112], v[111:112], v[116:117]
	buffer_store_dword v112, off, s[0:3], 0 offset:348
	buffer_store_dword v111, off, s[0:3], 0 offset:344
.LBB118_106:
	s_or_b64 exec, exec, s[8:9]
	buffer_load_dword v111, off, s[0:3], 0 offset:336
	buffer_load_dword v112, off, s[0:3], 0 offset:340
	v_cmp_lt_u32_e64 s[6:7], 42, v0
	s_waitcnt vmcnt(0)
	ds_write_b64 v114, v[111:112]
	s_waitcnt lgkmcnt(0)
	; wave barrier
	s_and_saveexec_b64 s[8:9], s[6:7]
	s_cbranch_execz .LBB118_116
; %bb.107:
	s_andn2_b64 vcc, exec, s[10:11]
	s_cbranch_vccnz .LBB118_109
; %bb.108:
	buffer_load_dword v111, v115, s[0:3], 0 offen
	buffer_load_dword v112, v115, s[0:3], 0 offen offset:4
	ds_read_b64 v[116:117], v114
	s_waitcnt vmcnt(0) lgkmcnt(0)
	v_mul_f64 v[111:112], v[111:112], v[116:117]
	s_cbranch_execz .LBB118_110
	s_branch .LBB118_111
.LBB118_109:
                                        ; implicit-def: $vgpr111_vgpr112
.LBB118_110:
	ds_read_b64 v[111:112], v114
.LBB118_111:
	s_and_saveexec_b64 s[12:13], s[4:5]
	s_cbranch_execz .LBB118_115
; %bb.112:
	v_subrev_u32_e32 v116, 43, v0
	s_movk_i32 s58, 0x318
	s_mov_b64 s[4:5], 0
.LBB118_113:                            ; =>This Inner Loop Header: Depth=1
	v_mov_b32_e32 v118, s57
	buffer_load_dword v117, v118, s[0:3], 0 offen
	s_nop 0
	buffer_load_dword v118, v118, s[0:3], 0 offen offset:4
	v_mov_b32_e32 v119, s58
	ds_read_b64 v[119:120], v119
	v_add_u32_e32 v116, -1, v116
	s_add_i32 s58, s58, 8
	s_add_i32 s57, s57, 8
	v_cmp_eq_u32_e32 vcc, 0, v116
	s_or_b64 s[4:5], vcc, s[4:5]
	s_waitcnt vmcnt(0) lgkmcnt(0)
	v_fma_f64 v[111:112], v[117:118], v[119:120], v[111:112]
	s_andn2_b64 exec, exec, s[4:5]
	s_cbranch_execnz .LBB118_113
; %bb.114:
	s_or_b64 exec, exec, s[4:5]
.LBB118_115:
	s_or_b64 exec, exec, s[12:13]
	v_mov_b32_e32 v116, 0
	ds_read_b64 v[116:117], v116 offset:336
	s_waitcnt lgkmcnt(0)
	v_mul_f64 v[111:112], v[111:112], v[116:117]
	buffer_store_dword v112, off, s[0:3], 0 offset:340
	buffer_store_dword v111, off, s[0:3], 0 offset:336
.LBB118_116:
	;; [unrolled: 59-line block ×8, first 2 shown]
	s_or_b64 exec, exec, s[8:9]
	buffer_load_dword v111, off, s[0:3], 0 offset:280
	buffer_load_dword v112, off, s[0:3], 0 offset:284
	v_cmp_lt_u32_e64 s[4:5], 35, v0
	s_waitcnt vmcnt(0)
	ds_write_b64 v114, v[111:112]
	s_waitcnt lgkmcnt(0)
	; wave barrier
	s_and_saveexec_b64 s[8:9], s[4:5]
	s_cbranch_execz .LBB118_186
; %bb.177:
	s_andn2_b64 vcc, exec, s[10:11]
	s_cbranch_vccnz .LBB118_179
; %bb.178:
	buffer_load_dword v111, v115, s[0:3], 0 offen
	buffer_load_dword v112, v115, s[0:3], 0 offen offset:4
	ds_read_b64 v[116:117], v114
	s_waitcnt vmcnt(0) lgkmcnt(0)
	v_mul_f64 v[111:112], v[111:112], v[116:117]
	s_cbranch_execz .LBB118_180
	s_branch .LBB118_181
.LBB118_179:
                                        ; implicit-def: $vgpr111_vgpr112
.LBB118_180:
	ds_read_b64 v[111:112], v114
.LBB118_181:
	s_and_saveexec_b64 s[12:13], s[6:7]
	s_cbranch_execz .LBB118_185
; %bb.182:
	v_subrev_u32_e32 v116, 36, v0
	s_movk_i32 s51, 0x2e0
	s_mov_b64 s[6:7], 0
.LBB118_183:                            ; =>This Inner Loop Header: Depth=1
	v_mov_b32_e32 v119, s50
	buffer_load_dword v117, v119, s[0:3], 0 offen
	buffer_load_dword v118, v119, s[0:3], 0 offen offset:4
	v_mov_b32_e32 v119, s51
	ds_read_b64 v[119:120], v119
	v_add_u32_e32 v116, -1, v116
	s_add_i32 s51, s51, 8
	s_add_i32 s50, s50, 8
	v_cmp_eq_u32_e32 vcc, 0, v116
	s_or_b64 s[6:7], vcc, s[6:7]
	s_waitcnt vmcnt(0) lgkmcnt(0)
	v_fma_f64 v[111:112], v[117:118], v[119:120], v[111:112]
	s_andn2_b64 exec, exec, s[6:7]
	s_cbranch_execnz .LBB118_183
; %bb.184:
	s_or_b64 exec, exec, s[6:7]
.LBB118_185:
	s_or_b64 exec, exec, s[12:13]
	v_mov_b32_e32 v116, 0
	ds_read_b64 v[116:117], v116 offset:280
	s_waitcnt lgkmcnt(0)
	v_mul_f64 v[111:112], v[111:112], v[116:117]
	buffer_store_dword v112, off, s[0:3], 0 offset:284
	buffer_store_dword v111, off, s[0:3], 0 offset:280
.LBB118_186:
	s_or_b64 exec, exec, s[8:9]
	buffer_load_dword v111, off, s[0:3], 0 offset:272
	buffer_load_dword v112, off, s[0:3], 0 offset:276
	v_cmp_lt_u32_e64 s[6:7], 34, v0
	s_waitcnt vmcnt(0)
	ds_write_b64 v114, v[111:112]
	s_waitcnt lgkmcnt(0)
	; wave barrier
	s_and_saveexec_b64 s[8:9], s[6:7]
	s_cbranch_execz .LBB118_196
; %bb.187:
	s_andn2_b64 vcc, exec, s[10:11]
	s_cbranch_vccnz .LBB118_189
; %bb.188:
	buffer_load_dword v111, v115, s[0:3], 0 offen
	buffer_load_dword v112, v115, s[0:3], 0 offen offset:4
	ds_read_b64 v[116:117], v114
	s_waitcnt vmcnt(0) lgkmcnt(0)
	v_mul_f64 v[111:112], v[111:112], v[116:117]
	s_cbranch_execz .LBB118_190
	s_branch .LBB118_191
.LBB118_189:
                                        ; implicit-def: $vgpr111_vgpr112
.LBB118_190:
	ds_read_b64 v[111:112], v114
.LBB118_191:
	s_and_saveexec_b64 s[12:13], s[4:5]
	s_cbranch_execz .LBB118_195
; %bb.192:
	v_subrev_u32_e32 v116, 35, v0
	s_movk_i32 s50, 0x2d8
	s_mov_b64 s[4:5], 0
.LBB118_193:                            ; =>This Inner Loop Header: Depth=1
	v_mov_b32_e32 v119, s49
	buffer_load_dword v117, v119, s[0:3], 0 offen
	buffer_load_dword v118, v119, s[0:3], 0 offen offset:4
	v_mov_b32_e32 v119, s50
	ds_read_b64 v[119:120], v119
	v_add_u32_e32 v116, -1, v116
	s_add_i32 s50, s50, 8
	s_add_i32 s49, s49, 8
	v_cmp_eq_u32_e32 vcc, 0, v116
	s_or_b64 s[4:5], vcc, s[4:5]
	s_waitcnt vmcnt(0) lgkmcnt(0)
	v_fma_f64 v[111:112], v[117:118], v[119:120], v[111:112]
	s_andn2_b64 exec, exec, s[4:5]
	s_cbranch_execnz .LBB118_193
; %bb.194:
	s_or_b64 exec, exec, s[4:5]
.LBB118_195:
	s_or_b64 exec, exec, s[12:13]
	v_mov_b32_e32 v116, 0
	ds_read_b64 v[116:117], v116 offset:272
	s_waitcnt lgkmcnt(0)
	v_mul_f64 v[111:112], v[111:112], v[116:117]
	buffer_store_dword v112, off, s[0:3], 0 offset:276
	buffer_store_dword v111, off, s[0:3], 0 offset:272
.LBB118_196:
	;; [unrolled: 58-line block ×20, first 2 shown]
	s_or_b64 exec, exec, s[8:9]
	buffer_load_dword v111, off, s[0:3], 0 offset:120
	buffer_load_dword v112, off, s[0:3], 0 offset:124
	v_cmp_lt_u32_e64 s[4:5], 15, v0
	s_waitcnt vmcnt(0)
	ds_write_b64 v114, v[111:112]
	s_waitcnt lgkmcnt(0)
	; wave barrier
	s_and_saveexec_b64 s[8:9], s[4:5]
	s_cbranch_execz .LBB118_386
; %bb.377:
	s_andn2_b64 vcc, exec, s[10:11]
	s_cbranch_vccnz .LBB118_379
; %bb.378:
	buffer_load_dword v111, v115, s[0:3], 0 offen
	buffer_load_dword v112, v115, s[0:3], 0 offen offset:4
	ds_read_b64 v[116:117], v114
	s_waitcnt vmcnt(0) lgkmcnt(0)
	v_mul_f64 v[111:112], v[111:112], v[116:117]
	s_cbranch_execz .LBB118_380
	s_branch .LBB118_381
.LBB118_379:
                                        ; implicit-def: $vgpr111_vgpr112
.LBB118_380:
	ds_read_b64 v[111:112], v114
.LBB118_381:
	s_and_saveexec_b64 s[12:13], s[6:7]
	s_cbranch_execz .LBB118_385
; %bb.382:
	v_add_u32_e32 v116, -16, v0
	s_movk_i32 s30, 0x240
	s_mov_b64 s[6:7], 0
.LBB118_383:                            ; =>This Inner Loop Header: Depth=1
	v_mov_b32_e32 v119, s29
	buffer_load_dword v117, v119, s[0:3], 0 offen
	buffer_load_dword v118, v119, s[0:3], 0 offen offset:4
	v_mov_b32_e32 v119, s30
	ds_read_b64 v[119:120], v119
	v_add_u32_e32 v116, -1, v116
	s_add_i32 s30, s30, 8
	s_add_i32 s29, s29, 8
	v_cmp_eq_u32_e32 vcc, 0, v116
	s_or_b64 s[6:7], vcc, s[6:7]
	s_waitcnt vmcnt(0) lgkmcnt(0)
	v_fma_f64 v[111:112], v[117:118], v[119:120], v[111:112]
	s_andn2_b64 exec, exec, s[6:7]
	s_cbranch_execnz .LBB118_383
; %bb.384:
	s_or_b64 exec, exec, s[6:7]
.LBB118_385:
	s_or_b64 exec, exec, s[12:13]
	v_mov_b32_e32 v116, 0
	ds_read_b64 v[116:117], v116 offset:120
	s_waitcnt lgkmcnt(0)
	v_mul_f64 v[111:112], v[111:112], v[116:117]
	buffer_store_dword v112, off, s[0:3], 0 offset:124
	buffer_store_dword v111, off, s[0:3], 0 offset:120
.LBB118_386:
	s_or_b64 exec, exec, s[8:9]
	buffer_load_dword v111, off, s[0:3], 0 offset:112
	buffer_load_dword v112, off, s[0:3], 0 offset:116
	v_cmp_lt_u32_e64 s[6:7], 14, v0
	s_waitcnt vmcnt(0)
	ds_write_b64 v114, v[111:112]
	s_waitcnt lgkmcnt(0)
	; wave barrier
	s_and_saveexec_b64 s[8:9], s[6:7]
	s_cbranch_execz .LBB118_396
; %bb.387:
	s_andn2_b64 vcc, exec, s[10:11]
	s_cbranch_vccnz .LBB118_389
; %bb.388:
	buffer_load_dword v111, v115, s[0:3], 0 offen
	buffer_load_dword v112, v115, s[0:3], 0 offen offset:4
	ds_read_b64 v[116:117], v114
	s_waitcnt vmcnt(0) lgkmcnt(0)
	v_mul_f64 v[111:112], v[111:112], v[116:117]
	s_cbranch_execz .LBB118_390
	s_branch .LBB118_391
.LBB118_389:
                                        ; implicit-def: $vgpr111_vgpr112
.LBB118_390:
	ds_read_b64 v[111:112], v114
.LBB118_391:
	s_and_saveexec_b64 s[12:13], s[4:5]
	s_cbranch_execz .LBB118_395
; %bb.392:
	v_add_u32_e32 v116, -15, v0
	s_movk_i32 s29, 0x238
	s_mov_b64 s[4:5], 0
.LBB118_393:                            ; =>This Inner Loop Header: Depth=1
	v_mov_b32_e32 v119, s28
	buffer_load_dword v117, v119, s[0:3], 0 offen
	buffer_load_dword v118, v119, s[0:3], 0 offen offset:4
	v_mov_b32_e32 v119, s29
	ds_read_b64 v[119:120], v119
	v_add_u32_e32 v116, -1, v116
	s_add_i32 s29, s29, 8
	s_add_i32 s28, s28, 8
	v_cmp_eq_u32_e32 vcc, 0, v116
	s_or_b64 s[4:5], vcc, s[4:5]
	s_waitcnt vmcnt(0) lgkmcnt(0)
	v_fma_f64 v[111:112], v[117:118], v[119:120], v[111:112]
	s_andn2_b64 exec, exec, s[4:5]
	s_cbranch_execnz .LBB118_393
; %bb.394:
	s_or_b64 exec, exec, s[4:5]
.LBB118_395:
	s_or_b64 exec, exec, s[12:13]
	v_mov_b32_e32 v116, 0
	ds_read_b64 v[116:117], v116 offset:112
	s_waitcnt lgkmcnt(0)
	v_mul_f64 v[111:112], v[111:112], v[116:117]
	buffer_store_dword v112, off, s[0:3], 0 offset:116
	buffer_store_dword v111, off, s[0:3], 0 offset:112
.LBB118_396:
	;; [unrolled: 58-line block ×15, first 2 shown]
	s_or_b64 exec, exec, s[8:9]
	buffer_load_dword v111, off, s[0:3], 0
	buffer_load_dword v112, off, s[0:3], 0 offset:4
	v_cmp_ne_u32_e32 vcc, 0, v0
	s_waitcnt vmcnt(0)
	ds_write_b64 v114, v[111:112]
	s_waitcnt lgkmcnt(0)
	; wave barrier
	s_and_saveexec_b64 s[6:7], vcc
	s_cbranch_execz .LBB118_536
; %bb.527:
	s_andn2_b64 vcc, exec, s[10:11]
	s_cbranch_vccnz .LBB118_529
; %bb.528:
	buffer_load_dword v111, v115, s[0:3], 0 offen
	buffer_load_dword v112, v115, s[0:3], 0 offen offset:4
	ds_read_b64 v[116:117], v114
	s_waitcnt vmcnt(0) lgkmcnt(0)
	v_mul_f64 v[111:112], v[111:112], v[116:117]
	s_cbranch_execz .LBB118_530
	s_branch .LBB118_531
.LBB118_529:
                                        ; implicit-def: $vgpr111_vgpr112
.LBB118_530:
	ds_read_b64 v[111:112], v114
.LBB118_531:
	s_and_saveexec_b64 s[8:9], s[4:5]
	s_cbranch_execz .LBB118_535
; %bb.532:
	v_add_u32_e32 v116, -1, v0
	s_movk_i32 s12, 0x1c8
	s_mov_b64 s[4:5], 0
.LBB118_533:                            ; =>This Inner Loop Header: Depth=1
	v_mov_b32_e32 v119, s14
	buffer_load_dword v117, v119, s[0:3], 0 offen
	buffer_load_dword v118, v119, s[0:3], 0 offen offset:4
	v_mov_b32_e32 v119, s12
	ds_read_b64 v[119:120], v119
	v_add_u32_e32 v116, -1, v116
	s_add_i32 s12, s12, 8
	s_add_i32 s14, s14, 8
	v_cmp_eq_u32_e32 vcc, 0, v116
	s_or_b64 s[4:5], vcc, s[4:5]
	s_waitcnt vmcnt(0) lgkmcnt(0)
	v_fma_f64 v[111:112], v[117:118], v[119:120], v[111:112]
	s_andn2_b64 exec, exec, s[4:5]
	s_cbranch_execnz .LBB118_533
; %bb.534:
	s_or_b64 exec, exec, s[4:5]
.LBB118_535:
	s_or_b64 exec, exec, s[8:9]
	v_mov_b32_e32 v116, 0
	ds_read_b64 v[116:117], v116
	s_waitcnt lgkmcnt(0)
	v_mul_f64 v[111:112], v[111:112], v[116:117]
	buffer_store_dword v112, off, s[0:3], 0 offset:4
	buffer_store_dword v111, off, s[0:3], 0
.LBB118_536:
	s_or_b64 exec, exec, s[6:7]
	s_mov_b64 s[4:5], 0
.LBB118_537:
	s_and_b64 vcc, exec, s[4:5]
	s_cbranch_vccz .LBB118_1069
; %bb.538:
	buffer_load_dword v111, off, s[0:3], 0 offset:8
	buffer_load_dword v112, off, s[0:3], 0 offset:12
	v_cmp_eq_u32_e64 s[6:7], 0, v0
	s_waitcnt vmcnt(0)
	ds_write_b64 v114, v[111:112]
	s_waitcnt lgkmcnt(0)
	; wave barrier
	s_and_saveexec_b64 s[4:5], s[6:7]
	s_cbranch_execz .LBB118_544
; %bb.539:
	s_and_b64 vcc, exec, s[10:11]
	s_cbranch_vccz .LBB118_541
; %bb.540:
	buffer_load_dword v111, v115, s[0:3], 0 offen
	buffer_load_dword v112, v115, s[0:3], 0 offen offset:4
	ds_read_b64 v[116:117], v114
	s_waitcnt vmcnt(0) lgkmcnt(0)
	v_mul_f64 v[111:112], v[111:112], v[116:117]
	s_cbranch_execz .LBB118_542
	s_branch .LBB118_543
.LBB118_541:
                                        ; implicit-def: $vgpr111_vgpr112
.LBB118_542:
	ds_read_b64 v[111:112], v114
.LBB118_543:
	v_mov_b32_e32 v116, 0
	ds_read_b64 v[116:117], v116 offset:8
	s_waitcnt lgkmcnt(0)
	v_mul_f64 v[111:112], v[111:112], v[116:117]
	buffer_store_dword v112, off, s[0:3], 0 offset:12
	buffer_store_dword v111, off, s[0:3], 0 offset:8
.LBB118_544:
	s_or_b64 exec, exec, s[4:5]
	buffer_load_dword v111, off, s[0:3], 0 offset:16
	buffer_load_dword v112, off, s[0:3], 0 offset:20
	v_cndmask_b32_e64 v116, 0, 1, s[10:11]
	v_cmp_gt_u32_e32 vcc, 2, v0
	v_cmp_ne_u32_e64 s[4:5], 1, v116
	s_waitcnt vmcnt(0)
	ds_write_b64 v114, v[111:112]
	s_waitcnt lgkmcnt(0)
	; wave barrier
	s_and_saveexec_b64 s[8:9], vcc
	s_cbranch_execz .LBB118_550
; %bb.545:
	s_and_b64 vcc, exec, s[4:5]
	s_cbranch_vccnz .LBB118_547
; %bb.546:
	buffer_load_dword v111, v115, s[0:3], 0 offen
	buffer_load_dword v112, v115, s[0:3], 0 offen offset:4
	ds_read_b64 v[116:117], v114
	s_waitcnt vmcnt(0) lgkmcnt(0)
	v_mul_f64 v[111:112], v[111:112], v[116:117]
	s_cbranch_execz .LBB118_548
	s_branch .LBB118_549
.LBB118_547:
                                        ; implicit-def: $vgpr111_vgpr112
.LBB118_548:
	ds_read_b64 v[111:112], v114
.LBB118_549:
	buffer_load_dword v120, off, s[0:3], 0 offset:8
	buffer_load_dword v121, off, s[0:3], 0 offset:12
	v_mov_b32_e32 v116, 0
	ds_read2_b64 v[116:119], v116 offset0:2 offset1:57
	s_waitcnt vmcnt(0) lgkmcnt(0)
	v_fma_f64 v[118:119], v[120:121], v[118:119], v[111:112]
	v_cndmask_b32_e64 v112, v112, v119, s[6:7]
	v_cndmask_b32_e64 v111, v111, v118, s[6:7]
	v_mul_f64 v[111:112], v[111:112], v[116:117]
	buffer_store_dword v112, off, s[0:3], 0 offset:20
	buffer_store_dword v111, off, s[0:3], 0 offset:16
.LBB118_550:
	s_or_b64 exec, exec, s[8:9]
	buffer_load_dword v111, off, s[0:3], 0 offset:24
	buffer_load_dword v112, off, s[0:3], 0 offset:28
	v_cmp_gt_u32_e32 vcc, 3, v0
	s_waitcnt vmcnt(0)
	ds_write_b64 v114, v[111:112]
	s_waitcnt lgkmcnt(0)
	; wave barrier
	s_and_saveexec_b64 s[8:9], vcc
	s_cbranch_execz .LBB118_558
; %bb.551:
	s_and_b64 vcc, exec, s[4:5]
	s_cbranch_vccnz .LBB118_553
; %bb.552:
	buffer_load_dword v111, v115, s[0:3], 0 offen
	buffer_load_dword v112, v115, s[0:3], 0 offen offset:4
	ds_read_b64 v[116:117], v114
	s_waitcnt vmcnt(0) lgkmcnt(0)
	v_mul_f64 v[111:112], v[111:112], v[116:117]
	s_cbranch_execz .LBB118_554
	s_branch .LBB118_555
.LBB118_553:
                                        ; implicit-def: $vgpr111_vgpr112
.LBB118_554:
	ds_read_b64 v[111:112], v114
.LBB118_555:
	v_cmp_ne_u32_e32 vcc, 2, v0
	s_and_saveexec_b64 s[10:11], vcc
	s_cbranch_execz .LBB118_557
; %bb.556:
	buffer_load_dword v116, v115, s[0:3], 0 offen offset:8
	buffer_load_dword v117, v115, s[0:3], 0 offen offset:12
	buffer_load_dword v118, off, s[0:3], 0 offset:16
	buffer_load_dword v119, off, s[0:3], 0 offset:20
	ds_read_b64 v[120:121], v114 offset:8
	v_mov_b32_e32 v122, 0
	ds_read_b64 v[122:123], v122 offset:464
	s_waitcnt vmcnt(2) lgkmcnt(1)
	v_fma_f64 v[111:112], v[116:117], v[120:121], v[111:112]
	s_waitcnt vmcnt(0) lgkmcnt(0)
	v_fma_f64 v[116:117], v[118:119], v[122:123], v[111:112]
	v_cndmask_b32_e64 v112, v112, v117, s[6:7]
	v_cndmask_b32_e64 v111, v111, v116, s[6:7]
.LBB118_557:
	s_or_b64 exec, exec, s[10:11]
	v_mov_b32_e32 v116, 0
	ds_read_b64 v[116:117], v116 offset:24
	s_waitcnt lgkmcnt(0)
	v_mul_f64 v[111:112], v[111:112], v[116:117]
	buffer_store_dword v112, off, s[0:3], 0 offset:28
	buffer_store_dword v111, off, s[0:3], 0 offset:24
.LBB118_558:
	s_or_b64 exec, exec, s[8:9]
	buffer_load_dword v111, off, s[0:3], 0 offset:32
	buffer_load_dword v112, off, s[0:3], 0 offset:36
	v_cmp_gt_u32_e32 vcc, 4, v0
	s_waitcnt vmcnt(0)
	ds_write_b64 v114, v[111:112]
	s_waitcnt lgkmcnt(0)
	; wave barrier
	s_and_saveexec_b64 s[6:7], vcc
	s_cbranch_execz .LBB118_568
; %bb.559:
	s_and_b64 vcc, exec, s[4:5]
	s_cbranch_vccnz .LBB118_561
; %bb.560:
	buffer_load_dword v111, v115, s[0:3], 0 offen
	buffer_load_dword v112, v115, s[0:3], 0 offen offset:4
	ds_read_b64 v[116:117], v114
	s_waitcnt vmcnt(0) lgkmcnt(0)
	v_mul_f64 v[111:112], v[111:112], v[116:117]
	s_cbranch_execz .LBB118_562
	s_branch .LBB118_563
.LBB118_561:
                                        ; implicit-def: $vgpr111_vgpr112
.LBB118_562:
	ds_read_b64 v[111:112], v114
.LBB118_563:
	v_cmp_ne_u32_e32 vcc, 3, v0
	s_and_saveexec_b64 s[8:9], vcc
	s_cbranch_execz .LBB118_567
; %bb.564:
	s_mov_b32 s10, 0
	v_add_u32_e32 v116, 0x1c8, v113
	v_add3_u32 v117, v113, s10, 8
	s_mov_b64 s[10:11], 0
	v_mov_b32_e32 v118, v0
.LBB118_565:                            ; =>This Inner Loop Header: Depth=1
	buffer_load_dword v119, v117, s[0:3], 0 offen
	buffer_load_dword v120, v117, s[0:3], 0 offen offset:4
	ds_read_b64 v[121:122], v116
	v_add_u32_e32 v118, 1, v118
	v_cmp_lt_u32_e32 vcc, 2, v118
	v_add_u32_e32 v116, 8, v116
	s_or_b64 s[10:11], vcc, s[10:11]
	v_add_u32_e32 v117, 8, v117
	s_waitcnt vmcnt(0) lgkmcnt(0)
	v_fma_f64 v[111:112], v[119:120], v[121:122], v[111:112]
	s_andn2_b64 exec, exec, s[10:11]
	s_cbranch_execnz .LBB118_565
; %bb.566:
	s_or_b64 exec, exec, s[10:11]
.LBB118_567:
	s_or_b64 exec, exec, s[8:9]
	v_mov_b32_e32 v116, 0
	ds_read_b64 v[116:117], v116 offset:32
	s_waitcnt lgkmcnt(0)
	v_mul_f64 v[111:112], v[111:112], v[116:117]
	buffer_store_dword v112, off, s[0:3], 0 offset:36
	buffer_store_dword v111, off, s[0:3], 0 offset:32
.LBB118_568:
	s_or_b64 exec, exec, s[6:7]
	buffer_load_dword v111, off, s[0:3], 0 offset:40
	buffer_load_dword v112, off, s[0:3], 0 offset:44
	v_cmp_gt_u32_e32 vcc, 5, v0
	s_waitcnt vmcnt(0)
	ds_write_b64 v114, v[111:112]
	s_waitcnt lgkmcnt(0)
	; wave barrier
	s_and_saveexec_b64 s[6:7], vcc
	s_cbranch_execz .LBB118_578
; %bb.569:
	s_and_b64 vcc, exec, s[4:5]
	s_cbranch_vccnz .LBB118_571
; %bb.570:
	buffer_load_dword v111, v115, s[0:3], 0 offen
	buffer_load_dword v112, v115, s[0:3], 0 offen offset:4
	ds_read_b64 v[116:117], v114
	s_waitcnt vmcnt(0) lgkmcnt(0)
	v_mul_f64 v[111:112], v[111:112], v[116:117]
	s_cbranch_execz .LBB118_572
	s_branch .LBB118_573
.LBB118_571:
                                        ; implicit-def: $vgpr111_vgpr112
.LBB118_572:
	ds_read_b64 v[111:112], v114
.LBB118_573:
	v_cmp_ne_u32_e32 vcc, 4, v0
	s_and_saveexec_b64 s[8:9], vcc
	s_cbranch_execz .LBB118_577
; %bb.574:
	s_mov_b32 s10, 0
	v_add_u32_e32 v116, 0x1c8, v113
	v_add3_u32 v117, v113, s10, 8
	s_mov_b64 s[10:11], 0
	v_mov_b32_e32 v118, v0
.LBB118_575:                            ; =>This Inner Loop Header: Depth=1
	buffer_load_dword v119, v117, s[0:3], 0 offen
	buffer_load_dword v120, v117, s[0:3], 0 offen offset:4
	ds_read_b64 v[121:122], v116
	v_add_u32_e32 v118, 1, v118
	v_cmp_lt_u32_e32 vcc, 3, v118
	v_add_u32_e32 v116, 8, v116
	s_or_b64 s[10:11], vcc, s[10:11]
	v_add_u32_e32 v117, 8, v117
	s_waitcnt vmcnt(0) lgkmcnt(0)
	v_fma_f64 v[111:112], v[119:120], v[121:122], v[111:112]
	s_andn2_b64 exec, exec, s[10:11]
	s_cbranch_execnz .LBB118_575
; %bb.576:
	s_or_b64 exec, exec, s[10:11]
.LBB118_577:
	s_or_b64 exec, exec, s[8:9]
	v_mov_b32_e32 v116, 0
	ds_read_b64 v[116:117], v116 offset:40
	s_waitcnt lgkmcnt(0)
	v_mul_f64 v[111:112], v[111:112], v[116:117]
	buffer_store_dword v112, off, s[0:3], 0 offset:44
	buffer_store_dword v111, off, s[0:3], 0 offset:40
.LBB118_578:
	;; [unrolled: 59-line block ×44, first 2 shown]
	s_or_b64 exec, exec, s[6:7]
	buffer_load_dword v111, off, s[0:3], 0 offset:384
	buffer_load_dword v112, off, s[0:3], 0 offset:388
	v_cmp_gt_u32_e32 vcc, 48, v0
	s_waitcnt vmcnt(0)
	ds_write_b64 v114, v[111:112]
	s_waitcnt lgkmcnt(0)
	; wave barrier
	s_and_saveexec_b64 s[6:7], vcc
	s_cbranch_execz .LBB118_1008
; %bb.999:
	s_and_b64 vcc, exec, s[4:5]
	s_cbranch_vccnz .LBB118_1001
; %bb.1000:
	buffer_load_dword v111, v115, s[0:3], 0 offen
	buffer_load_dword v112, v115, s[0:3], 0 offen offset:4
	ds_read_b64 v[116:117], v114
	s_waitcnt vmcnt(0) lgkmcnt(0)
	v_mul_f64 v[111:112], v[111:112], v[116:117]
	s_cbranch_execz .LBB118_1002
	s_branch .LBB118_1003
.LBB118_1001:
                                        ; implicit-def: $vgpr111_vgpr112
.LBB118_1002:
	ds_read_b64 v[111:112], v114
.LBB118_1003:
	v_cmp_ne_u32_e32 vcc, 47, v0
	s_and_saveexec_b64 s[8:9], vcc
	s_cbranch_execz .LBB118_1007
; %bb.1004:
	s_mov_b32 s10, 0
	v_add_u32_e32 v116, 0x1c8, v113
	v_add3_u32 v117, v113, s10, 8
	s_mov_b64 s[10:11], 0
	v_mov_b32_e32 v118, v0
.LBB118_1005:                           ; =>This Inner Loop Header: Depth=1
	buffer_load_dword v119, v117, s[0:3], 0 offen
	buffer_load_dword v120, v117, s[0:3], 0 offen offset:4
	ds_read_b64 v[121:122], v116
	v_add_u32_e32 v118, 1, v118
	v_cmp_lt_u32_e32 vcc, 46, v118
	v_add_u32_e32 v116, 8, v116
	s_or_b64 s[10:11], vcc, s[10:11]
	v_add_u32_e32 v117, 8, v117
	s_waitcnt vmcnt(0) lgkmcnt(0)
	v_fma_f64 v[111:112], v[119:120], v[121:122], v[111:112]
	s_andn2_b64 exec, exec, s[10:11]
	s_cbranch_execnz .LBB118_1005
; %bb.1006:
	s_or_b64 exec, exec, s[10:11]
.LBB118_1007:
	s_or_b64 exec, exec, s[8:9]
	v_mov_b32_e32 v116, 0
	ds_read_b64 v[116:117], v116 offset:384
	s_waitcnt lgkmcnt(0)
	v_mul_f64 v[111:112], v[111:112], v[116:117]
	buffer_store_dword v112, off, s[0:3], 0 offset:388
	buffer_store_dword v111, off, s[0:3], 0 offset:384
.LBB118_1008:
	s_or_b64 exec, exec, s[6:7]
	buffer_load_dword v111, off, s[0:3], 0 offset:392
	buffer_load_dword v112, off, s[0:3], 0 offset:396
	v_cmp_gt_u32_e32 vcc, 49, v0
	s_waitcnt vmcnt(0)
	ds_write_b64 v114, v[111:112]
	s_waitcnt lgkmcnt(0)
	; wave barrier
	s_and_saveexec_b64 s[6:7], vcc
	s_cbranch_execz .LBB118_1018
; %bb.1009:
	s_and_b64 vcc, exec, s[4:5]
	s_cbranch_vccnz .LBB118_1011
; %bb.1010:
	buffer_load_dword v111, v115, s[0:3], 0 offen
	buffer_load_dword v112, v115, s[0:3], 0 offen offset:4
	ds_read_b64 v[116:117], v114
	s_waitcnt vmcnt(0) lgkmcnt(0)
	v_mul_f64 v[111:112], v[111:112], v[116:117]
	s_cbranch_execz .LBB118_1012
	s_branch .LBB118_1013
.LBB118_1011:
                                        ; implicit-def: $vgpr111_vgpr112
.LBB118_1012:
	ds_read_b64 v[111:112], v114
.LBB118_1013:
	v_cmp_ne_u32_e32 vcc, 48, v0
	s_and_saveexec_b64 s[8:9], vcc
	s_cbranch_execz .LBB118_1017
; %bb.1014:
	s_mov_b32 s10, 0
	v_add_u32_e32 v116, 0x1c8, v113
	v_add3_u32 v117, v113, s10, 8
	s_mov_b64 s[10:11], 0
	v_mov_b32_e32 v118, v0
.LBB118_1015:                           ; =>This Inner Loop Header: Depth=1
	buffer_load_dword v119, v117, s[0:3], 0 offen
	buffer_load_dword v120, v117, s[0:3], 0 offen offset:4
	ds_read_b64 v[121:122], v116
	v_add_u32_e32 v118, 1, v118
	v_cmp_lt_u32_e32 vcc, 47, v118
	v_add_u32_e32 v116, 8, v116
	s_or_b64 s[10:11], vcc, s[10:11]
	v_add_u32_e32 v117, 8, v117
	s_waitcnt vmcnt(0) lgkmcnt(0)
	v_fma_f64 v[111:112], v[119:120], v[121:122], v[111:112]
	s_andn2_b64 exec, exec, s[10:11]
	s_cbranch_execnz .LBB118_1015
; %bb.1016:
	s_or_b64 exec, exec, s[10:11]
.LBB118_1017:
	s_or_b64 exec, exec, s[8:9]
	v_mov_b32_e32 v116, 0
	ds_read_b64 v[116:117], v116 offset:392
	s_waitcnt lgkmcnt(0)
	v_mul_f64 v[111:112], v[111:112], v[116:117]
	buffer_store_dword v112, off, s[0:3], 0 offset:396
	buffer_store_dword v111, off, s[0:3], 0 offset:392
.LBB118_1018:
	;; [unrolled: 59-line block ×5, first 2 shown]
	s_or_b64 exec, exec, s[6:7]
	buffer_load_dword v111, off, s[0:3], 0 offset:424
	buffer_load_dword v112, off, s[0:3], 0 offset:428
	v_cmp_gt_u32_e64 s[6:7], 53, v0
	s_waitcnt vmcnt(0)
	ds_write_b64 v114, v[111:112]
	s_waitcnt lgkmcnt(0)
	; wave barrier
	s_and_saveexec_b64 s[8:9], s[6:7]
	s_cbranch_execz .LBB118_1058
; %bb.1049:
	s_and_b64 vcc, exec, s[4:5]
	s_cbranch_vccnz .LBB118_1051
; %bb.1050:
	buffer_load_dword v111, v115, s[0:3], 0 offen
	buffer_load_dword v112, v115, s[0:3], 0 offen offset:4
	ds_read_b64 v[116:117], v114
	s_waitcnt vmcnt(0) lgkmcnt(0)
	v_mul_f64 v[111:112], v[111:112], v[116:117]
	s_cbranch_execz .LBB118_1052
	s_branch .LBB118_1053
.LBB118_1051:
                                        ; implicit-def: $vgpr111_vgpr112
.LBB118_1052:
	ds_read_b64 v[111:112], v114
.LBB118_1053:
	v_cmp_ne_u32_e32 vcc, 52, v0
	s_and_saveexec_b64 s[10:11], vcc
	s_cbranch_execz .LBB118_1057
; %bb.1054:
	s_mov_b32 s12, 0
	v_add_u32_e32 v116, 0x1c8, v113
	v_add3_u32 v117, v113, s12, 8
	s_mov_b64 s[12:13], 0
	v_mov_b32_e32 v118, v0
.LBB118_1055:                           ; =>This Inner Loop Header: Depth=1
	buffer_load_dword v119, v117, s[0:3], 0 offen
	buffer_load_dword v120, v117, s[0:3], 0 offen offset:4
	ds_read_b64 v[121:122], v116
	v_add_u32_e32 v118, 1, v118
	v_cmp_lt_u32_e32 vcc, 51, v118
	v_add_u32_e32 v116, 8, v116
	s_or_b64 s[12:13], vcc, s[12:13]
	v_add_u32_e32 v117, 8, v117
	s_waitcnt vmcnt(0) lgkmcnt(0)
	v_fma_f64 v[111:112], v[119:120], v[121:122], v[111:112]
	s_andn2_b64 exec, exec, s[12:13]
	s_cbranch_execnz .LBB118_1055
; %bb.1056:
	s_or_b64 exec, exec, s[12:13]
.LBB118_1057:
	s_or_b64 exec, exec, s[10:11]
	v_mov_b32_e32 v116, 0
	ds_read_b64 v[116:117], v116 offset:424
	s_waitcnt lgkmcnt(0)
	v_mul_f64 v[111:112], v[111:112], v[116:117]
	buffer_store_dword v112, off, s[0:3], 0 offset:428
	buffer_store_dword v111, off, s[0:3], 0 offset:424
.LBB118_1058:
	s_or_b64 exec, exec, s[8:9]
	buffer_load_dword v111, off, s[0:3], 0 offset:432
	buffer_load_dword v112, off, s[0:3], 0 offset:436
	v_cmp_ne_u32_e32 vcc, 54, v0
	s_waitcnt vmcnt(0)
	ds_write_b64 v114, v[111:112]
	s_waitcnt lgkmcnt(0)
	; wave barrier
	s_and_saveexec_b64 s[8:9], vcc
	s_cbranch_execz .LBB118_1068
; %bb.1059:
	s_and_b64 vcc, exec, s[4:5]
	s_cbranch_vccnz .LBB118_1061
; %bb.1060:
	buffer_load_dword v111, v115, s[0:3], 0 offen
	buffer_load_dword v112, v115, s[0:3], 0 offen offset:4
	ds_read_b64 v[115:116], v114
	s_waitcnt vmcnt(0) lgkmcnt(0)
	v_mul_f64 v[111:112], v[111:112], v[115:116]
	s_cbranch_execz .LBB118_1062
	s_branch .LBB118_1063
.LBB118_1061:
                                        ; implicit-def: $vgpr111_vgpr112
.LBB118_1062:
	ds_read_b64 v[111:112], v114
.LBB118_1063:
	s_and_saveexec_b64 s[4:5], s[6:7]
	s_cbranch_execz .LBB118_1067
; %bb.1064:
	s_mov_b32 s6, 0
	v_add_u32_e32 v114, 0x1c8, v113
	v_add3_u32 v113, v113, s6, 8
	s_mov_b64 s[6:7], 0
.LBB118_1065:                           ; =>This Inner Loop Header: Depth=1
	buffer_load_dword v115, v113, s[0:3], 0 offen
	buffer_load_dword v116, v113, s[0:3], 0 offen offset:4
	ds_read_b64 v[117:118], v114
	v_add_u32_e32 v0, 1, v0
	v_cmp_lt_u32_e32 vcc, 52, v0
	v_add_u32_e32 v114, 8, v114
	s_or_b64 s[6:7], vcc, s[6:7]
	v_add_u32_e32 v113, 8, v113
	s_waitcnt vmcnt(0) lgkmcnt(0)
	v_fma_f64 v[111:112], v[115:116], v[117:118], v[111:112]
	s_andn2_b64 exec, exec, s[6:7]
	s_cbranch_execnz .LBB118_1065
; %bb.1066:
	s_or_b64 exec, exec, s[6:7]
.LBB118_1067:
	s_or_b64 exec, exec, s[4:5]
	v_mov_b32_e32 v0, 0
	ds_read_b64 v[113:114], v0 offset:432
	s_waitcnt lgkmcnt(0)
	v_mul_f64 v[111:112], v[111:112], v[113:114]
	buffer_store_dword v112, off, s[0:3], 0 offset:436
	buffer_store_dword v111, off, s[0:3], 0 offset:432
.LBB118_1068:
	s_or_b64 exec, exec, s[8:9]
.LBB118_1069:
	buffer_load_dword v111, off, s[0:3], 0
	buffer_load_dword v112, off, s[0:3], 0 offset:4
	s_waitcnt vmcnt(0)
	flat_store_dwordx2 v[1:2], v[111:112]
	buffer_load_dword v0, off, s[0:3], 0 offset:8
	s_nop 0
	buffer_load_dword v1, off, s[0:3], 0 offset:12
	s_waitcnt vmcnt(0)
	flat_store_dwordx2 v[3:4], v[0:1]
	buffer_load_dword v0, off, s[0:3], 0 offset:16
	s_nop 0
	;; [unrolled: 5-line block ×54, first 2 shown]
	buffer_load_dword v1, off, s[0:3], 0 offset:436
	s_waitcnt vmcnt(0)
	flat_store_dwordx2 v[109:110], v[0:1]
.LBB118_1070:
	s_endpgm
	.section	.rodata,"a",@progbits
	.p2align	6, 0x0
	.amdhsa_kernel _ZN9rocsolver6v33100L18trti2_kernel_smallILi55EdPKPdEEv13rocblas_fill_17rocblas_diagonal_T1_iil
		.amdhsa_group_segment_fixed_size 888
		.amdhsa_private_segment_fixed_size 448
		.amdhsa_kernarg_size 32
		.amdhsa_user_sgpr_count 6
		.amdhsa_user_sgpr_private_segment_buffer 1
		.amdhsa_user_sgpr_dispatch_ptr 0
		.amdhsa_user_sgpr_queue_ptr 0
		.amdhsa_user_sgpr_kernarg_segment_ptr 1
		.amdhsa_user_sgpr_dispatch_id 0
		.amdhsa_user_sgpr_flat_scratch_init 0
		.amdhsa_user_sgpr_private_segment_size 0
		.amdhsa_uses_dynamic_stack 0
		.amdhsa_system_sgpr_private_segment_wavefront_offset 1
		.amdhsa_system_sgpr_workgroup_id_x 1
		.amdhsa_system_sgpr_workgroup_id_y 0
		.amdhsa_system_sgpr_workgroup_id_z 0
		.amdhsa_system_sgpr_workgroup_info 0
		.amdhsa_system_vgpr_workitem_id 0
		.amdhsa_next_free_vgpr 124
		.amdhsa_next_free_sgpr 68
		.amdhsa_reserve_vcc 1
		.amdhsa_reserve_flat_scratch 0
		.amdhsa_float_round_mode_32 0
		.amdhsa_float_round_mode_16_64 0
		.amdhsa_float_denorm_mode_32 3
		.amdhsa_float_denorm_mode_16_64 3
		.amdhsa_dx10_clamp 1
		.amdhsa_ieee_mode 1
		.amdhsa_fp16_overflow 0
		.amdhsa_exception_fp_ieee_invalid_op 0
		.amdhsa_exception_fp_denorm_src 0
		.amdhsa_exception_fp_ieee_div_zero 0
		.amdhsa_exception_fp_ieee_overflow 0
		.amdhsa_exception_fp_ieee_underflow 0
		.amdhsa_exception_fp_ieee_inexact 0
		.amdhsa_exception_int_div_zero 0
	.end_amdhsa_kernel
	.section	.text._ZN9rocsolver6v33100L18trti2_kernel_smallILi55EdPKPdEEv13rocblas_fill_17rocblas_diagonal_T1_iil,"axG",@progbits,_ZN9rocsolver6v33100L18trti2_kernel_smallILi55EdPKPdEEv13rocblas_fill_17rocblas_diagonal_T1_iil,comdat
.Lfunc_end118:
	.size	_ZN9rocsolver6v33100L18trti2_kernel_smallILi55EdPKPdEEv13rocblas_fill_17rocblas_diagonal_T1_iil, .Lfunc_end118-_ZN9rocsolver6v33100L18trti2_kernel_smallILi55EdPKPdEEv13rocblas_fill_17rocblas_diagonal_T1_iil
                                        ; -- End function
	.set _ZN9rocsolver6v33100L18trti2_kernel_smallILi55EdPKPdEEv13rocblas_fill_17rocblas_diagonal_T1_iil.num_vgpr, 124
	.set _ZN9rocsolver6v33100L18trti2_kernel_smallILi55EdPKPdEEv13rocblas_fill_17rocblas_diagonal_T1_iil.num_agpr, 0
	.set _ZN9rocsolver6v33100L18trti2_kernel_smallILi55EdPKPdEEv13rocblas_fill_17rocblas_diagonal_T1_iil.numbered_sgpr, 68
	.set _ZN9rocsolver6v33100L18trti2_kernel_smallILi55EdPKPdEEv13rocblas_fill_17rocblas_diagonal_T1_iil.num_named_barrier, 0
	.set _ZN9rocsolver6v33100L18trti2_kernel_smallILi55EdPKPdEEv13rocblas_fill_17rocblas_diagonal_T1_iil.private_seg_size, 448
	.set _ZN9rocsolver6v33100L18trti2_kernel_smallILi55EdPKPdEEv13rocblas_fill_17rocblas_diagonal_T1_iil.uses_vcc, 1
	.set _ZN9rocsolver6v33100L18trti2_kernel_smallILi55EdPKPdEEv13rocblas_fill_17rocblas_diagonal_T1_iil.uses_flat_scratch, 0
	.set _ZN9rocsolver6v33100L18trti2_kernel_smallILi55EdPKPdEEv13rocblas_fill_17rocblas_diagonal_T1_iil.has_dyn_sized_stack, 0
	.set _ZN9rocsolver6v33100L18trti2_kernel_smallILi55EdPKPdEEv13rocblas_fill_17rocblas_diagonal_T1_iil.has_recursion, 0
	.set _ZN9rocsolver6v33100L18trti2_kernel_smallILi55EdPKPdEEv13rocblas_fill_17rocblas_diagonal_T1_iil.has_indirect_call, 0
	.section	.AMDGPU.csdata,"",@progbits
; Kernel info:
; codeLenInByte = 32720
; TotalNumSgprs: 72
; NumVgprs: 124
; ScratchSize: 448
; MemoryBound: 0
; FloatMode: 240
; IeeeMode: 1
; LDSByteSize: 888 bytes/workgroup (compile time only)
; SGPRBlocks: 8
; VGPRBlocks: 30
; NumSGPRsForWavesPerEU: 72
; NumVGPRsForWavesPerEU: 124
; Occupancy: 2
; WaveLimiterHint : 1
; COMPUTE_PGM_RSRC2:SCRATCH_EN: 1
; COMPUTE_PGM_RSRC2:USER_SGPR: 6
; COMPUTE_PGM_RSRC2:TRAP_HANDLER: 0
; COMPUTE_PGM_RSRC2:TGID_X_EN: 1
; COMPUTE_PGM_RSRC2:TGID_Y_EN: 0
; COMPUTE_PGM_RSRC2:TGID_Z_EN: 0
; COMPUTE_PGM_RSRC2:TIDIG_COMP_CNT: 0
	.section	.text._ZN9rocsolver6v33100L18trti2_kernel_smallILi56EdPKPdEEv13rocblas_fill_17rocblas_diagonal_T1_iil,"axG",@progbits,_ZN9rocsolver6v33100L18trti2_kernel_smallILi56EdPKPdEEv13rocblas_fill_17rocblas_diagonal_T1_iil,comdat
	.globl	_ZN9rocsolver6v33100L18trti2_kernel_smallILi56EdPKPdEEv13rocblas_fill_17rocblas_diagonal_T1_iil ; -- Begin function _ZN9rocsolver6v33100L18trti2_kernel_smallILi56EdPKPdEEv13rocblas_fill_17rocblas_diagonal_T1_iil
	.p2align	8
	.type	_ZN9rocsolver6v33100L18trti2_kernel_smallILi56EdPKPdEEv13rocblas_fill_17rocblas_diagonal_T1_iil,@function
_ZN9rocsolver6v33100L18trti2_kernel_smallILi56EdPKPdEEv13rocblas_fill_17rocblas_diagonal_T1_iil: ; @_ZN9rocsolver6v33100L18trti2_kernel_smallILi56EdPKPdEEv13rocblas_fill_17rocblas_diagonal_T1_iil
; %bb.0:
	s_add_u32 s0, s0, s7
	s_addc_u32 s1, s1, 0
	v_cmp_gt_u32_e32 vcc, 56, v0
	s_and_saveexec_b64 s[8:9], vcc
	s_cbranch_execz .LBB119_1090
; %bb.1:
	s_load_dwordx2 s[12:13], s[4:5], 0x10
	s_load_dwordx4 s[8:11], s[4:5], 0x0
	s_ashr_i32 s7, s6, 31
	s_lshl_b64 s[6:7], s[6:7], 3
	v_lshlrev_b32_e32 v115, 3, v0
	s_waitcnt lgkmcnt(0)
	s_ashr_i32 s5, s12, 31
	s_add_u32 s6, s10, s6
	s_addc_u32 s7, s11, s7
	s_load_dwordx2 s[6:7], s[6:7], 0x0
	s_mov_b32 s4, s12
	s_lshl_b64 s[4:5], s[4:5], 3
	s_waitcnt lgkmcnt(0)
	s_add_u32 s4, s6, s4
	s_addc_u32 s5, s7, s5
	v_mov_b32_e32 v2, s5
	v_add_co_u32_e32 v1, vcc, s4, v115
	v_addc_co_u32_e32 v2, vcc, 0, v2, vcc
	flat_load_dwordx2 v[5:6], v[1:2]
	s_mov_b32 s6, s13
	s_ashr_i32 s7, s13, 31
	s_lshl_b64 s[6:7], s[6:7], 3
	v_mov_b32_e32 v4, s7
	v_add_co_u32_e32 v3, vcc, s6, v1
	v_addc_co_u32_e32 v4, vcc, v2, v4, vcc
	s_add_i32 s6, s13, s13
	v_add_u32_e32 v9, s6, v0
	v_ashrrev_i32_e32 v10, 31, v9
	v_mov_b32_e32 v11, s5
	v_add_u32_e32 v12, s13, v9
	v_ashrrev_i32_e32 v13, 31, v12
	v_mov_b32_e32 v14, s5
	v_mov_b32_e32 v15, s5
	;; [unrolled: 1-line block ×52, first 2 shown]
	s_cmpk_lg_i32 s9, 0x84
	s_cselect_b64 s[10:11], -1, 0
	s_cmpk_eq_i32 s9, 0x84
	s_waitcnt vmcnt(0) lgkmcnt(0)
	buffer_store_dword v6, off, s[0:3], 0 offset:4
	buffer_store_dword v5, off, s[0:3], 0
	flat_load_dwordx2 v[7:8], v[3:4]
	v_lshlrev_b64 v[5:6], 3, v[9:10]
	s_waitcnt vmcnt(0) lgkmcnt(0)
	buffer_store_dword v8, off, s[0:3], 0 offset:12
	buffer_store_dword v7, off, s[0:3], 0 offset:8
	v_add_co_u32_e32 v5, vcc, s4, v5
	v_addc_co_u32_e32 v6, vcc, v11, v6, vcc
	flat_load_dwordx2 v[10:11], v[5:6]
	v_lshlrev_b64 v[7:8], 3, v[12:13]
	s_waitcnt vmcnt(0) lgkmcnt(0)
	buffer_store_dword v11, off, s[0:3], 0 offset:20
	buffer_store_dword v10, off, s[0:3], 0 offset:16
	v_add_co_u32_e32 v7, vcc, s4, v7
	v_addc_co_u32_e32 v8, vcc, v14, v8, vcc
	flat_load_dwordx2 v[13:14], v[7:8]
	v_add_u32_e32 v11, s13, v12
	v_ashrrev_i32_e32 v12, 31, v11
	v_lshlrev_b64 v[9:10], 3, v[11:12]
	s_waitcnt vmcnt(0) lgkmcnt(0)
	buffer_store_dword v14, off, s[0:3], 0 offset:28
	buffer_store_dword v13, off, s[0:3], 0 offset:24
	v_add_co_u32_e32 v9, vcc, s4, v9
	v_addc_co_u32_e32 v10, vcc, v15, v10, vcc
	flat_load_dwordx2 v[13:14], v[9:10]
	v_add_u32_e32 v15, s13, v11
	v_ashrrev_i32_e32 v16, 31, v15
	v_lshlrev_b64 v[11:12], 3, v[15:16]
	v_add_u32_e32 v18, s13, v15
	v_add_co_u32_e32 v11, vcc, s4, v11
	v_addc_co_u32_e32 v12, vcc, v17, v12, vcc
	v_ashrrev_i32_e32 v19, 31, v18
	s_waitcnt vmcnt(0) lgkmcnt(0)
	buffer_store_dword v14, off, s[0:3], 0 offset:36
	buffer_store_dword v13, off, s[0:3], 0 offset:32
	flat_load_dwordx2 v[16:17], v[11:12]
	v_lshlrev_b64 v[13:14], 3, v[18:19]
	s_waitcnt vmcnt(0) lgkmcnt(0)
	buffer_store_dword v17, off, s[0:3], 0 offset:44
	buffer_store_dword v16, off, s[0:3], 0 offset:40
	v_add_co_u32_e32 v13, vcc, s4, v13
	v_addc_co_u32_e32 v14, vcc, v20, v14, vcc
	flat_load_dwordx2 v[19:20], v[13:14]
	v_add_u32_e32 v17, s13, v18
	v_ashrrev_i32_e32 v18, 31, v17
	v_lshlrev_b64 v[15:16], 3, v[17:18]
	s_waitcnt vmcnt(0) lgkmcnt(0)
	buffer_store_dword v20, off, s[0:3], 0 offset:52
	buffer_store_dword v19, off, s[0:3], 0 offset:48
	v_add_co_u32_e32 v15, vcc, s4, v15
	v_addc_co_u32_e32 v16, vcc, v21, v16, vcc
	flat_load_dwordx2 v[19:20], v[15:16]
	v_add_u32_e32 v21, s13, v17
	v_ashrrev_i32_e32 v22, 31, v21
	v_lshlrev_b64 v[17:18], 3, v[21:22]
	v_add_u32_e32 v24, s13, v21
	v_add_co_u32_e32 v17, vcc, s4, v17
	v_addc_co_u32_e32 v18, vcc, v23, v18, vcc
	v_ashrrev_i32_e32 v25, 31, v24
	s_waitcnt vmcnt(0) lgkmcnt(0)
	buffer_store_dword v20, off, s[0:3], 0 offset:60
	buffer_store_dword v19, off, s[0:3], 0 offset:56
	;; [unrolled: 27-line block ×7, first 2 shown]
	flat_load_dwordx2 v[52:53], v[47:48]
	v_lshlrev_b64 v[49:50], 3, v[54:55]
	s_waitcnt vmcnt(0) lgkmcnt(0)
	buffer_store_dword v53, off, s[0:3], 0 offset:188
	buffer_store_dword v52, off, s[0:3], 0 offset:184
	v_add_co_u32_e32 v49, vcc, s4, v49
	v_addc_co_u32_e32 v50, vcc, v56, v50, vcc
	flat_load_dwordx2 v[55:56], v[49:50]
	v_add_u32_e32 v53, s13, v54
	v_ashrrev_i32_e32 v54, 31, v53
	v_lshlrev_b64 v[51:52], 3, v[53:54]
	s_waitcnt vmcnt(0) lgkmcnt(0)
	buffer_store_dword v56, off, s[0:3], 0 offset:196
	buffer_store_dword v55, off, s[0:3], 0 offset:192
	v_add_co_u32_e32 v51, vcc, s4, v51
	v_addc_co_u32_e32 v52, vcc, v57, v52, vcc
	flat_load_dwordx2 v[55:56], v[51:52]
	v_add_u32_e32 v57, s13, v53
	v_ashrrev_i32_e32 v58, 31, v57
	v_lshlrev_b64 v[53:54], 3, v[57:58]
	v_add_u32_e32 v60, s13, v57
	v_add_co_u32_e32 v53, vcc, s4, v53
	v_addc_co_u32_e32 v54, vcc, v59, v54, vcc
	s_waitcnt vmcnt(0) lgkmcnt(0)
	buffer_store_dword v56, off, s[0:3], 0 offset:204
	buffer_store_dword v55, off, s[0:3], 0 offset:200
	flat_load_dwordx2 v[58:59], v[53:54]
	v_ashrrev_i32_e32 v61, 31, v60
	v_lshlrev_b64 v[55:56], 3, v[60:61]
	s_waitcnt vmcnt(0) lgkmcnt(0)
	buffer_store_dword v59, off, s[0:3], 0 offset:212
	buffer_store_dword v58, off, s[0:3], 0 offset:208
	v_add_co_u32_e32 v55, vcc, s4, v55
	v_addc_co_u32_e32 v56, vcc, v62, v56, vcc
	flat_load_dwordx2 v[61:62], v[55:56]
	v_add_u32_e32 v59, s13, v60
	v_ashrrev_i32_e32 v60, 31, v59
	v_lshlrev_b64 v[57:58], 3, v[59:60]
	s_waitcnt vmcnt(0) lgkmcnt(0)
	buffer_store_dword v62, off, s[0:3], 0 offset:220
	buffer_store_dword v61, off, s[0:3], 0 offset:216
	v_add_co_u32_e32 v57, vcc, s4, v57
	v_addc_co_u32_e32 v58, vcc, v63, v58, vcc
	flat_load_dwordx2 v[61:62], v[57:58]
	v_add_u32_e32 v63, s13, v59
	;; [unrolled: 9-line block ×28, first 2 shown]
	v_ashrrev_i32_e32 v112, 31, v111
	v_lshlrev_b64 v[111:112], 3, v[111:112]
	v_mov_b32_e32 v117, s5
	v_add_co_u32_e32 v111, vcc, s4, v111
	v_addc_co_u32_e32 v112, vcc, v117, v112, vcc
	s_waitcnt vmcnt(0) lgkmcnt(0)
	buffer_store_dword v114, off, s[0:3], 0 offset:436
	buffer_store_dword v113, off, s[0:3], 0 offset:432
	flat_load_dwordx2 v[116:117], v[111:112]
	v_mov_b32_e32 v113, 0
	v_mov_b32_e32 v114, 0xbff00000
	s_waitcnt vmcnt(0) lgkmcnt(0)
	buffer_store_dword v117, off, s[0:3], 0 offset:444
	buffer_store_dword v116, off, s[0:3], 0 offset:440
	s_cbranch_scc1 .LBB119_3
; %bb.2:
	v_mov_b32_e32 v113, 0
	v_lshl_add_u32 v124, v0, 3, v113
	buffer_load_dword v113, v124, s[0:3], 0 offen
	buffer_load_dword v114, v124, s[0:3], 0 offen offset:4
	s_waitcnt vmcnt(0)
	v_div_scale_f64 v[116:117], s[4:5], v[113:114], v[113:114], 1.0
	v_rcp_f64_e32 v[118:119], v[116:117]
	v_fma_f64 v[120:121], -v[116:117], v[118:119], 1.0
	v_fma_f64 v[118:119], v[118:119], v[120:121], v[118:119]
	v_div_scale_f64 v[120:121], vcc, 1.0, v[113:114], 1.0
	v_fma_f64 v[122:123], -v[116:117], v[118:119], 1.0
	v_fma_f64 v[118:119], v[118:119], v[122:123], v[118:119]
	v_mul_f64 v[122:123], v[120:121], v[118:119]
	v_fma_f64 v[116:117], -v[116:117], v[122:123], v[120:121]
	v_div_fmas_f64 v[116:117], v[116:117], v[118:119], v[122:123]
	v_div_fixup_f64 v[113:114], v[116:117], v[113:114], 1.0
	buffer_store_dword v113, v124, s[0:3], 0 offen
	buffer_store_dword v114, v124, s[0:3], 0 offen offset:4
	v_xor_b32_e32 v114, 0x80000000, v114
.LBB119_3:
	s_cmpk_eq_i32 s8, 0x79
	v_add_u32_e32 v116, 0x1c0, v115
	v_mov_b32_e32 v117, v115
	s_mov_b64 s[4:5], -1
	ds_write_b64 v115, v[113:114]
	s_cbranch_scc1 .LBB119_547
; %bb.4:
	buffer_load_dword v113, off, s[0:3], 0 offset:432
	buffer_load_dword v114, off, s[0:3], 0 offset:436
	s_movk_i32 s12, 0x48
	s_movk_i32 s13, 0x50
	;; [unrolled: 1-line block ×45, first 2 shown]
	v_cmp_eq_u32_e64 s[4:5], 55, v0
	s_waitcnt vmcnt(0)
	ds_write_b64 v116, v[113:114]
	s_waitcnt lgkmcnt(0)
	; wave barrier
	s_and_saveexec_b64 s[6:7], s[4:5]
	s_cbranch_execz .LBB119_10
; %bb.5:
	s_and_b64 vcc, exec, s[10:11]
	s_cbranch_vccz .LBB119_7
; %bb.6:
	buffer_load_dword v113, v117, s[0:3], 0 offen
	buffer_load_dword v114, v117, s[0:3], 0 offen offset:4
	ds_read_b64 v[118:119], v116
	s_waitcnt vmcnt(0) lgkmcnt(0)
	v_mul_f64 v[113:114], v[113:114], v[118:119]
	s_cbranch_execz .LBB119_8
	s_branch .LBB119_9
.LBB119_7:
                                        ; implicit-def: $vgpr113_vgpr114
.LBB119_8:
	ds_read_b64 v[113:114], v116
.LBB119_9:
	v_mov_b32_e32 v118, 0
	ds_read_b64 v[118:119], v118 offset:432
	s_waitcnt lgkmcnt(0)
	v_mul_f64 v[113:114], v[113:114], v[118:119]
	buffer_store_dword v114, off, s[0:3], 0 offset:436
	buffer_store_dword v113, off, s[0:3], 0 offset:432
.LBB119_10:
	s_or_b64 exec, exec, s[6:7]
	buffer_load_dword v113, off, s[0:3], 0 offset:424
	buffer_load_dword v114, off, s[0:3], 0 offset:428
	s_or_b32 s14, 0, 8
	s_mov_b32 s15, 16
	s_mov_b32 s16, 24
	;; [unrolled: 1-line block ×9, first 2 shown]
	v_cmp_lt_u32_e64 s[6:7], 53, v0
	s_waitcnt vmcnt(0)
	ds_write_b64 v116, v[113:114]
	s_waitcnt lgkmcnt(0)
	; wave barrier
	s_and_saveexec_b64 s[8:9], s[6:7]
	s_cbranch_execz .LBB119_16
; %bb.11:
	s_andn2_b64 vcc, exec, s[10:11]
	s_cbranch_vccnz .LBB119_13
; %bb.12:
	buffer_load_dword v113, v117, s[0:3], 0 offen
	buffer_load_dword v114, v117, s[0:3], 0 offen offset:4
	ds_read_b64 v[118:119], v116
	s_waitcnt vmcnt(0) lgkmcnt(0)
	v_mul_f64 v[113:114], v[113:114], v[118:119]
	s_cbranch_execz .LBB119_14
	s_branch .LBB119_15
.LBB119_13:
                                        ; implicit-def: $vgpr113_vgpr114
.LBB119_14:
	ds_read_b64 v[113:114], v116
.LBB119_15:
	buffer_load_dword v122, off, s[0:3], 0 offset:432
	buffer_load_dword v123, off, s[0:3], 0 offset:436
	v_mov_b32_e32 v118, 0
	ds_read2_b64 v[118:121], v118 offset0:53 offset1:110
	s_waitcnt vmcnt(0) lgkmcnt(0)
	v_fma_f64 v[120:121], v[122:123], v[120:121], v[113:114]
	v_cndmask_b32_e64 v114, v114, v121, s[4:5]
	v_cndmask_b32_e64 v113, v113, v120, s[4:5]
	v_mul_f64 v[113:114], v[113:114], v[118:119]
	buffer_store_dword v114, off, s[0:3], 0 offset:428
	buffer_store_dword v113, off, s[0:3], 0 offset:424
.LBB119_16:
	s_or_b64 exec, exec, s[8:9]
	buffer_load_dword v113, off, s[0:3], 0 offset:416
	buffer_load_dword v114, off, s[0:3], 0 offset:420
	v_cmp_lt_u32_e64 s[4:5], 52, v0
	s_waitcnt vmcnt(0)
	ds_write_b64 v116, v[113:114]
	s_waitcnt lgkmcnt(0)
	; wave barrier
	s_and_saveexec_b64 s[8:9], s[4:5]
	s_cbranch_execz .LBB119_26
; %bb.17:
	s_andn2_b64 vcc, exec, s[10:11]
	s_cbranch_vccnz .LBB119_19
; %bb.18:
	buffer_load_dword v113, v117, s[0:3], 0 offen
	buffer_load_dword v114, v117, s[0:3], 0 offen offset:4
	ds_read_b64 v[118:119], v116
	s_waitcnt vmcnt(0) lgkmcnt(0)
	v_mul_f64 v[113:114], v[113:114], v[118:119]
	s_cbranch_execz .LBB119_20
	s_branch .LBB119_21
.LBB119_19:
                                        ; implicit-def: $vgpr113_vgpr114
.LBB119_20:
	ds_read_b64 v[113:114], v116
.LBB119_21:
	s_and_saveexec_b64 s[12:13], s[6:7]
	s_cbranch_execz .LBB119_25
; %bb.22:
	v_subrev_u32_e32 v118, 53, v0
	s_movk_i32 s68, 0x368
	s_mov_b64 s[6:7], 0
.LBB119_23:                             ; =>This Inner Loop Header: Depth=1
	v_mov_b32_e32 v120, s67
	buffer_load_dword v119, v120, s[0:3], 0 offen
	s_nop 0
	buffer_load_dword v120, v120, s[0:3], 0 offen offset:4
	v_mov_b32_e32 v121, s68
	ds_read_b64 v[121:122], v121
	v_add_u32_e32 v118, -1, v118
	s_add_i32 s68, s68, 8
	s_add_i32 s67, s67, 8
	v_cmp_eq_u32_e32 vcc, 0, v118
	s_or_b64 s[6:7], vcc, s[6:7]
	s_waitcnt vmcnt(0) lgkmcnt(0)
	v_fma_f64 v[113:114], v[119:120], v[121:122], v[113:114]
	s_andn2_b64 exec, exec, s[6:7]
	s_cbranch_execnz .LBB119_23
; %bb.24:
	s_or_b64 exec, exec, s[6:7]
.LBB119_25:
	s_or_b64 exec, exec, s[12:13]
	v_mov_b32_e32 v118, 0
	ds_read_b64 v[118:119], v118 offset:416
	s_waitcnt lgkmcnt(0)
	v_mul_f64 v[113:114], v[113:114], v[118:119]
	buffer_store_dword v114, off, s[0:3], 0 offset:420
	buffer_store_dword v113, off, s[0:3], 0 offset:416
.LBB119_26:
	s_or_b64 exec, exec, s[8:9]
	buffer_load_dword v113, off, s[0:3], 0 offset:408
	buffer_load_dword v114, off, s[0:3], 0 offset:412
	v_cmp_lt_u32_e64 s[6:7], 51, v0
	s_waitcnt vmcnt(0)
	ds_write_b64 v116, v[113:114]
	s_waitcnt lgkmcnt(0)
	; wave barrier
	s_and_saveexec_b64 s[8:9], s[6:7]
	s_cbranch_execz .LBB119_36
; %bb.27:
	s_andn2_b64 vcc, exec, s[10:11]
	s_cbranch_vccnz .LBB119_29
; %bb.28:
	buffer_load_dword v113, v117, s[0:3], 0 offen
	buffer_load_dword v114, v117, s[0:3], 0 offen offset:4
	ds_read_b64 v[118:119], v116
	s_waitcnt vmcnt(0) lgkmcnt(0)
	v_mul_f64 v[113:114], v[113:114], v[118:119]
	s_cbranch_execz .LBB119_30
	s_branch .LBB119_31
.LBB119_29:
                                        ; implicit-def: $vgpr113_vgpr114
.LBB119_30:
	ds_read_b64 v[113:114], v116
.LBB119_31:
	s_and_saveexec_b64 s[12:13], s[4:5]
	s_cbranch_execz .LBB119_35
; %bb.32:
	v_subrev_u32_e32 v118, 52, v0
	s_movk_i32 s67, 0x360
	s_mov_b64 s[4:5], 0
.LBB119_33:                             ; =>This Inner Loop Header: Depth=1
	v_mov_b32_e32 v120, s66
	buffer_load_dword v119, v120, s[0:3], 0 offen
	s_nop 0
	buffer_load_dword v120, v120, s[0:3], 0 offen offset:4
	v_mov_b32_e32 v121, s67
	ds_read_b64 v[121:122], v121
	v_add_u32_e32 v118, -1, v118
	s_add_i32 s67, s67, 8
	s_add_i32 s66, s66, 8
	v_cmp_eq_u32_e32 vcc, 0, v118
	s_or_b64 s[4:5], vcc, s[4:5]
	s_waitcnt vmcnt(0) lgkmcnt(0)
	v_fma_f64 v[113:114], v[119:120], v[121:122], v[113:114]
	s_andn2_b64 exec, exec, s[4:5]
	s_cbranch_execnz .LBB119_33
; %bb.34:
	s_or_b64 exec, exec, s[4:5]
.LBB119_35:
	s_or_b64 exec, exec, s[12:13]
	v_mov_b32_e32 v118, 0
	ds_read_b64 v[118:119], v118 offset:408
	s_waitcnt lgkmcnt(0)
	v_mul_f64 v[113:114], v[113:114], v[118:119]
	buffer_store_dword v114, off, s[0:3], 0 offset:412
	buffer_store_dword v113, off, s[0:3], 0 offset:408
.LBB119_36:
	;; [unrolled: 59-line block ×8, first 2 shown]
	s_or_b64 exec, exec, s[8:9]
	buffer_load_dword v113, off, s[0:3], 0 offset:352
	buffer_load_dword v114, off, s[0:3], 0 offset:356
	v_cmp_lt_u32_e64 s[4:5], 44, v0
	s_waitcnt vmcnt(0)
	ds_write_b64 v116, v[113:114]
	s_waitcnt lgkmcnt(0)
	; wave barrier
	s_and_saveexec_b64 s[8:9], s[4:5]
	s_cbranch_execz .LBB119_106
; %bb.97:
	s_andn2_b64 vcc, exec, s[10:11]
	s_cbranch_vccnz .LBB119_99
; %bb.98:
	buffer_load_dword v113, v117, s[0:3], 0 offen
	buffer_load_dword v114, v117, s[0:3], 0 offen offset:4
	ds_read_b64 v[118:119], v116
	s_waitcnt vmcnt(0) lgkmcnt(0)
	v_mul_f64 v[113:114], v[113:114], v[118:119]
	s_cbranch_execz .LBB119_100
	s_branch .LBB119_101
.LBB119_99:
                                        ; implicit-def: $vgpr113_vgpr114
.LBB119_100:
	ds_read_b64 v[113:114], v116
.LBB119_101:
	s_and_saveexec_b64 s[12:13], s[6:7]
	s_cbranch_execz .LBB119_105
; %bb.102:
	v_subrev_u32_e32 v118, 45, v0
	s_movk_i32 s60, 0x328
	s_mov_b64 s[6:7], 0
.LBB119_103:                            ; =>This Inner Loop Header: Depth=1
	v_mov_b32_e32 v120, s59
	buffer_load_dword v119, v120, s[0:3], 0 offen
	s_nop 0
	buffer_load_dword v120, v120, s[0:3], 0 offen offset:4
	v_mov_b32_e32 v121, s60
	ds_read_b64 v[121:122], v121
	v_add_u32_e32 v118, -1, v118
	s_add_i32 s60, s60, 8
	s_add_i32 s59, s59, 8
	v_cmp_eq_u32_e32 vcc, 0, v118
	s_or_b64 s[6:7], vcc, s[6:7]
	s_waitcnt vmcnt(0) lgkmcnt(0)
	v_fma_f64 v[113:114], v[119:120], v[121:122], v[113:114]
	s_andn2_b64 exec, exec, s[6:7]
	s_cbranch_execnz .LBB119_103
; %bb.104:
	s_or_b64 exec, exec, s[6:7]
.LBB119_105:
	s_or_b64 exec, exec, s[12:13]
	v_mov_b32_e32 v118, 0
	ds_read_b64 v[118:119], v118 offset:352
	s_waitcnt lgkmcnt(0)
	v_mul_f64 v[113:114], v[113:114], v[118:119]
	buffer_store_dword v114, off, s[0:3], 0 offset:356
	buffer_store_dword v113, off, s[0:3], 0 offset:352
.LBB119_106:
	s_or_b64 exec, exec, s[8:9]
	buffer_load_dword v113, off, s[0:3], 0 offset:344
	buffer_load_dword v114, off, s[0:3], 0 offset:348
	v_cmp_lt_u32_e64 s[6:7], 43, v0
	s_waitcnt vmcnt(0)
	ds_write_b64 v116, v[113:114]
	s_waitcnt lgkmcnt(0)
	; wave barrier
	s_and_saveexec_b64 s[8:9], s[6:7]
	s_cbranch_execz .LBB119_116
; %bb.107:
	s_andn2_b64 vcc, exec, s[10:11]
	s_cbranch_vccnz .LBB119_109
; %bb.108:
	buffer_load_dword v113, v117, s[0:3], 0 offen
	buffer_load_dword v114, v117, s[0:3], 0 offen offset:4
	ds_read_b64 v[118:119], v116
	s_waitcnt vmcnt(0) lgkmcnt(0)
	v_mul_f64 v[113:114], v[113:114], v[118:119]
	s_cbranch_execz .LBB119_110
	s_branch .LBB119_111
.LBB119_109:
                                        ; implicit-def: $vgpr113_vgpr114
.LBB119_110:
	ds_read_b64 v[113:114], v116
.LBB119_111:
	s_and_saveexec_b64 s[12:13], s[4:5]
	s_cbranch_execz .LBB119_115
; %bb.112:
	v_subrev_u32_e32 v118, 44, v0
	s_movk_i32 s59, 0x320
	s_mov_b64 s[4:5], 0
.LBB119_113:                            ; =>This Inner Loop Header: Depth=1
	v_mov_b32_e32 v120, s58
	buffer_load_dword v119, v120, s[0:3], 0 offen
	s_nop 0
	buffer_load_dword v120, v120, s[0:3], 0 offen offset:4
	v_mov_b32_e32 v121, s59
	ds_read_b64 v[121:122], v121
	v_add_u32_e32 v118, -1, v118
	s_add_i32 s59, s59, 8
	s_add_i32 s58, s58, 8
	v_cmp_eq_u32_e32 vcc, 0, v118
	s_or_b64 s[4:5], vcc, s[4:5]
	s_waitcnt vmcnt(0) lgkmcnt(0)
	v_fma_f64 v[113:114], v[119:120], v[121:122], v[113:114]
	s_andn2_b64 exec, exec, s[4:5]
	s_cbranch_execnz .LBB119_113
; %bb.114:
	s_or_b64 exec, exec, s[4:5]
.LBB119_115:
	s_or_b64 exec, exec, s[12:13]
	v_mov_b32_e32 v118, 0
	ds_read_b64 v[118:119], v118 offset:344
	s_waitcnt lgkmcnt(0)
	v_mul_f64 v[113:114], v[113:114], v[118:119]
	buffer_store_dword v114, off, s[0:3], 0 offset:348
	buffer_store_dword v113, off, s[0:3], 0 offset:344
.LBB119_116:
	;; [unrolled: 59-line block ×9, first 2 shown]
	s_or_b64 exec, exec, s[4:5]
	buffer_load_dword v113, off, s[0:3], 0 offset:280
	buffer_load_dword v114, off, s[0:3], 0 offset:284
	v_cmp_lt_u32_e64 s[4:5], 35, v0
	s_waitcnt vmcnt(0)
	ds_write_b64 v116, v[113:114]
	s_waitcnt lgkmcnt(0)
	; wave barrier
	s_and_saveexec_b64 s[6:7], s[4:5]
	s_cbranch_execz .LBB119_196
; %bb.187:
	s_andn2_b64 vcc, exec, s[10:11]
	s_cbranch_vccnz .LBB119_189
; %bb.188:
	buffer_load_dword v113, v117, s[0:3], 0 offen
	buffer_load_dword v114, v117, s[0:3], 0 offen offset:4
	ds_read_b64 v[118:119], v116
	s_waitcnt vmcnt(0) lgkmcnt(0)
	v_mul_f64 v[113:114], v[113:114], v[118:119]
	s_cbranch_execz .LBB119_190
	s_branch .LBB119_191
.LBB119_189:
                                        ; implicit-def: $vgpr113_vgpr114
.LBB119_190:
	ds_read_b64 v[113:114], v116
.LBB119_191:
	s_and_saveexec_b64 s[12:13], s[8:9]
	s_cbranch_execz .LBB119_195
; %bb.192:
	v_subrev_u32_e32 v118, 36, v0
	s_movk_i32 s51, 0x2e0
	s_mov_b64 s[8:9], 0
.LBB119_193:                            ; =>This Inner Loop Header: Depth=1
	v_mov_b32_e32 v121, s50
	buffer_load_dword v119, v121, s[0:3], 0 offen
	buffer_load_dword v120, v121, s[0:3], 0 offen offset:4
	v_mov_b32_e32 v121, s51
	ds_read_b64 v[121:122], v121
	v_add_u32_e32 v118, -1, v118
	s_add_i32 s51, s51, 8
	s_add_i32 s50, s50, 8
	v_cmp_eq_u32_e32 vcc, 0, v118
	s_or_b64 s[8:9], vcc, s[8:9]
	s_waitcnt vmcnt(0) lgkmcnt(0)
	v_fma_f64 v[113:114], v[119:120], v[121:122], v[113:114]
	s_andn2_b64 exec, exec, s[8:9]
	s_cbranch_execnz .LBB119_193
; %bb.194:
	s_or_b64 exec, exec, s[8:9]
.LBB119_195:
	s_or_b64 exec, exec, s[12:13]
	v_mov_b32_e32 v118, 0
	ds_read_b64 v[118:119], v118 offset:280
	s_waitcnt lgkmcnt(0)
	v_mul_f64 v[113:114], v[113:114], v[118:119]
	buffer_store_dword v114, off, s[0:3], 0 offset:284
	buffer_store_dword v113, off, s[0:3], 0 offset:280
.LBB119_196:
	s_or_b64 exec, exec, s[6:7]
	buffer_load_dword v113, off, s[0:3], 0 offset:272
	buffer_load_dword v114, off, s[0:3], 0 offset:276
	v_cmp_lt_u32_e64 s[6:7], 34, v0
	s_waitcnt vmcnt(0)
	ds_write_b64 v116, v[113:114]
	s_waitcnt lgkmcnt(0)
	; wave barrier
	s_and_saveexec_b64 s[8:9], s[6:7]
	s_cbranch_execz .LBB119_206
; %bb.197:
	s_andn2_b64 vcc, exec, s[10:11]
	s_cbranch_vccnz .LBB119_199
; %bb.198:
	buffer_load_dword v113, v117, s[0:3], 0 offen
	buffer_load_dword v114, v117, s[0:3], 0 offen offset:4
	ds_read_b64 v[118:119], v116
	s_waitcnt vmcnt(0) lgkmcnt(0)
	v_mul_f64 v[113:114], v[113:114], v[118:119]
	s_cbranch_execz .LBB119_200
	s_branch .LBB119_201
.LBB119_199:
                                        ; implicit-def: $vgpr113_vgpr114
.LBB119_200:
	ds_read_b64 v[113:114], v116
.LBB119_201:
	s_and_saveexec_b64 s[12:13], s[4:5]
	s_cbranch_execz .LBB119_205
; %bb.202:
	v_subrev_u32_e32 v118, 35, v0
	s_movk_i32 s50, 0x2d8
	s_mov_b64 s[4:5], 0
.LBB119_203:                            ; =>This Inner Loop Header: Depth=1
	v_mov_b32_e32 v121, s49
	buffer_load_dword v119, v121, s[0:3], 0 offen
	buffer_load_dword v120, v121, s[0:3], 0 offen offset:4
	v_mov_b32_e32 v121, s50
	ds_read_b64 v[121:122], v121
	v_add_u32_e32 v118, -1, v118
	s_add_i32 s50, s50, 8
	s_add_i32 s49, s49, 8
	v_cmp_eq_u32_e32 vcc, 0, v118
	s_or_b64 s[4:5], vcc, s[4:5]
	s_waitcnt vmcnt(0) lgkmcnt(0)
	v_fma_f64 v[113:114], v[119:120], v[121:122], v[113:114]
	s_andn2_b64 exec, exec, s[4:5]
	s_cbranch_execnz .LBB119_203
; %bb.204:
	s_or_b64 exec, exec, s[4:5]
.LBB119_205:
	s_or_b64 exec, exec, s[12:13]
	v_mov_b32_e32 v118, 0
	ds_read_b64 v[118:119], v118 offset:272
	s_waitcnt lgkmcnt(0)
	v_mul_f64 v[113:114], v[113:114], v[118:119]
	buffer_store_dword v114, off, s[0:3], 0 offset:276
	buffer_store_dword v113, off, s[0:3], 0 offset:272
.LBB119_206:
	;; [unrolled: 58-line block ×20, first 2 shown]
	s_or_b64 exec, exec, s[8:9]
	buffer_load_dword v113, off, s[0:3], 0 offset:120
	buffer_load_dword v114, off, s[0:3], 0 offset:124
	v_cmp_lt_u32_e64 s[4:5], 15, v0
	s_waitcnt vmcnt(0)
	ds_write_b64 v116, v[113:114]
	s_waitcnt lgkmcnt(0)
	; wave barrier
	s_and_saveexec_b64 s[8:9], s[4:5]
	s_cbranch_execz .LBB119_396
; %bb.387:
	s_andn2_b64 vcc, exec, s[10:11]
	s_cbranch_vccnz .LBB119_389
; %bb.388:
	buffer_load_dword v113, v117, s[0:3], 0 offen
	buffer_load_dword v114, v117, s[0:3], 0 offen offset:4
	ds_read_b64 v[118:119], v116
	s_waitcnt vmcnt(0) lgkmcnt(0)
	v_mul_f64 v[113:114], v[113:114], v[118:119]
	s_cbranch_execz .LBB119_390
	s_branch .LBB119_391
.LBB119_389:
                                        ; implicit-def: $vgpr113_vgpr114
.LBB119_390:
	ds_read_b64 v[113:114], v116
.LBB119_391:
	s_and_saveexec_b64 s[12:13], s[6:7]
	s_cbranch_execz .LBB119_395
; %bb.392:
	v_add_u32_e32 v118, -16, v0
	s_movk_i32 s30, 0x240
	s_mov_b64 s[6:7], 0
.LBB119_393:                            ; =>This Inner Loop Header: Depth=1
	v_mov_b32_e32 v121, s29
	buffer_load_dword v119, v121, s[0:3], 0 offen
	buffer_load_dword v120, v121, s[0:3], 0 offen offset:4
	v_mov_b32_e32 v121, s30
	ds_read_b64 v[121:122], v121
	v_add_u32_e32 v118, -1, v118
	s_add_i32 s30, s30, 8
	s_add_i32 s29, s29, 8
	v_cmp_eq_u32_e32 vcc, 0, v118
	s_or_b64 s[6:7], vcc, s[6:7]
	s_waitcnt vmcnt(0) lgkmcnt(0)
	v_fma_f64 v[113:114], v[119:120], v[121:122], v[113:114]
	s_andn2_b64 exec, exec, s[6:7]
	s_cbranch_execnz .LBB119_393
; %bb.394:
	s_or_b64 exec, exec, s[6:7]
.LBB119_395:
	s_or_b64 exec, exec, s[12:13]
	v_mov_b32_e32 v118, 0
	ds_read_b64 v[118:119], v118 offset:120
	s_waitcnt lgkmcnt(0)
	v_mul_f64 v[113:114], v[113:114], v[118:119]
	buffer_store_dword v114, off, s[0:3], 0 offset:124
	buffer_store_dword v113, off, s[0:3], 0 offset:120
.LBB119_396:
	s_or_b64 exec, exec, s[8:9]
	buffer_load_dword v113, off, s[0:3], 0 offset:112
	buffer_load_dword v114, off, s[0:3], 0 offset:116
	v_cmp_lt_u32_e64 s[6:7], 14, v0
	s_waitcnt vmcnt(0)
	ds_write_b64 v116, v[113:114]
	s_waitcnt lgkmcnt(0)
	; wave barrier
	s_and_saveexec_b64 s[8:9], s[6:7]
	s_cbranch_execz .LBB119_406
; %bb.397:
	s_andn2_b64 vcc, exec, s[10:11]
	s_cbranch_vccnz .LBB119_399
; %bb.398:
	buffer_load_dword v113, v117, s[0:3], 0 offen
	buffer_load_dword v114, v117, s[0:3], 0 offen offset:4
	ds_read_b64 v[118:119], v116
	s_waitcnt vmcnt(0) lgkmcnt(0)
	v_mul_f64 v[113:114], v[113:114], v[118:119]
	s_cbranch_execz .LBB119_400
	s_branch .LBB119_401
.LBB119_399:
                                        ; implicit-def: $vgpr113_vgpr114
.LBB119_400:
	ds_read_b64 v[113:114], v116
.LBB119_401:
	s_and_saveexec_b64 s[12:13], s[4:5]
	s_cbranch_execz .LBB119_405
; %bb.402:
	v_add_u32_e32 v118, -15, v0
	s_movk_i32 s29, 0x238
	s_mov_b64 s[4:5], 0
.LBB119_403:                            ; =>This Inner Loop Header: Depth=1
	v_mov_b32_e32 v121, s28
	buffer_load_dword v119, v121, s[0:3], 0 offen
	buffer_load_dword v120, v121, s[0:3], 0 offen offset:4
	v_mov_b32_e32 v121, s29
	ds_read_b64 v[121:122], v121
	v_add_u32_e32 v118, -1, v118
	s_add_i32 s29, s29, 8
	s_add_i32 s28, s28, 8
	v_cmp_eq_u32_e32 vcc, 0, v118
	s_or_b64 s[4:5], vcc, s[4:5]
	s_waitcnt vmcnt(0) lgkmcnt(0)
	v_fma_f64 v[113:114], v[119:120], v[121:122], v[113:114]
	s_andn2_b64 exec, exec, s[4:5]
	s_cbranch_execnz .LBB119_403
; %bb.404:
	s_or_b64 exec, exec, s[4:5]
.LBB119_405:
	s_or_b64 exec, exec, s[12:13]
	v_mov_b32_e32 v118, 0
	ds_read_b64 v[118:119], v118 offset:112
	s_waitcnt lgkmcnt(0)
	v_mul_f64 v[113:114], v[113:114], v[118:119]
	buffer_store_dword v114, off, s[0:3], 0 offset:116
	buffer_store_dword v113, off, s[0:3], 0 offset:112
.LBB119_406:
	;; [unrolled: 58-line block ×15, first 2 shown]
	s_or_b64 exec, exec, s[8:9]
	buffer_load_dword v113, off, s[0:3], 0
	buffer_load_dword v114, off, s[0:3], 0 offset:4
	v_cmp_ne_u32_e32 vcc, 0, v0
	s_waitcnt vmcnt(0)
	ds_write_b64 v116, v[113:114]
	s_waitcnt lgkmcnt(0)
	; wave barrier
	s_and_saveexec_b64 s[6:7], vcc
	s_cbranch_execz .LBB119_546
; %bb.537:
	s_andn2_b64 vcc, exec, s[10:11]
	s_cbranch_vccnz .LBB119_539
; %bb.538:
	buffer_load_dword v113, v117, s[0:3], 0 offen
	buffer_load_dword v114, v117, s[0:3], 0 offen offset:4
	ds_read_b64 v[118:119], v116
	s_waitcnt vmcnt(0) lgkmcnt(0)
	v_mul_f64 v[113:114], v[113:114], v[118:119]
	s_cbranch_execz .LBB119_540
	s_branch .LBB119_541
.LBB119_539:
                                        ; implicit-def: $vgpr113_vgpr114
.LBB119_540:
	ds_read_b64 v[113:114], v116
.LBB119_541:
	s_and_saveexec_b64 s[8:9], s[4:5]
	s_cbranch_execz .LBB119_545
; %bb.542:
	v_add_u32_e32 v118, -1, v0
	s_movk_i32 s12, 0x1c8
	s_mov_b64 s[4:5], 0
.LBB119_543:                            ; =>This Inner Loop Header: Depth=1
	v_mov_b32_e32 v121, s14
	buffer_load_dword v119, v121, s[0:3], 0 offen
	buffer_load_dword v120, v121, s[0:3], 0 offen offset:4
	v_mov_b32_e32 v121, s12
	ds_read_b64 v[121:122], v121
	v_add_u32_e32 v118, -1, v118
	s_add_i32 s12, s12, 8
	s_add_i32 s14, s14, 8
	v_cmp_eq_u32_e32 vcc, 0, v118
	s_or_b64 s[4:5], vcc, s[4:5]
	s_waitcnt vmcnt(0) lgkmcnt(0)
	v_fma_f64 v[113:114], v[119:120], v[121:122], v[113:114]
	s_andn2_b64 exec, exec, s[4:5]
	s_cbranch_execnz .LBB119_543
; %bb.544:
	s_or_b64 exec, exec, s[4:5]
.LBB119_545:
	s_or_b64 exec, exec, s[8:9]
	v_mov_b32_e32 v118, 0
	ds_read_b64 v[118:119], v118
	s_waitcnt lgkmcnt(0)
	v_mul_f64 v[113:114], v[113:114], v[118:119]
	buffer_store_dword v114, off, s[0:3], 0 offset:4
	buffer_store_dword v113, off, s[0:3], 0
.LBB119_546:
	s_or_b64 exec, exec, s[6:7]
	s_mov_b64 s[4:5], 0
.LBB119_547:
	s_and_b64 vcc, exec, s[4:5]
	s_cbranch_vccz .LBB119_1089
; %bb.548:
	buffer_load_dword v113, off, s[0:3], 0 offset:8
	buffer_load_dword v114, off, s[0:3], 0 offset:12
	v_cmp_eq_u32_e64 s[6:7], 0, v0
	s_waitcnt vmcnt(0)
	ds_write_b64 v116, v[113:114]
	s_waitcnt lgkmcnt(0)
	; wave barrier
	s_and_saveexec_b64 s[4:5], s[6:7]
	s_cbranch_execz .LBB119_554
; %bb.549:
	s_and_b64 vcc, exec, s[10:11]
	s_cbranch_vccz .LBB119_551
; %bb.550:
	buffer_load_dword v113, v117, s[0:3], 0 offen
	buffer_load_dword v114, v117, s[0:3], 0 offen offset:4
	ds_read_b64 v[118:119], v116
	s_waitcnt vmcnt(0) lgkmcnt(0)
	v_mul_f64 v[113:114], v[113:114], v[118:119]
	s_cbranch_execz .LBB119_552
	s_branch .LBB119_553
.LBB119_551:
                                        ; implicit-def: $vgpr113_vgpr114
.LBB119_552:
	ds_read_b64 v[113:114], v116
.LBB119_553:
	v_mov_b32_e32 v118, 0
	ds_read_b64 v[118:119], v118 offset:8
	s_waitcnt lgkmcnt(0)
	v_mul_f64 v[113:114], v[113:114], v[118:119]
	buffer_store_dword v114, off, s[0:3], 0 offset:12
	buffer_store_dword v113, off, s[0:3], 0 offset:8
.LBB119_554:
	s_or_b64 exec, exec, s[4:5]
	buffer_load_dword v113, off, s[0:3], 0 offset:16
	buffer_load_dword v114, off, s[0:3], 0 offset:20
	v_cndmask_b32_e64 v118, 0, 1, s[10:11]
	v_cmp_gt_u32_e32 vcc, 2, v0
	v_cmp_ne_u32_e64 s[4:5], 1, v118
	s_waitcnt vmcnt(0)
	ds_write_b64 v116, v[113:114]
	s_waitcnt lgkmcnt(0)
	; wave barrier
	s_and_saveexec_b64 s[8:9], vcc
	s_cbranch_execz .LBB119_560
; %bb.555:
	s_and_b64 vcc, exec, s[4:5]
	s_cbranch_vccnz .LBB119_557
; %bb.556:
	buffer_load_dword v113, v117, s[0:3], 0 offen
	buffer_load_dword v114, v117, s[0:3], 0 offen offset:4
	ds_read_b64 v[118:119], v116
	s_waitcnt vmcnt(0) lgkmcnt(0)
	v_mul_f64 v[113:114], v[113:114], v[118:119]
	s_cbranch_execz .LBB119_558
	s_branch .LBB119_559
.LBB119_557:
                                        ; implicit-def: $vgpr113_vgpr114
.LBB119_558:
	ds_read_b64 v[113:114], v116
.LBB119_559:
	buffer_load_dword v122, off, s[0:3], 0 offset:8
	buffer_load_dword v123, off, s[0:3], 0 offset:12
	v_mov_b32_e32 v118, 0
	ds_read2_b64 v[118:121], v118 offset0:2 offset1:57
	s_waitcnt vmcnt(0) lgkmcnt(0)
	v_fma_f64 v[120:121], v[122:123], v[120:121], v[113:114]
	v_cndmask_b32_e64 v114, v114, v121, s[6:7]
	v_cndmask_b32_e64 v113, v113, v120, s[6:7]
	v_mul_f64 v[113:114], v[113:114], v[118:119]
	buffer_store_dword v114, off, s[0:3], 0 offset:20
	buffer_store_dword v113, off, s[0:3], 0 offset:16
.LBB119_560:
	s_or_b64 exec, exec, s[8:9]
	buffer_load_dword v113, off, s[0:3], 0 offset:24
	buffer_load_dword v114, off, s[0:3], 0 offset:28
	v_cmp_gt_u32_e32 vcc, 3, v0
	s_waitcnt vmcnt(0)
	ds_write_b64 v116, v[113:114]
	s_waitcnt lgkmcnt(0)
	; wave barrier
	s_and_saveexec_b64 s[8:9], vcc
	s_cbranch_execz .LBB119_568
; %bb.561:
	s_and_b64 vcc, exec, s[4:5]
	s_cbranch_vccnz .LBB119_563
; %bb.562:
	buffer_load_dword v113, v117, s[0:3], 0 offen
	buffer_load_dword v114, v117, s[0:3], 0 offen offset:4
	ds_read_b64 v[118:119], v116
	s_waitcnt vmcnt(0) lgkmcnt(0)
	v_mul_f64 v[113:114], v[113:114], v[118:119]
	s_cbranch_execz .LBB119_564
	s_branch .LBB119_565
.LBB119_563:
                                        ; implicit-def: $vgpr113_vgpr114
.LBB119_564:
	ds_read_b64 v[113:114], v116
.LBB119_565:
	v_cmp_ne_u32_e32 vcc, 2, v0
	s_and_saveexec_b64 s[10:11], vcc
	s_cbranch_execz .LBB119_567
; %bb.566:
	buffer_load_dword v118, v117, s[0:3], 0 offen offset:8
	buffer_load_dword v119, v117, s[0:3], 0 offen offset:12
	buffer_load_dword v120, off, s[0:3], 0 offset:16
	buffer_load_dword v121, off, s[0:3], 0 offset:20
	ds_read_b64 v[122:123], v116 offset:8
	v_mov_b32_e32 v124, 0
	ds_read_b64 v[124:125], v124 offset:464
	s_waitcnt vmcnt(2) lgkmcnt(1)
	v_fma_f64 v[113:114], v[118:119], v[122:123], v[113:114]
	s_waitcnt vmcnt(0) lgkmcnt(0)
	v_fma_f64 v[118:119], v[120:121], v[124:125], v[113:114]
	v_cndmask_b32_e64 v114, v114, v119, s[6:7]
	v_cndmask_b32_e64 v113, v113, v118, s[6:7]
.LBB119_567:
	s_or_b64 exec, exec, s[10:11]
	v_mov_b32_e32 v118, 0
	ds_read_b64 v[118:119], v118 offset:24
	s_waitcnt lgkmcnt(0)
	v_mul_f64 v[113:114], v[113:114], v[118:119]
	buffer_store_dword v114, off, s[0:3], 0 offset:28
	buffer_store_dword v113, off, s[0:3], 0 offset:24
.LBB119_568:
	s_or_b64 exec, exec, s[8:9]
	buffer_load_dword v113, off, s[0:3], 0 offset:32
	buffer_load_dword v114, off, s[0:3], 0 offset:36
	v_cmp_gt_u32_e32 vcc, 4, v0
	s_waitcnt vmcnt(0)
	ds_write_b64 v116, v[113:114]
	s_waitcnt lgkmcnt(0)
	; wave barrier
	s_and_saveexec_b64 s[6:7], vcc
	s_cbranch_execz .LBB119_578
; %bb.569:
	s_and_b64 vcc, exec, s[4:5]
	s_cbranch_vccnz .LBB119_571
; %bb.570:
	buffer_load_dword v113, v117, s[0:3], 0 offen
	buffer_load_dword v114, v117, s[0:3], 0 offen offset:4
	ds_read_b64 v[118:119], v116
	s_waitcnt vmcnt(0) lgkmcnt(0)
	v_mul_f64 v[113:114], v[113:114], v[118:119]
	s_cbranch_execz .LBB119_572
	s_branch .LBB119_573
.LBB119_571:
                                        ; implicit-def: $vgpr113_vgpr114
.LBB119_572:
	ds_read_b64 v[113:114], v116
.LBB119_573:
	v_cmp_ne_u32_e32 vcc, 3, v0
	s_and_saveexec_b64 s[8:9], vcc
	s_cbranch_execz .LBB119_577
; %bb.574:
	s_mov_b32 s10, 0
	v_add_u32_e32 v118, 0x1c8, v115
	v_add3_u32 v119, v115, s10, 8
	s_mov_b64 s[10:11], 0
	v_mov_b32_e32 v120, v0
.LBB119_575:                            ; =>This Inner Loop Header: Depth=1
	buffer_load_dword v121, v119, s[0:3], 0 offen
	buffer_load_dword v122, v119, s[0:3], 0 offen offset:4
	ds_read_b64 v[123:124], v118
	v_add_u32_e32 v120, 1, v120
	v_cmp_lt_u32_e32 vcc, 2, v120
	v_add_u32_e32 v118, 8, v118
	s_or_b64 s[10:11], vcc, s[10:11]
	v_add_u32_e32 v119, 8, v119
	s_waitcnt vmcnt(0) lgkmcnt(0)
	v_fma_f64 v[113:114], v[121:122], v[123:124], v[113:114]
	s_andn2_b64 exec, exec, s[10:11]
	s_cbranch_execnz .LBB119_575
; %bb.576:
	s_or_b64 exec, exec, s[10:11]
.LBB119_577:
	s_or_b64 exec, exec, s[8:9]
	v_mov_b32_e32 v118, 0
	ds_read_b64 v[118:119], v118 offset:32
	s_waitcnt lgkmcnt(0)
	v_mul_f64 v[113:114], v[113:114], v[118:119]
	buffer_store_dword v114, off, s[0:3], 0 offset:36
	buffer_store_dword v113, off, s[0:3], 0 offset:32
.LBB119_578:
	s_or_b64 exec, exec, s[6:7]
	buffer_load_dword v113, off, s[0:3], 0 offset:40
	buffer_load_dword v114, off, s[0:3], 0 offset:44
	v_cmp_gt_u32_e32 vcc, 5, v0
	s_waitcnt vmcnt(0)
	ds_write_b64 v116, v[113:114]
	s_waitcnt lgkmcnt(0)
	; wave barrier
	s_and_saveexec_b64 s[6:7], vcc
	s_cbranch_execz .LBB119_588
; %bb.579:
	s_and_b64 vcc, exec, s[4:5]
	s_cbranch_vccnz .LBB119_581
; %bb.580:
	buffer_load_dword v113, v117, s[0:3], 0 offen
	buffer_load_dword v114, v117, s[0:3], 0 offen offset:4
	ds_read_b64 v[118:119], v116
	s_waitcnt vmcnt(0) lgkmcnt(0)
	v_mul_f64 v[113:114], v[113:114], v[118:119]
	s_cbranch_execz .LBB119_582
	s_branch .LBB119_583
.LBB119_581:
                                        ; implicit-def: $vgpr113_vgpr114
.LBB119_582:
	ds_read_b64 v[113:114], v116
.LBB119_583:
	v_cmp_ne_u32_e32 vcc, 4, v0
	s_and_saveexec_b64 s[8:9], vcc
	s_cbranch_execz .LBB119_587
; %bb.584:
	s_mov_b32 s10, 0
	v_add_u32_e32 v118, 0x1c8, v115
	v_add3_u32 v119, v115, s10, 8
	s_mov_b64 s[10:11], 0
	v_mov_b32_e32 v120, v0
.LBB119_585:                            ; =>This Inner Loop Header: Depth=1
	buffer_load_dword v121, v119, s[0:3], 0 offen
	buffer_load_dword v122, v119, s[0:3], 0 offen offset:4
	ds_read_b64 v[123:124], v118
	v_add_u32_e32 v120, 1, v120
	v_cmp_lt_u32_e32 vcc, 3, v120
	v_add_u32_e32 v118, 8, v118
	s_or_b64 s[10:11], vcc, s[10:11]
	v_add_u32_e32 v119, 8, v119
	s_waitcnt vmcnt(0) lgkmcnt(0)
	v_fma_f64 v[113:114], v[121:122], v[123:124], v[113:114]
	s_andn2_b64 exec, exec, s[10:11]
	s_cbranch_execnz .LBB119_585
; %bb.586:
	s_or_b64 exec, exec, s[10:11]
.LBB119_587:
	s_or_b64 exec, exec, s[8:9]
	v_mov_b32_e32 v118, 0
	ds_read_b64 v[118:119], v118 offset:40
	s_waitcnt lgkmcnt(0)
	v_mul_f64 v[113:114], v[113:114], v[118:119]
	buffer_store_dword v114, off, s[0:3], 0 offset:44
	buffer_store_dword v113, off, s[0:3], 0 offset:40
.LBB119_588:
	;; [unrolled: 59-line block ×43, first 2 shown]
	s_or_b64 exec, exec, s[6:7]
	buffer_load_dword v113, off, s[0:3], 0 offset:376
	buffer_load_dword v114, off, s[0:3], 0 offset:380
	v_cmp_gt_u32_e32 vcc, 47, v0
	s_waitcnt vmcnt(0)
	ds_write_b64 v116, v[113:114]
	s_waitcnt lgkmcnt(0)
	; wave barrier
	s_and_saveexec_b64 s[6:7], vcc
	s_cbranch_execz .LBB119_1008
; %bb.999:
	s_and_b64 vcc, exec, s[4:5]
	s_cbranch_vccnz .LBB119_1001
; %bb.1000:
	buffer_load_dword v113, v117, s[0:3], 0 offen
	buffer_load_dword v114, v117, s[0:3], 0 offen offset:4
	ds_read_b64 v[118:119], v116
	s_waitcnt vmcnt(0) lgkmcnt(0)
	v_mul_f64 v[113:114], v[113:114], v[118:119]
	s_cbranch_execz .LBB119_1002
	s_branch .LBB119_1003
.LBB119_1001:
                                        ; implicit-def: $vgpr113_vgpr114
.LBB119_1002:
	ds_read_b64 v[113:114], v116
.LBB119_1003:
	v_cmp_ne_u32_e32 vcc, 46, v0
	s_and_saveexec_b64 s[8:9], vcc
	s_cbranch_execz .LBB119_1007
; %bb.1004:
	s_mov_b32 s10, 0
	v_add_u32_e32 v118, 0x1c8, v115
	v_add3_u32 v119, v115, s10, 8
	s_mov_b64 s[10:11], 0
	v_mov_b32_e32 v120, v0
.LBB119_1005:                           ; =>This Inner Loop Header: Depth=1
	buffer_load_dword v121, v119, s[0:3], 0 offen
	buffer_load_dword v122, v119, s[0:3], 0 offen offset:4
	ds_read_b64 v[123:124], v118
	v_add_u32_e32 v120, 1, v120
	v_cmp_lt_u32_e32 vcc, 45, v120
	v_add_u32_e32 v118, 8, v118
	s_or_b64 s[10:11], vcc, s[10:11]
	v_add_u32_e32 v119, 8, v119
	s_waitcnt vmcnt(0) lgkmcnt(0)
	v_fma_f64 v[113:114], v[121:122], v[123:124], v[113:114]
	s_andn2_b64 exec, exec, s[10:11]
	s_cbranch_execnz .LBB119_1005
; %bb.1006:
	s_or_b64 exec, exec, s[10:11]
.LBB119_1007:
	s_or_b64 exec, exec, s[8:9]
	v_mov_b32_e32 v118, 0
	ds_read_b64 v[118:119], v118 offset:376
	s_waitcnt lgkmcnt(0)
	v_mul_f64 v[113:114], v[113:114], v[118:119]
	buffer_store_dword v114, off, s[0:3], 0 offset:380
	buffer_store_dword v113, off, s[0:3], 0 offset:376
.LBB119_1008:
	s_or_b64 exec, exec, s[6:7]
	buffer_load_dword v113, off, s[0:3], 0 offset:384
	buffer_load_dword v114, off, s[0:3], 0 offset:388
	v_cmp_gt_u32_e32 vcc, 48, v0
	s_waitcnt vmcnt(0)
	ds_write_b64 v116, v[113:114]
	s_waitcnt lgkmcnt(0)
	; wave barrier
	s_and_saveexec_b64 s[6:7], vcc
	s_cbranch_execz .LBB119_1018
; %bb.1009:
	s_and_b64 vcc, exec, s[4:5]
	s_cbranch_vccnz .LBB119_1011
; %bb.1010:
	buffer_load_dword v113, v117, s[0:3], 0 offen
	buffer_load_dword v114, v117, s[0:3], 0 offen offset:4
	ds_read_b64 v[118:119], v116
	s_waitcnt vmcnt(0) lgkmcnt(0)
	v_mul_f64 v[113:114], v[113:114], v[118:119]
	s_cbranch_execz .LBB119_1012
	s_branch .LBB119_1013
.LBB119_1011:
                                        ; implicit-def: $vgpr113_vgpr114
.LBB119_1012:
	ds_read_b64 v[113:114], v116
.LBB119_1013:
	v_cmp_ne_u32_e32 vcc, 47, v0
	s_and_saveexec_b64 s[8:9], vcc
	s_cbranch_execz .LBB119_1017
; %bb.1014:
	s_mov_b32 s10, 0
	v_add_u32_e32 v118, 0x1c8, v115
	v_add3_u32 v119, v115, s10, 8
	s_mov_b64 s[10:11], 0
	v_mov_b32_e32 v120, v0
.LBB119_1015:                           ; =>This Inner Loop Header: Depth=1
	buffer_load_dword v121, v119, s[0:3], 0 offen
	buffer_load_dword v122, v119, s[0:3], 0 offen offset:4
	ds_read_b64 v[123:124], v118
	v_add_u32_e32 v120, 1, v120
	v_cmp_lt_u32_e32 vcc, 46, v120
	v_add_u32_e32 v118, 8, v118
	s_or_b64 s[10:11], vcc, s[10:11]
	v_add_u32_e32 v119, 8, v119
	s_waitcnt vmcnt(0) lgkmcnt(0)
	v_fma_f64 v[113:114], v[121:122], v[123:124], v[113:114]
	s_andn2_b64 exec, exec, s[10:11]
	s_cbranch_execnz .LBB119_1015
; %bb.1016:
	s_or_b64 exec, exec, s[10:11]
.LBB119_1017:
	s_or_b64 exec, exec, s[8:9]
	v_mov_b32_e32 v118, 0
	ds_read_b64 v[118:119], v118 offset:384
	s_waitcnt lgkmcnt(0)
	v_mul_f64 v[113:114], v[113:114], v[118:119]
	buffer_store_dword v114, off, s[0:3], 0 offset:388
	buffer_store_dword v113, off, s[0:3], 0 offset:384
.LBB119_1018:
	s_or_b64 exec, exec, s[6:7]
	buffer_load_dword v113, off, s[0:3], 0 offset:392
	buffer_load_dword v114, off, s[0:3], 0 offset:396
	v_cmp_gt_u32_e32 vcc, 49, v0
	s_waitcnt vmcnt(0)
	ds_write_b64 v116, v[113:114]
	s_waitcnt lgkmcnt(0)
	; wave barrier
	s_and_saveexec_b64 s[6:7], vcc
	s_cbranch_execz .LBB119_1028
; %bb.1019:
	s_and_b64 vcc, exec, s[4:5]
	s_cbranch_vccnz .LBB119_1021
; %bb.1020:
	buffer_load_dword v113, v117, s[0:3], 0 offen
	buffer_load_dword v114, v117, s[0:3], 0 offen offset:4
	ds_read_b64 v[118:119], v116
	s_waitcnt vmcnt(0) lgkmcnt(0)
	v_mul_f64 v[113:114], v[113:114], v[118:119]
	s_cbranch_execz .LBB119_1022
	s_branch .LBB119_1023
.LBB119_1021:
                                        ; implicit-def: $vgpr113_vgpr114
.LBB119_1022:
	ds_read_b64 v[113:114], v116
.LBB119_1023:
	v_cmp_ne_u32_e32 vcc, 48, v0
	s_and_saveexec_b64 s[8:9], vcc
	s_cbranch_execz .LBB119_1027
; %bb.1024:
	s_mov_b32 s10, 0
	v_add_u32_e32 v118, 0x1c8, v115
	v_add3_u32 v119, v115, s10, 8
	s_mov_b64 s[10:11], 0
	v_mov_b32_e32 v120, v0
.LBB119_1025:                           ; =>This Inner Loop Header: Depth=1
	buffer_load_dword v121, v119, s[0:3], 0 offen
	buffer_load_dword v122, v119, s[0:3], 0 offen offset:4
	ds_read_b64 v[123:124], v118
	v_add_u32_e32 v120, 1, v120
	v_cmp_lt_u32_e32 vcc, 47, v120
	v_add_u32_e32 v118, 8, v118
	s_or_b64 s[10:11], vcc, s[10:11]
	v_add_u32_e32 v119, 8, v119
	s_waitcnt vmcnt(0) lgkmcnt(0)
	v_fma_f64 v[113:114], v[121:122], v[123:124], v[113:114]
	s_andn2_b64 exec, exec, s[10:11]
	s_cbranch_execnz .LBB119_1025
; %bb.1026:
	s_or_b64 exec, exec, s[10:11]
.LBB119_1027:
	s_or_b64 exec, exec, s[8:9]
	v_mov_b32_e32 v118, 0
	ds_read_b64 v[118:119], v118 offset:392
	s_waitcnt lgkmcnt(0)
	v_mul_f64 v[113:114], v[113:114], v[118:119]
	buffer_store_dword v114, off, s[0:3], 0 offset:396
	buffer_store_dword v113, off, s[0:3], 0 offset:392
.LBB119_1028:
	s_or_b64 exec, exec, s[6:7]
	buffer_load_dword v113, off, s[0:3], 0 offset:400
	buffer_load_dword v114, off, s[0:3], 0 offset:404
	v_cmp_gt_u32_e32 vcc, 50, v0
	s_waitcnt vmcnt(0)
	ds_write_b64 v116, v[113:114]
	s_waitcnt lgkmcnt(0)
	; wave barrier
	s_and_saveexec_b64 s[6:7], vcc
	s_cbranch_execz .LBB119_1038
; %bb.1029:
	s_and_b64 vcc, exec, s[4:5]
	s_cbranch_vccnz .LBB119_1031
; %bb.1030:
	buffer_load_dword v113, v117, s[0:3], 0 offen
	buffer_load_dword v114, v117, s[0:3], 0 offen offset:4
	ds_read_b64 v[118:119], v116
	s_waitcnt vmcnt(0) lgkmcnt(0)
	v_mul_f64 v[113:114], v[113:114], v[118:119]
	s_cbranch_execz .LBB119_1032
	s_branch .LBB119_1033
.LBB119_1031:
                                        ; implicit-def: $vgpr113_vgpr114
.LBB119_1032:
	ds_read_b64 v[113:114], v116
.LBB119_1033:
	v_cmp_ne_u32_e32 vcc, 49, v0
	s_and_saveexec_b64 s[8:9], vcc
	s_cbranch_execz .LBB119_1037
; %bb.1034:
	s_mov_b32 s10, 0
	v_add_u32_e32 v118, 0x1c8, v115
	v_add3_u32 v119, v115, s10, 8
	s_mov_b64 s[10:11], 0
	v_mov_b32_e32 v120, v0
.LBB119_1035:                           ; =>This Inner Loop Header: Depth=1
	buffer_load_dword v121, v119, s[0:3], 0 offen
	buffer_load_dword v122, v119, s[0:3], 0 offen offset:4
	ds_read_b64 v[123:124], v118
	v_add_u32_e32 v120, 1, v120
	v_cmp_lt_u32_e32 vcc, 48, v120
	v_add_u32_e32 v118, 8, v118
	s_or_b64 s[10:11], vcc, s[10:11]
	v_add_u32_e32 v119, 8, v119
	s_waitcnt vmcnt(0) lgkmcnt(0)
	v_fma_f64 v[113:114], v[121:122], v[123:124], v[113:114]
	s_andn2_b64 exec, exec, s[10:11]
	s_cbranch_execnz .LBB119_1035
; %bb.1036:
	s_or_b64 exec, exec, s[10:11]
.LBB119_1037:
	s_or_b64 exec, exec, s[8:9]
	v_mov_b32_e32 v118, 0
	ds_read_b64 v[118:119], v118 offset:400
	s_waitcnt lgkmcnt(0)
	v_mul_f64 v[113:114], v[113:114], v[118:119]
	buffer_store_dword v114, off, s[0:3], 0 offset:404
	buffer_store_dword v113, off, s[0:3], 0 offset:400
.LBB119_1038:
	s_or_b64 exec, exec, s[6:7]
	buffer_load_dword v113, off, s[0:3], 0 offset:408
	buffer_load_dword v114, off, s[0:3], 0 offset:412
	v_cmp_gt_u32_e32 vcc, 51, v0
	s_waitcnt vmcnt(0)
	ds_write_b64 v116, v[113:114]
	s_waitcnt lgkmcnt(0)
	; wave barrier
	s_and_saveexec_b64 s[6:7], vcc
	s_cbranch_execz .LBB119_1048
; %bb.1039:
	s_and_b64 vcc, exec, s[4:5]
	s_cbranch_vccnz .LBB119_1041
; %bb.1040:
	buffer_load_dword v113, v117, s[0:3], 0 offen
	buffer_load_dword v114, v117, s[0:3], 0 offen offset:4
	ds_read_b64 v[118:119], v116
	s_waitcnt vmcnt(0) lgkmcnt(0)
	v_mul_f64 v[113:114], v[113:114], v[118:119]
	s_cbranch_execz .LBB119_1042
	s_branch .LBB119_1043
.LBB119_1041:
                                        ; implicit-def: $vgpr113_vgpr114
.LBB119_1042:
	ds_read_b64 v[113:114], v116
.LBB119_1043:
	v_cmp_ne_u32_e32 vcc, 50, v0
	s_and_saveexec_b64 s[8:9], vcc
	s_cbranch_execz .LBB119_1047
; %bb.1044:
	s_mov_b32 s10, 0
	v_add_u32_e32 v118, 0x1c8, v115
	v_add3_u32 v119, v115, s10, 8
	s_mov_b64 s[10:11], 0
	v_mov_b32_e32 v120, v0
.LBB119_1045:                           ; =>This Inner Loop Header: Depth=1
	buffer_load_dword v121, v119, s[0:3], 0 offen
	buffer_load_dword v122, v119, s[0:3], 0 offen offset:4
	ds_read_b64 v[123:124], v118
	v_add_u32_e32 v120, 1, v120
	v_cmp_lt_u32_e32 vcc, 49, v120
	v_add_u32_e32 v118, 8, v118
	s_or_b64 s[10:11], vcc, s[10:11]
	v_add_u32_e32 v119, 8, v119
	s_waitcnt vmcnt(0) lgkmcnt(0)
	v_fma_f64 v[113:114], v[121:122], v[123:124], v[113:114]
	s_andn2_b64 exec, exec, s[10:11]
	s_cbranch_execnz .LBB119_1045
; %bb.1046:
	s_or_b64 exec, exec, s[10:11]
.LBB119_1047:
	s_or_b64 exec, exec, s[8:9]
	v_mov_b32_e32 v118, 0
	ds_read_b64 v[118:119], v118 offset:408
	s_waitcnt lgkmcnt(0)
	v_mul_f64 v[113:114], v[113:114], v[118:119]
	buffer_store_dword v114, off, s[0:3], 0 offset:412
	buffer_store_dword v113, off, s[0:3], 0 offset:408
.LBB119_1048:
	s_or_b64 exec, exec, s[6:7]
	buffer_load_dword v113, off, s[0:3], 0 offset:416
	buffer_load_dword v114, off, s[0:3], 0 offset:420
	v_cmp_gt_u32_e32 vcc, 52, v0
	s_waitcnt vmcnt(0)
	ds_write_b64 v116, v[113:114]
	s_waitcnt lgkmcnt(0)
	; wave barrier
	s_and_saveexec_b64 s[6:7], vcc
	s_cbranch_execz .LBB119_1058
; %bb.1049:
	s_and_b64 vcc, exec, s[4:5]
	s_cbranch_vccnz .LBB119_1051
; %bb.1050:
	buffer_load_dword v113, v117, s[0:3], 0 offen
	buffer_load_dword v114, v117, s[0:3], 0 offen offset:4
	ds_read_b64 v[118:119], v116
	s_waitcnt vmcnt(0) lgkmcnt(0)
	v_mul_f64 v[113:114], v[113:114], v[118:119]
	s_cbranch_execz .LBB119_1052
	s_branch .LBB119_1053
.LBB119_1051:
                                        ; implicit-def: $vgpr113_vgpr114
.LBB119_1052:
	ds_read_b64 v[113:114], v116
.LBB119_1053:
	v_cmp_ne_u32_e32 vcc, 51, v0
	s_and_saveexec_b64 s[8:9], vcc
	s_cbranch_execz .LBB119_1057
; %bb.1054:
	s_mov_b32 s10, 0
	v_add_u32_e32 v118, 0x1c8, v115
	v_add3_u32 v119, v115, s10, 8
	s_mov_b64 s[10:11], 0
	v_mov_b32_e32 v120, v0
.LBB119_1055:                           ; =>This Inner Loop Header: Depth=1
	buffer_load_dword v121, v119, s[0:3], 0 offen
	buffer_load_dword v122, v119, s[0:3], 0 offen offset:4
	ds_read_b64 v[123:124], v118
	v_add_u32_e32 v120, 1, v120
	v_cmp_lt_u32_e32 vcc, 50, v120
	v_add_u32_e32 v118, 8, v118
	s_or_b64 s[10:11], vcc, s[10:11]
	v_add_u32_e32 v119, 8, v119
	s_waitcnt vmcnt(0) lgkmcnt(0)
	v_fma_f64 v[113:114], v[121:122], v[123:124], v[113:114]
	s_andn2_b64 exec, exec, s[10:11]
	s_cbranch_execnz .LBB119_1055
; %bb.1056:
	s_or_b64 exec, exec, s[10:11]
.LBB119_1057:
	s_or_b64 exec, exec, s[8:9]
	v_mov_b32_e32 v118, 0
	ds_read_b64 v[118:119], v118 offset:416
	s_waitcnt lgkmcnt(0)
	v_mul_f64 v[113:114], v[113:114], v[118:119]
	buffer_store_dword v114, off, s[0:3], 0 offset:420
	buffer_store_dword v113, off, s[0:3], 0 offset:416
.LBB119_1058:
	s_or_b64 exec, exec, s[6:7]
	buffer_load_dword v113, off, s[0:3], 0 offset:424
	buffer_load_dword v114, off, s[0:3], 0 offset:428
	v_cmp_gt_u32_e32 vcc, 53, v0
	s_waitcnt vmcnt(0)
	ds_write_b64 v116, v[113:114]
	s_waitcnt lgkmcnt(0)
	; wave barrier
	s_and_saveexec_b64 s[6:7], vcc
	s_cbranch_execz .LBB119_1068
; %bb.1059:
	s_and_b64 vcc, exec, s[4:5]
	s_cbranch_vccnz .LBB119_1061
; %bb.1060:
	buffer_load_dword v113, v117, s[0:3], 0 offen
	buffer_load_dword v114, v117, s[0:3], 0 offen offset:4
	ds_read_b64 v[118:119], v116
	s_waitcnt vmcnt(0) lgkmcnt(0)
	v_mul_f64 v[113:114], v[113:114], v[118:119]
	s_cbranch_execz .LBB119_1062
	s_branch .LBB119_1063
.LBB119_1061:
                                        ; implicit-def: $vgpr113_vgpr114
.LBB119_1062:
	ds_read_b64 v[113:114], v116
.LBB119_1063:
	v_cmp_ne_u32_e32 vcc, 52, v0
	s_and_saveexec_b64 s[8:9], vcc
	s_cbranch_execz .LBB119_1067
; %bb.1064:
	s_mov_b32 s10, 0
	v_add_u32_e32 v118, 0x1c8, v115
	v_add3_u32 v119, v115, s10, 8
	s_mov_b64 s[10:11], 0
	v_mov_b32_e32 v120, v0
.LBB119_1065:                           ; =>This Inner Loop Header: Depth=1
	buffer_load_dword v121, v119, s[0:3], 0 offen
	buffer_load_dword v122, v119, s[0:3], 0 offen offset:4
	ds_read_b64 v[123:124], v118
	v_add_u32_e32 v120, 1, v120
	v_cmp_lt_u32_e32 vcc, 51, v120
	v_add_u32_e32 v118, 8, v118
	s_or_b64 s[10:11], vcc, s[10:11]
	v_add_u32_e32 v119, 8, v119
	s_waitcnt vmcnt(0) lgkmcnt(0)
	v_fma_f64 v[113:114], v[121:122], v[123:124], v[113:114]
	s_andn2_b64 exec, exec, s[10:11]
	s_cbranch_execnz .LBB119_1065
; %bb.1066:
	s_or_b64 exec, exec, s[10:11]
.LBB119_1067:
	s_or_b64 exec, exec, s[8:9]
	v_mov_b32_e32 v118, 0
	ds_read_b64 v[118:119], v118 offset:424
	s_waitcnt lgkmcnt(0)
	v_mul_f64 v[113:114], v[113:114], v[118:119]
	buffer_store_dword v114, off, s[0:3], 0 offset:428
	buffer_store_dword v113, off, s[0:3], 0 offset:424
.LBB119_1068:
	s_or_b64 exec, exec, s[6:7]
	buffer_load_dword v113, off, s[0:3], 0 offset:432
	buffer_load_dword v114, off, s[0:3], 0 offset:436
	v_cmp_gt_u32_e64 s[6:7], 54, v0
	s_waitcnt vmcnt(0)
	ds_write_b64 v116, v[113:114]
	s_waitcnt lgkmcnt(0)
	; wave barrier
	s_and_saveexec_b64 s[8:9], s[6:7]
	s_cbranch_execz .LBB119_1078
; %bb.1069:
	s_and_b64 vcc, exec, s[4:5]
	s_cbranch_vccnz .LBB119_1071
; %bb.1070:
	buffer_load_dword v113, v117, s[0:3], 0 offen
	buffer_load_dword v114, v117, s[0:3], 0 offen offset:4
	ds_read_b64 v[118:119], v116
	s_waitcnt vmcnt(0) lgkmcnt(0)
	v_mul_f64 v[113:114], v[113:114], v[118:119]
	s_cbranch_execz .LBB119_1072
	s_branch .LBB119_1073
.LBB119_1071:
                                        ; implicit-def: $vgpr113_vgpr114
.LBB119_1072:
	ds_read_b64 v[113:114], v116
.LBB119_1073:
	v_cmp_ne_u32_e32 vcc, 53, v0
	s_and_saveexec_b64 s[10:11], vcc
	s_cbranch_execz .LBB119_1077
; %bb.1074:
	s_mov_b32 s12, 0
	v_add_u32_e32 v118, 0x1c8, v115
	v_add3_u32 v119, v115, s12, 8
	s_mov_b64 s[12:13], 0
	v_mov_b32_e32 v120, v0
.LBB119_1075:                           ; =>This Inner Loop Header: Depth=1
	buffer_load_dword v121, v119, s[0:3], 0 offen
	buffer_load_dword v122, v119, s[0:3], 0 offen offset:4
	ds_read_b64 v[123:124], v118
	v_add_u32_e32 v120, 1, v120
	v_cmp_lt_u32_e32 vcc, 52, v120
	v_add_u32_e32 v118, 8, v118
	s_or_b64 s[12:13], vcc, s[12:13]
	v_add_u32_e32 v119, 8, v119
	s_waitcnt vmcnt(0) lgkmcnt(0)
	v_fma_f64 v[113:114], v[121:122], v[123:124], v[113:114]
	s_andn2_b64 exec, exec, s[12:13]
	s_cbranch_execnz .LBB119_1075
; %bb.1076:
	s_or_b64 exec, exec, s[12:13]
.LBB119_1077:
	s_or_b64 exec, exec, s[10:11]
	v_mov_b32_e32 v118, 0
	ds_read_b64 v[118:119], v118 offset:432
	s_waitcnt lgkmcnt(0)
	v_mul_f64 v[113:114], v[113:114], v[118:119]
	buffer_store_dword v114, off, s[0:3], 0 offset:436
	buffer_store_dword v113, off, s[0:3], 0 offset:432
.LBB119_1078:
	s_or_b64 exec, exec, s[8:9]
	buffer_load_dword v113, off, s[0:3], 0 offset:440
	buffer_load_dword v114, off, s[0:3], 0 offset:444
	v_cmp_ne_u32_e32 vcc, 55, v0
	s_waitcnt vmcnt(0)
	ds_write_b64 v116, v[113:114]
	s_waitcnt lgkmcnt(0)
	; wave barrier
	s_and_saveexec_b64 s[8:9], vcc
	s_cbranch_execz .LBB119_1088
; %bb.1079:
	s_and_b64 vcc, exec, s[4:5]
	s_cbranch_vccnz .LBB119_1081
; %bb.1080:
	buffer_load_dword v113, v117, s[0:3], 0 offen
	buffer_load_dword v114, v117, s[0:3], 0 offen offset:4
	ds_read_b64 v[117:118], v116
	s_waitcnt vmcnt(0) lgkmcnt(0)
	v_mul_f64 v[113:114], v[113:114], v[117:118]
	s_cbranch_execz .LBB119_1082
	s_branch .LBB119_1083
.LBB119_1081:
                                        ; implicit-def: $vgpr113_vgpr114
.LBB119_1082:
	ds_read_b64 v[113:114], v116
.LBB119_1083:
	s_and_saveexec_b64 s[4:5], s[6:7]
	s_cbranch_execz .LBB119_1087
; %bb.1084:
	s_mov_b32 s6, 0
	v_add_u32_e32 v116, 0x1c8, v115
	v_add3_u32 v115, v115, s6, 8
	s_mov_b64 s[6:7], 0
.LBB119_1085:                           ; =>This Inner Loop Header: Depth=1
	buffer_load_dword v117, v115, s[0:3], 0 offen
	buffer_load_dword v118, v115, s[0:3], 0 offen offset:4
	ds_read_b64 v[119:120], v116
	v_add_u32_e32 v0, 1, v0
	v_cmp_lt_u32_e32 vcc, 53, v0
	v_add_u32_e32 v116, 8, v116
	s_or_b64 s[6:7], vcc, s[6:7]
	v_add_u32_e32 v115, 8, v115
	s_waitcnt vmcnt(0) lgkmcnt(0)
	v_fma_f64 v[113:114], v[117:118], v[119:120], v[113:114]
	s_andn2_b64 exec, exec, s[6:7]
	s_cbranch_execnz .LBB119_1085
; %bb.1086:
	s_or_b64 exec, exec, s[6:7]
.LBB119_1087:
	s_or_b64 exec, exec, s[4:5]
	v_mov_b32_e32 v0, 0
	ds_read_b64 v[115:116], v0 offset:440
	s_waitcnt lgkmcnt(0)
	v_mul_f64 v[113:114], v[113:114], v[115:116]
	buffer_store_dword v114, off, s[0:3], 0 offset:444
	buffer_store_dword v113, off, s[0:3], 0 offset:440
.LBB119_1088:
	s_or_b64 exec, exec, s[8:9]
.LBB119_1089:
	buffer_load_dword v113, off, s[0:3], 0
	buffer_load_dword v114, off, s[0:3], 0 offset:4
	s_waitcnt vmcnt(0)
	flat_store_dwordx2 v[1:2], v[113:114]
	buffer_load_dword v0, off, s[0:3], 0 offset:8
	s_nop 0
	buffer_load_dword v1, off, s[0:3], 0 offset:12
	s_waitcnt vmcnt(0)
	flat_store_dwordx2 v[3:4], v[0:1]
	buffer_load_dword v0, off, s[0:3], 0 offset:16
	s_nop 0
	;; [unrolled: 5-line block ×55, first 2 shown]
	buffer_load_dword v1, off, s[0:3], 0 offset:444
	s_waitcnt vmcnt(0)
	flat_store_dwordx2 v[111:112], v[0:1]
.LBB119_1090:
	s_endpgm
	.section	.rodata,"a",@progbits
	.p2align	6, 0x0
	.amdhsa_kernel _ZN9rocsolver6v33100L18trti2_kernel_smallILi56EdPKPdEEv13rocblas_fill_17rocblas_diagonal_T1_iil
		.amdhsa_group_segment_fixed_size 896
		.amdhsa_private_segment_fixed_size 464
		.amdhsa_kernarg_size 32
		.amdhsa_user_sgpr_count 6
		.amdhsa_user_sgpr_private_segment_buffer 1
		.amdhsa_user_sgpr_dispatch_ptr 0
		.amdhsa_user_sgpr_queue_ptr 0
		.amdhsa_user_sgpr_kernarg_segment_ptr 1
		.amdhsa_user_sgpr_dispatch_id 0
		.amdhsa_user_sgpr_flat_scratch_init 0
		.amdhsa_user_sgpr_private_segment_size 0
		.amdhsa_uses_dynamic_stack 0
		.amdhsa_system_sgpr_private_segment_wavefront_offset 1
		.amdhsa_system_sgpr_workgroup_id_x 1
		.amdhsa_system_sgpr_workgroup_id_y 0
		.amdhsa_system_sgpr_workgroup_id_z 0
		.amdhsa_system_sgpr_workgroup_info 0
		.amdhsa_system_vgpr_workitem_id 0
		.amdhsa_next_free_vgpr 126
		.amdhsa_next_free_sgpr 69
		.amdhsa_reserve_vcc 1
		.amdhsa_reserve_flat_scratch 0
		.amdhsa_float_round_mode_32 0
		.amdhsa_float_round_mode_16_64 0
		.amdhsa_float_denorm_mode_32 3
		.amdhsa_float_denorm_mode_16_64 3
		.amdhsa_dx10_clamp 1
		.amdhsa_ieee_mode 1
		.amdhsa_fp16_overflow 0
		.amdhsa_exception_fp_ieee_invalid_op 0
		.amdhsa_exception_fp_denorm_src 0
		.amdhsa_exception_fp_ieee_div_zero 0
		.amdhsa_exception_fp_ieee_overflow 0
		.amdhsa_exception_fp_ieee_underflow 0
		.amdhsa_exception_fp_ieee_inexact 0
		.amdhsa_exception_int_div_zero 0
	.end_amdhsa_kernel
	.section	.text._ZN9rocsolver6v33100L18trti2_kernel_smallILi56EdPKPdEEv13rocblas_fill_17rocblas_diagonal_T1_iil,"axG",@progbits,_ZN9rocsolver6v33100L18trti2_kernel_smallILi56EdPKPdEEv13rocblas_fill_17rocblas_diagonal_T1_iil,comdat
.Lfunc_end119:
	.size	_ZN9rocsolver6v33100L18trti2_kernel_smallILi56EdPKPdEEv13rocblas_fill_17rocblas_diagonal_T1_iil, .Lfunc_end119-_ZN9rocsolver6v33100L18trti2_kernel_smallILi56EdPKPdEEv13rocblas_fill_17rocblas_diagonal_T1_iil
                                        ; -- End function
	.set _ZN9rocsolver6v33100L18trti2_kernel_smallILi56EdPKPdEEv13rocblas_fill_17rocblas_diagonal_T1_iil.num_vgpr, 126
	.set _ZN9rocsolver6v33100L18trti2_kernel_smallILi56EdPKPdEEv13rocblas_fill_17rocblas_diagonal_T1_iil.num_agpr, 0
	.set _ZN9rocsolver6v33100L18trti2_kernel_smallILi56EdPKPdEEv13rocblas_fill_17rocblas_diagonal_T1_iil.numbered_sgpr, 69
	.set _ZN9rocsolver6v33100L18trti2_kernel_smallILi56EdPKPdEEv13rocblas_fill_17rocblas_diagonal_T1_iil.num_named_barrier, 0
	.set _ZN9rocsolver6v33100L18trti2_kernel_smallILi56EdPKPdEEv13rocblas_fill_17rocblas_diagonal_T1_iil.private_seg_size, 464
	.set _ZN9rocsolver6v33100L18trti2_kernel_smallILi56EdPKPdEEv13rocblas_fill_17rocblas_diagonal_T1_iil.uses_vcc, 1
	.set _ZN9rocsolver6v33100L18trti2_kernel_smallILi56EdPKPdEEv13rocblas_fill_17rocblas_diagonal_T1_iil.uses_flat_scratch, 0
	.set _ZN9rocsolver6v33100L18trti2_kernel_smallILi56EdPKPdEEv13rocblas_fill_17rocblas_diagonal_T1_iil.has_dyn_sized_stack, 0
	.set _ZN9rocsolver6v33100L18trti2_kernel_smallILi56EdPKPdEEv13rocblas_fill_17rocblas_diagonal_T1_iil.has_recursion, 0
	.set _ZN9rocsolver6v33100L18trti2_kernel_smallILi56EdPKPdEEv13rocblas_fill_17rocblas_diagonal_T1_iil.has_indirect_call, 0
	.section	.AMDGPU.csdata,"",@progbits
; Kernel info:
; codeLenInByte = 33328
; TotalNumSgprs: 73
; NumVgprs: 126
; ScratchSize: 464
; MemoryBound: 0
; FloatMode: 240
; IeeeMode: 1
; LDSByteSize: 896 bytes/workgroup (compile time only)
; SGPRBlocks: 9
; VGPRBlocks: 31
; NumSGPRsForWavesPerEU: 73
; NumVGPRsForWavesPerEU: 126
; Occupancy: 2
; WaveLimiterHint : 1
; COMPUTE_PGM_RSRC2:SCRATCH_EN: 1
; COMPUTE_PGM_RSRC2:USER_SGPR: 6
; COMPUTE_PGM_RSRC2:TRAP_HANDLER: 0
; COMPUTE_PGM_RSRC2:TGID_X_EN: 1
; COMPUTE_PGM_RSRC2:TGID_Y_EN: 0
; COMPUTE_PGM_RSRC2:TGID_Z_EN: 0
; COMPUTE_PGM_RSRC2:TIDIG_COMP_CNT: 0
	.section	.text._ZN9rocsolver6v33100L18trti2_kernel_smallILi57EdPKPdEEv13rocblas_fill_17rocblas_diagonal_T1_iil,"axG",@progbits,_ZN9rocsolver6v33100L18trti2_kernel_smallILi57EdPKPdEEv13rocblas_fill_17rocblas_diagonal_T1_iil,comdat
	.globl	_ZN9rocsolver6v33100L18trti2_kernel_smallILi57EdPKPdEEv13rocblas_fill_17rocblas_diagonal_T1_iil ; -- Begin function _ZN9rocsolver6v33100L18trti2_kernel_smallILi57EdPKPdEEv13rocblas_fill_17rocblas_diagonal_T1_iil
	.p2align	8
	.type	_ZN9rocsolver6v33100L18trti2_kernel_smallILi57EdPKPdEEv13rocblas_fill_17rocblas_diagonal_T1_iil,@function
_ZN9rocsolver6v33100L18trti2_kernel_smallILi57EdPKPdEEv13rocblas_fill_17rocblas_diagonal_T1_iil: ; @_ZN9rocsolver6v33100L18trti2_kernel_smallILi57EdPKPdEEv13rocblas_fill_17rocblas_diagonal_T1_iil
; %bb.0:
	s_add_u32 s0, s0, s7
	s_addc_u32 s1, s1, 0
	v_cmp_gt_u32_e32 vcc, 57, v0
	s_and_saveexec_b64 s[8:9], vcc
	s_cbranch_execz .LBB120_1110
; %bb.1:
	s_load_dwordx2 s[12:13], s[4:5], 0x10
	s_load_dwordx4 s[8:11], s[4:5], 0x0
	s_ashr_i32 s7, s6, 31
	s_lshl_b64 s[6:7], s[6:7], 3
	v_lshlrev_b32_e32 v117, 3, v0
	s_waitcnt lgkmcnt(0)
	s_ashr_i32 s5, s12, 31
	s_add_u32 s6, s10, s6
	s_addc_u32 s7, s11, s7
	s_load_dwordx2 s[6:7], s[6:7], 0x0
	s_mov_b32 s4, s12
	s_lshl_b64 s[4:5], s[4:5], 3
	s_waitcnt lgkmcnt(0)
	s_add_u32 s4, s6, s4
	s_addc_u32 s5, s7, s5
	v_mov_b32_e32 v2, s5
	v_add_co_u32_e32 v1, vcc, s4, v117
	v_addc_co_u32_e32 v2, vcc, 0, v2, vcc
	flat_load_dwordx2 v[5:6], v[1:2]
	s_mov_b32 s6, s13
	s_ashr_i32 s7, s13, 31
	s_lshl_b64 s[6:7], s[6:7], 3
	v_mov_b32_e32 v4, s7
	v_add_co_u32_e32 v3, vcc, s6, v1
	v_addc_co_u32_e32 v4, vcc, v2, v4, vcc
	s_add_i32 s6, s13, s13
	v_add_u32_e32 v9, s6, v0
	v_ashrrev_i32_e32 v10, 31, v9
	v_mov_b32_e32 v11, s5
	v_add_u32_e32 v12, s13, v9
	v_ashrrev_i32_e32 v13, 31, v12
	v_mov_b32_e32 v14, s5
	v_mov_b32_e32 v15, s5
	;; [unrolled: 1-line block ×53, first 2 shown]
	s_cmpk_lg_i32 s9, 0x84
	s_cselect_b64 s[10:11], -1, 0
	s_cmpk_eq_i32 s9, 0x84
	s_waitcnt vmcnt(0) lgkmcnt(0)
	buffer_store_dword v6, off, s[0:3], 0 offset:4
	buffer_store_dword v5, off, s[0:3], 0
	flat_load_dwordx2 v[7:8], v[3:4]
	v_lshlrev_b64 v[5:6], 3, v[9:10]
	s_waitcnt vmcnt(0) lgkmcnt(0)
	buffer_store_dword v8, off, s[0:3], 0 offset:12
	buffer_store_dword v7, off, s[0:3], 0 offset:8
	v_add_co_u32_e32 v5, vcc, s4, v5
	v_addc_co_u32_e32 v6, vcc, v11, v6, vcc
	flat_load_dwordx2 v[10:11], v[5:6]
	v_lshlrev_b64 v[7:8], 3, v[12:13]
	s_waitcnt vmcnt(0) lgkmcnt(0)
	buffer_store_dword v11, off, s[0:3], 0 offset:20
	buffer_store_dword v10, off, s[0:3], 0 offset:16
	v_add_co_u32_e32 v7, vcc, s4, v7
	v_addc_co_u32_e32 v8, vcc, v14, v8, vcc
	flat_load_dwordx2 v[13:14], v[7:8]
	v_add_u32_e32 v11, s13, v12
	v_ashrrev_i32_e32 v12, 31, v11
	v_lshlrev_b64 v[9:10], 3, v[11:12]
	s_waitcnt vmcnt(0) lgkmcnt(0)
	buffer_store_dword v14, off, s[0:3], 0 offset:28
	buffer_store_dword v13, off, s[0:3], 0 offset:24
	v_add_co_u32_e32 v9, vcc, s4, v9
	v_addc_co_u32_e32 v10, vcc, v15, v10, vcc
	flat_load_dwordx2 v[13:14], v[9:10]
	v_add_u32_e32 v15, s13, v11
	v_ashrrev_i32_e32 v16, 31, v15
	v_lshlrev_b64 v[11:12], 3, v[15:16]
	v_add_u32_e32 v18, s13, v15
	v_add_co_u32_e32 v11, vcc, s4, v11
	v_addc_co_u32_e32 v12, vcc, v17, v12, vcc
	v_ashrrev_i32_e32 v19, 31, v18
	s_waitcnt vmcnt(0) lgkmcnt(0)
	buffer_store_dword v14, off, s[0:3], 0 offset:36
	buffer_store_dword v13, off, s[0:3], 0 offset:32
	flat_load_dwordx2 v[16:17], v[11:12]
	v_lshlrev_b64 v[13:14], 3, v[18:19]
	s_waitcnt vmcnt(0) lgkmcnt(0)
	buffer_store_dword v17, off, s[0:3], 0 offset:44
	buffer_store_dword v16, off, s[0:3], 0 offset:40
	v_add_co_u32_e32 v13, vcc, s4, v13
	v_addc_co_u32_e32 v14, vcc, v20, v14, vcc
	flat_load_dwordx2 v[19:20], v[13:14]
	v_add_u32_e32 v17, s13, v18
	v_ashrrev_i32_e32 v18, 31, v17
	v_lshlrev_b64 v[15:16], 3, v[17:18]
	s_waitcnt vmcnt(0) lgkmcnt(0)
	buffer_store_dword v20, off, s[0:3], 0 offset:52
	buffer_store_dword v19, off, s[0:3], 0 offset:48
	v_add_co_u32_e32 v15, vcc, s4, v15
	v_addc_co_u32_e32 v16, vcc, v21, v16, vcc
	flat_load_dwordx2 v[19:20], v[15:16]
	v_add_u32_e32 v21, s13, v17
	v_ashrrev_i32_e32 v22, 31, v21
	v_lshlrev_b64 v[17:18], 3, v[21:22]
	v_add_u32_e32 v24, s13, v21
	v_add_co_u32_e32 v17, vcc, s4, v17
	v_addc_co_u32_e32 v18, vcc, v23, v18, vcc
	v_ashrrev_i32_e32 v25, 31, v24
	s_waitcnt vmcnt(0) lgkmcnt(0)
	buffer_store_dword v20, off, s[0:3], 0 offset:60
	buffer_store_dword v19, off, s[0:3], 0 offset:56
	flat_load_dwordx2 v[22:23], v[17:18]
	v_lshlrev_b64 v[19:20], 3, v[24:25]
	s_waitcnt vmcnt(0) lgkmcnt(0)
	buffer_store_dword v23, off, s[0:3], 0 offset:68
	buffer_store_dword v22, off, s[0:3], 0 offset:64
	v_add_co_u32_e32 v19, vcc, s4, v19
	v_addc_co_u32_e32 v20, vcc, v26, v20, vcc
	flat_load_dwordx2 v[25:26], v[19:20]
	v_add_u32_e32 v23, s13, v24
	v_ashrrev_i32_e32 v24, 31, v23
	v_lshlrev_b64 v[21:22], 3, v[23:24]
	s_waitcnt vmcnt(0) lgkmcnt(0)
	buffer_store_dword v26, off, s[0:3], 0 offset:76
	buffer_store_dword v25, off, s[0:3], 0 offset:72
	v_add_co_u32_e32 v21, vcc, s4, v21
	v_addc_co_u32_e32 v22, vcc, v27, v22, vcc
	flat_load_dwordx2 v[25:26], v[21:22]
	v_add_u32_e32 v27, s13, v23
	v_ashrrev_i32_e32 v28, 31, v27
	v_lshlrev_b64 v[23:24], 3, v[27:28]
	v_add_u32_e32 v30, s13, v27
	v_add_co_u32_e32 v23, vcc, s4, v23
	v_addc_co_u32_e32 v24, vcc, v29, v24, vcc
	v_ashrrev_i32_e32 v31, 31, v30
	s_waitcnt vmcnt(0) lgkmcnt(0)
	buffer_store_dword v26, off, s[0:3], 0 offset:84
	buffer_store_dword v25, off, s[0:3], 0 offset:80
	flat_load_dwordx2 v[28:29], v[23:24]
	v_lshlrev_b64 v[25:26], 3, v[30:31]
	s_waitcnt vmcnt(0) lgkmcnt(0)
	buffer_store_dword v29, off, s[0:3], 0 offset:92
	buffer_store_dword v28, off, s[0:3], 0 offset:88
	v_add_co_u32_e32 v25, vcc, s4, v25
	v_addc_co_u32_e32 v26, vcc, v32, v26, vcc
	flat_load_dwordx2 v[31:32], v[25:26]
	v_add_u32_e32 v29, s13, v30
	v_ashrrev_i32_e32 v30, 31, v29
	v_lshlrev_b64 v[27:28], 3, v[29:30]
	s_waitcnt vmcnt(0) lgkmcnt(0)
	buffer_store_dword v32, off, s[0:3], 0 offset:100
	buffer_store_dword v31, off, s[0:3], 0 offset:96
	v_add_co_u32_e32 v27, vcc, s4, v27
	v_addc_co_u32_e32 v28, vcc, v33, v28, vcc
	flat_load_dwordx2 v[31:32], v[27:28]
	v_add_u32_e32 v33, s13, v29
	v_ashrrev_i32_e32 v34, 31, v33
	v_lshlrev_b64 v[29:30], 3, v[33:34]
	v_add_u32_e32 v36, s13, v33
	v_add_co_u32_e32 v29, vcc, s4, v29
	v_addc_co_u32_e32 v30, vcc, v35, v30, vcc
	v_ashrrev_i32_e32 v37, 31, v36
	s_waitcnt vmcnt(0) lgkmcnt(0)
	buffer_store_dword v32, off, s[0:3], 0 offset:108
	buffer_store_dword v31, off, s[0:3], 0 offset:104
	flat_load_dwordx2 v[34:35], v[29:30]
	v_lshlrev_b64 v[31:32], 3, v[36:37]
	s_waitcnt vmcnt(0) lgkmcnt(0)
	buffer_store_dword v35, off, s[0:3], 0 offset:116
	buffer_store_dword v34, off, s[0:3], 0 offset:112
	v_add_co_u32_e32 v31, vcc, s4, v31
	v_addc_co_u32_e32 v32, vcc, v38, v32, vcc
	flat_load_dwordx2 v[37:38], v[31:32]
	v_add_u32_e32 v35, s13, v36
	v_ashrrev_i32_e32 v36, 31, v35
	v_lshlrev_b64 v[33:34], 3, v[35:36]
	s_waitcnt vmcnt(0) lgkmcnt(0)
	buffer_store_dword v38, off, s[0:3], 0 offset:124
	buffer_store_dword v37, off, s[0:3], 0 offset:120
	v_add_co_u32_e32 v33, vcc, s4, v33
	v_addc_co_u32_e32 v34, vcc, v39, v34, vcc
	flat_load_dwordx2 v[37:38], v[33:34]
	v_add_u32_e32 v39, s13, v35
	v_ashrrev_i32_e32 v40, 31, v39
	v_lshlrev_b64 v[35:36], 3, v[39:40]
	v_add_u32_e32 v42, s13, v39
	v_add_co_u32_e32 v35, vcc, s4, v35
	v_addc_co_u32_e32 v36, vcc, v41, v36, vcc
	v_ashrrev_i32_e32 v43, 31, v42
	s_waitcnt vmcnt(0) lgkmcnt(0)
	buffer_store_dword v38, off, s[0:3], 0 offset:132
	buffer_store_dword v37, off, s[0:3], 0 offset:128
	flat_load_dwordx2 v[40:41], v[35:36]
	v_lshlrev_b64 v[37:38], 3, v[42:43]
	s_waitcnt vmcnt(0) lgkmcnt(0)
	buffer_store_dword v41, off, s[0:3], 0 offset:140
	buffer_store_dword v40, off, s[0:3], 0 offset:136
	v_add_co_u32_e32 v37, vcc, s4, v37
	v_addc_co_u32_e32 v38, vcc, v44, v38, vcc
	flat_load_dwordx2 v[43:44], v[37:38]
	v_add_u32_e32 v41, s13, v42
	v_ashrrev_i32_e32 v42, 31, v41
	v_lshlrev_b64 v[39:40], 3, v[41:42]
	s_waitcnt vmcnt(0) lgkmcnt(0)
	buffer_store_dword v44, off, s[0:3], 0 offset:148
	buffer_store_dword v43, off, s[0:3], 0 offset:144
	v_add_co_u32_e32 v39, vcc, s4, v39
	v_addc_co_u32_e32 v40, vcc, v45, v40, vcc
	flat_load_dwordx2 v[43:44], v[39:40]
	v_add_u32_e32 v45, s13, v41
	v_ashrrev_i32_e32 v46, 31, v45
	v_lshlrev_b64 v[41:42], 3, v[45:46]
	v_add_u32_e32 v48, s13, v45
	v_add_co_u32_e32 v41, vcc, s4, v41
	v_addc_co_u32_e32 v42, vcc, v47, v42, vcc
	v_ashrrev_i32_e32 v49, 31, v48
	s_waitcnt vmcnt(0) lgkmcnt(0)
	buffer_store_dword v44, off, s[0:3], 0 offset:156
	buffer_store_dword v43, off, s[0:3], 0 offset:152
	flat_load_dwordx2 v[46:47], v[41:42]
	v_lshlrev_b64 v[43:44], 3, v[48:49]
	s_waitcnt vmcnt(0) lgkmcnt(0)
	buffer_store_dword v47, off, s[0:3], 0 offset:164
	buffer_store_dword v46, off, s[0:3], 0 offset:160
	v_add_co_u32_e32 v43, vcc, s4, v43
	v_addc_co_u32_e32 v44, vcc, v50, v44, vcc
	flat_load_dwordx2 v[49:50], v[43:44]
	v_add_u32_e32 v47, s13, v48
	v_ashrrev_i32_e32 v48, 31, v47
	v_lshlrev_b64 v[45:46], 3, v[47:48]
	s_waitcnt vmcnt(0) lgkmcnt(0)
	buffer_store_dword v50, off, s[0:3], 0 offset:172
	buffer_store_dword v49, off, s[0:3], 0 offset:168
	v_add_co_u32_e32 v45, vcc, s4, v45
	v_addc_co_u32_e32 v46, vcc, v51, v46, vcc
	flat_load_dwordx2 v[49:50], v[45:46]
	v_add_u32_e32 v51, s13, v47
	v_ashrrev_i32_e32 v52, 31, v51
	v_lshlrev_b64 v[47:48], 3, v[51:52]
	v_add_u32_e32 v54, s13, v51
	v_add_co_u32_e32 v47, vcc, s4, v47
	v_addc_co_u32_e32 v48, vcc, v53, v48, vcc
	v_ashrrev_i32_e32 v55, 31, v54
	s_waitcnt vmcnt(0) lgkmcnt(0)
	buffer_store_dword v50, off, s[0:3], 0 offset:180
	buffer_store_dword v49, off, s[0:3], 0 offset:176
	flat_load_dwordx2 v[52:53], v[47:48]
	v_lshlrev_b64 v[49:50], 3, v[54:55]
	s_waitcnt vmcnt(0) lgkmcnt(0)
	buffer_store_dword v53, off, s[0:3], 0 offset:188
	buffer_store_dword v52, off, s[0:3], 0 offset:184
	v_add_co_u32_e32 v49, vcc, s4, v49
	v_addc_co_u32_e32 v50, vcc, v56, v50, vcc
	flat_load_dwordx2 v[55:56], v[49:50]
	v_add_u32_e32 v53, s13, v54
	v_ashrrev_i32_e32 v54, 31, v53
	v_lshlrev_b64 v[51:52], 3, v[53:54]
	s_waitcnt vmcnt(0) lgkmcnt(0)
	buffer_store_dword v56, off, s[0:3], 0 offset:196
	buffer_store_dword v55, off, s[0:3], 0 offset:192
	v_add_co_u32_e32 v51, vcc, s4, v51
	v_addc_co_u32_e32 v52, vcc, v57, v52, vcc
	flat_load_dwordx2 v[55:56], v[51:52]
	v_add_u32_e32 v57, s13, v53
	v_ashrrev_i32_e32 v58, 31, v57
	v_lshlrev_b64 v[53:54], 3, v[57:58]
	v_add_u32_e32 v60, s13, v57
	v_add_co_u32_e32 v53, vcc, s4, v53
	v_addc_co_u32_e32 v54, vcc, v59, v54, vcc
	s_waitcnt vmcnt(0) lgkmcnt(0)
	buffer_store_dword v56, off, s[0:3], 0 offset:204
	buffer_store_dword v55, off, s[0:3], 0 offset:200
	flat_load_dwordx2 v[58:59], v[53:54]
	v_ashrrev_i32_e32 v61, 31, v60
	v_lshlrev_b64 v[55:56], 3, v[60:61]
	s_waitcnt vmcnt(0) lgkmcnt(0)
	buffer_store_dword v59, off, s[0:3], 0 offset:212
	buffer_store_dword v58, off, s[0:3], 0 offset:208
	v_add_co_u32_e32 v55, vcc, s4, v55
	v_addc_co_u32_e32 v56, vcc, v62, v56, vcc
	flat_load_dwordx2 v[61:62], v[55:56]
	v_add_u32_e32 v59, s13, v60
	v_ashrrev_i32_e32 v60, 31, v59
	v_lshlrev_b64 v[57:58], 3, v[59:60]
	s_waitcnt vmcnt(0) lgkmcnt(0)
	buffer_store_dword v62, off, s[0:3], 0 offset:220
	buffer_store_dword v61, off, s[0:3], 0 offset:216
	v_add_co_u32_e32 v57, vcc, s4, v57
	v_addc_co_u32_e32 v58, vcc, v63, v58, vcc
	flat_load_dwordx2 v[61:62], v[57:58]
	v_add_u32_e32 v63, s13, v59
	v_ashrrev_i32_e32 v64, 31, v63
	v_lshlrev_b64 v[59:60], 3, v[63:64]
	s_waitcnt vmcnt(0) lgkmcnt(0)
	buffer_store_dword v62, off, s[0:3], 0 offset:228
	buffer_store_dword v61, off, s[0:3], 0 offset:224
	v_add_co_u32_e32 v59, vcc, s4, v59
	v_addc_co_u32_e32 v60, vcc, v65, v60, vcc
	flat_load_dwordx2 v[64:65], v[59:60]
	v_add_u32_e32 v66, s13, v63
	v_ashrrev_i32_e32 v67, 31, v66
	v_lshlrev_b64 v[61:62], 3, v[66:67]
	s_waitcnt vmcnt(0) lgkmcnt(0)
	buffer_store_dword v65, off, s[0:3], 0 offset:236
	buffer_store_dword v64, off, s[0:3], 0 offset:232
	v_add_co_u32_e32 v61, vcc, s4, v61
	v_addc_co_u32_e32 v62, vcc, v68, v62, vcc
	flat_load_dwordx2 v[67:68], v[61:62]
	v_add_u32_e32 v65, s13, v66
	v_ashrrev_i32_e32 v66, 31, v65
	v_lshlrev_b64 v[63:64], 3, v[65:66]
	s_waitcnt vmcnt(0) lgkmcnt(0)
	buffer_store_dword v68, off, s[0:3], 0 offset:244
	buffer_store_dword v67, off, s[0:3], 0 offset:240
	v_add_co_u32_e32 v63, vcc, s4, v63
	v_addc_co_u32_e32 v64, vcc, v69, v64, vcc
	flat_load_dwordx2 v[67:68], v[63:64]
	v_add_u32_e32 v69, s13, v65
	v_ashrrev_i32_e32 v70, 31, v69
	v_lshlrev_b64 v[65:66], 3, v[69:70]
	s_waitcnt vmcnt(0) lgkmcnt(0)
	buffer_store_dword v68, off, s[0:3], 0 offset:252
	buffer_store_dword v67, off, s[0:3], 0 offset:248
	v_add_co_u32_e32 v65, vcc, s4, v65
	v_addc_co_u32_e32 v66, vcc, v71, v66, vcc
	flat_load_dwordx2 v[70:71], v[65:66]
	v_add_u32_e32 v72, s13, v69
	v_ashrrev_i32_e32 v73, 31, v72
	v_lshlrev_b64 v[67:68], 3, v[72:73]
	s_waitcnt vmcnt(0) lgkmcnt(0)
	buffer_store_dword v71, off, s[0:3], 0 offset:260
	buffer_store_dword v70, off, s[0:3], 0 offset:256
	v_add_co_u32_e32 v67, vcc, s4, v67
	v_addc_co_u32_e32 v68, vcc, v74, v68, vcc
	flat_load_dwordx2 v[73:74], v[67:68]
	v_add_u32_e32 v71, s13, v72
	v_ashrrev_i32_e32 v72, 31, v71
	v_lshlrev_b64 v[69:70], 3, v[71:72]
	s_waitcnt vmcnt(0) lgkmcnt(0)
	buffer_store_dword v74, off, s[0:3], 0 offset:268
	buffer_store_dword v73, off, s[0:3], 0 offset:264
	v_add_co_u32_e32 v69, vcc, s4, v69
	v_addc_co_u32_e32 v70, vcc, v75, v70, vcc
	flat_load_dwordx2 v[73:74], v[69:70]
	v_add_u32_e32 v75, s13, v71
	v_ashrrev_i32_e32 v76, 31, v75
	v_lshlrev_b64 v[71:72], 3, v[75:76]
	s_waitcnt vmcnt(0) lgkmcnt(0)
	buffer_store_dword v74, off, s[0:3], 0 offset:276
	buffer_store_dword v73, off, s[0:3], 0 offset:272
	v_add_co_u32_e32 v71, vcc, s4, v71
	v_addc_co_u32_e32 v72, vcc, v77, v72, vcc
	flat_load_dwordx2 v[76:77], v[71:72]
	v_add_u32_e32 v78, s13, v75
	v_ashrrev_i32_e32 v79, 31, v78
	v_lshlrev_b64 v[73:74], 3, v[78:79]
	s_waitcnt vmcnt(0) lgkmcnt(0)
	buffer_store_dword v77, off, s[0:3], 0 offset:284
	buffer_store_dword v76, off, s[0:3], 0 offset:280
	v_add_co_u32_e32 v73, vcc, s4, v73
	v_addc_co_u32_e32 v74, vcc, v80, v74, vcc
	flat_load_dwordx2 v[79:80], v[73:74]
	v_add_u32_e32 v77, s13, v78
	v_ashrrev_i32_e32 v78, 31, v77
	v_lshlrev_b64 v[75:76], 3, v[77:78]
	s_waitcnt vmcnt(0) lgkmcnt(0)
	buffer_store_dword v80, off, s[0:3], 0 offset:292
	buffer_store_dword v79, off, s[0:3], 0 offset:288
	v_add_co_u32_e32 v75, vcc, s4, v75
	v_addc_co_u32_e32 v76, vcc, v81, v76, vcc
	flat_load_dwordx2 v[79:80], v[75:76]
	v_add_u32_e32 v81, s13, v77
	v_ashrrev_i32_e32 v82, 31, v81
	v_lshlrev_b64 v[77:78], 3, v[81:82]
	s_waitcnt vmcnt(0) lgkmcnt(0)
	buffer_store_dword v80, off, s[0:3], 0 offset:300
	buffer_store_dword v79, off, s[0:3], 0 offset:296
	v_add_co_u32_e32 v77, vcc, s4, v77
	v_addc_co_u32_e32 v78, vcc, v83, v78, vcc
	flat_load_dwordx2 v[82:83], v[77:78]
	v_add_u32_e32 v84, s13, v81
	v_ashrrev_i32_e32 v85, 31, v84
	v_lshlrev_b64 v[79:80], 3, v[84:85]
	s_waitcnt vmcnt(0) lgkmcnt(0)
	buffer_store_dword v83, off, s[0:3], 0 offset:308
	buffer_store_dword v82, off, s[0:3], 0 offset:304
	v_add_co_u32_e32 v79, vcc, s4, v79
	v_addc_co_u32_e32 v80, vcc, v86, v80, vcc
	flat_load_dwordx2 v[85:86], v[79:80]
	v_add_u32_e32 v83, s13, v84
	v_ashrrev_i32_e32 v84, 31, v83
	v_lshlrev_b64 v[81:82], 3, v[83:84]
	s_waitcnt vmcnt(0) lgkmcnt(0)
	buffer_store_dword v86, off, s[0:3], 0 offset:316
	buffer_store_dword v85, off, s[0:3], 0 offset:312
	v_add_co_u32_e32 v81, vcc, s4, v81
	v_addc_co_u32_e32 v82, vcc, v87, v82, vcc
	flat_load_dwordx2 v[85:86], v[81:82]
	v_add_u32_e32 v87, s13, v83
	v_ashrrev_i32_e32 v88, 31, v87
	v_lshlrev_b64 v[83:84], 3, v[87:88]
	s_waitcnt vmcnt(0) lgkmcnt(0)
	buffer_store_dword v86, off, s[0:3], 0 offset:324
	buffer_store_dword v85, off, s[0:3], 0 offset:320
	v_add_co_u32_e32 v83, vcc, s4, v83
	v_addc_co_u32_e32 v84, vcc, v89, v84, vcc
	flat_load_dwordx2 v[88:89], v[83:84]
	v_add_u32_e32 v90, s13, v87
	v_ashrrev_i32_e32 v91, 31, v90
	v_lshlrev_b64 v[85:86], 3, v[90:91]
	s_waitcnt vmcnt(0) lgkmcnt(0)
	buffer_store_dword v89, off, s[0:3], 0 offset:332
	buffer_store_dword v88, off, s[0:3], 0 offset:328
	v_add_co_u32_e32 v85, vcc, s4, v85
	v_addc_co_u32_e32 v86, vcc, v92, v86, vcc
	flat_load_dwordx2 v[91:92], v[85:86]
	v_add_u32_e32 v89, s13, v90
	v_ashrrev_i32_e32 v90, 31, v89
	v_lshlrev_b64 v[87:88], 3, v[89:90]
	s_waitcnt vmcnt(0) lgkmcnt(0)
	buffer_store_dword v92, off, s[0:3], 0 offset:340
	buffer_store_dword v91, off, s[0:3], 0 offset:336
	v_add_co_u32_e32 v87, vcc, s4, v87
	v_addc_co_u32_e32 v88, vcc, v93, v88, vcc
	flat_load_dwordx2 v[91:92], v[87:88]
	v_add_u32_e32 v93, s13, v89
	v_ashrrev_i32_e32 v94, 31, v93
	v_lshlrev_b64 v[89:90], 3, v[93:94]
	s_waitcnt vmcnt(0) lgkmcnt(0)
	buffer_store_dword v92, off, s[0:3], 0 offset:348
	buffer_store_dword v91, off, s[0:3], 0 offset:344
	v_add_co_u32_e32 v89, vcc, s4, v89
	v_addc_co_u32_e32 v90, vcc, v95, v90, vcc
	flat_load_dwordx2 v[94:95], v[89:90]
	v_add_u32_e32 v96, s13, v93
	v_ashrrev_i32_e32 v97, 31, v96
	v_lshlrev_b64 v[91:92], 3, v[96:97]
	s_waitcnt vmcnt(0) lgkmcnt(0)
	buffer_store_dword v95, off, s[0:3], 0 offset:356
	buffer_store_dword v94, off, s[0:3], 0 offset:352
	v_add_co_u32_e32 v91, vcc, s4, v91
	v_addc_co_u32_e32 v92, vcc, v98, v92, vcc
	flat_load_dwordx2 v[97:98], v[91:92]
	v_add_u32_e32 v95, s13, v96
	v_ashrrev_i32_e32 v96, 31, v95
	v_lshlrev_b64 v[93:94], 3, v[95:96]
	s_waitcnt vmcnt(0) lgkmcnt(0)
	buffer_store_dword v98, off, s[0:3], 0 offset:364
	buffer_store_dword v97, off, s[0:3], 0 offset:360
	v_add_co_u32_e32 v93, vcc, s4, v93
	v_addc_co_u32_e32 v94, vcc, v99, v94, vcc
	flat_load_dwordx2 v[97:98], v[93:94]
	v_add_u32_e32 v99, s13, v95
	v_ashrrev_i32_e32 v100, 31, v99
	v_lshlrev_b64 v[95:96], 3, v[99:100]
	s_waitcnt vmcnt(0) lgkmcnt(0)
	buffer_store_dword v98, off, s[0:3], 0 offset:372
	buffer_store_dword v97, off, s[0:3], 0 offset:368
	v_add_co_u32_e32 v95, vcc, s4, v95
	v_addc_co_u32_e32 v96, vcc, v101, v96, vcc
	flat_load_dwordx2 v[100:101], v[95:96]
	v_add_u32_e32 v102, s13, v99
	v_ashrrev_i32_e32 v103, 31, v102
	v_lshlrev_b64 v[97:98], 3, v[102:103]
	s_waitcnt vmcnt(0) lgkmcnt(0)
	buffer_store_dword v101, off, s[0:3], 0 offset:380
	buffer_store_dword v100, off, s[0:3], 0 offset:376
	v_add_co_u32_e32 v97, vcc, s4, v97
	v_addc_co_u32_e32 v98, vcc, v104, v98, vcc
	flat_load_dwordx2 v[103:104], v[97:98]
	v_add_u32_e32 v101, s13, v102
	v_ashrrev_i32_e32 v102, 31, v101
	v_lshlrev_b64 v[99:100], 3, v[101:102]
	s_waitcnt vmcnt(0) lgkmcnt(0)
	buffer_store_dword v104, off, s[0:3], 0 offset:388
	buffer_store_dword v103, off, s[0:3], 0 offset:384
	v_add_co_u32_e32 v99, vcc, s4, v99
	v_addc_co_u32_e32 v100, vcc, v105, v100, vcc
	flat_load_dwordx2 v[103:104], v[99:100]
	v_add_u32_e32 v105, s13, v101
	v_ashrrev_i32_e32 v106, 31, v105
	v_lshlrev_b64 v[101:102], 3, v[105:106]
	s_waitcnt vmcnt(0) lgkmcnt(0)
	buffer_store_dword v104, off, s[0:3], 0 offset:396
	buffer_store_dword v103, off, s[0:3], 0 offset:392
	v_add_co_u32_e32 v101, vcc, s4, v101
	v_addc_co_u32_e32 v102, vcc, v107, v102, vcc
	flat_load_dwordx2 v[106:107], v[101:102]
	v_add_u32_e32 v108, s13, v105
	v_ashrrev_i32_e32 v109, 31, v108
	v_lshlrev_b64 v[103:104], 3, v[108:109]
	s_waitcnt vmcnt(0) lgkmcnt(0)
	buffer_store_dword v107, off, s[0:3], 0 offset:404
	buffer_store_dword v106, off, s[0:3], 0 offset:400
	v_add_co_u32_e32 v103, vcc, s4, v103
	v_addc_co_u32_e32 v104, vcc, v110, v104, vcc
	flat_load_dwordx2 v[109:110], v[103:104]
	v_add_u32_e32 v107, s13, v108
	v_ashrrev_i32_e32 v108, 31, v107
	v_lshlrev_b64 v[105:106], 3, v[107:108]
	s_waitcnt vmcnt(0) lgkmcnt(0)
	buffer_store_dword v110, off, s[0:3], 0 offset:412
	buffer_store_dword v109, off, s[0:3], 0 offset:408
	v_add_co_u32_e32 v105, vcc, s4, v105
	v_addc_co_u32_e32 v106, vcc, v111, v106, vcc
	flat_load_dwordx2 v[109:110], v[105:106]
	v_add_u32_e32 v111, s13, v107
	v_ashrrev_i32_e32 v112, 31, v111
	v_lshlrev_b64 v[107:108], 3, v[111:112]
	s_waitcnt vmcnt(0) lgkmcnt(0)
	buffer_store_dword v110, off, s[0:3], 0 offset:420
	buffer_store_dword v109, off, s[0:3], 0 offset:416
	v_add_co_u32_e32 v107, vcc, s4, v107
	v_addc_co_u32_e32 v108, vcc, v113, v108, vcc
	flat_load_dwordx2 v[112:113], v[107:108]
	v_add_u32_e32 v114, s13, v111
	v_ashrrev_i32_e32 v115, 31, v114
	v_lshlrev_b64 v[109:110], 3, v[114:115]
	s_waitcnt vmcnt(0) lgkmcnt(0)
	buffer_store_dword v113, off, s[0:3], 0 offset:428
	buffer_store_dword v112, off, s[0:3], 0 offset:424
	v_add_co_u32_e32 v109, vcc, s4, v109
	v_addc_co_u32_e32 v110, vcc, v116, v110, vcc
	flat_load_dwordx2 v[115:116], v[109:110]
	v_add_u32_e32 v113, s13, v114
	v_ashrrev_i32_e32 v114, 31, v113
	v_lshlrev_b64 v[111:112], 3, v[113:114]
	s_waitcnt vmcnt(0) lgkmcnt(0)
	buffer_store_dword v116, off, s[0:3], 0 offset:436
	buffer_store_dword v115, off, s[0:3], 0 offset:432
	v_add_co_u32_e32 v111, vcc, s4, v111
	v_addc_co_u32_e32 v112, vcc, v118, v112, vcc
	flat_load_dwordx2 v[115:116], v[111:112]
	v_add_u32_e32 v113, s13, v113
	v_ashrrev_i32_e32 v114, 31, v113
	v_lshlrev_b64 v[113:114], 3, v[113:114]
	s_waitcnt vmcnt(0) lgkmcnt(0)
	buffer_store_dword v116, off, s[0:3], 0 offset:444
	buffer_store_dword v115, off, s[0:3], 0 offset:440
	v_add_co_u32_e32 v113, vcc, s4, v113
	v_addc_co_u32_e32 v114, vcc, v118, v114, vcc
	flat_load_dwordx2 v[118:119], v[113:114]
	v_mov_b32_e32 v115, 0
	v_mov_b32_e32 v116, 0xbff00000
	s_waitcnt vmcnt(0) lgkmcnt(0)
	buffer_store_dword v119, off, s[0:3], 0 offset:452
	buffer_store_dword v118, off, s[0:3], 0 offset:448
	s_cbranch_scc1 .LBB120_3
; %bb.2:
	v_mov_b32_e32 v115, 0
	v_lshl_add_u32 v126, v0, 3, v115
	buffer_load_dword v115, v126, s[0:3], 0 offen
	buffer_load_dword v116, v126, s[0:3], 0 offen offset:4
	s_waitcnt vmcnt(0)
	v_div_scale_f64 v[118:119], s[4:5], v[115:116], v[115:116], 1.0
	v_rcp_f64_e32 v[120:121], v[118:119]
	v_fma_f64 v[122:123], -v[118:119], v[120:121], 1.0
	v_fma_f64 v[120:121], v[120:121], v[122:123], v[120:121]
	v_div_scale_f64 v[122:123], vcc, 1.0, v[115:116], 1.0
	v_fma_f64 v[124:125], -v[118:119], v[120:121], 1.0
	v_fma_f64 v[120:121], v[120:121], v[124:125], v[120:121]
	v_mul_f64 v[124:125], v[122:123], v[120:121]
	v_fma_f64 v[118:119], -v[118:119], v[124:125], v[122:123]
	v_div_fmas_f64 v[118:119], v[118:119], v[120:121], v[124:125]
	v_div_fixup_f64 v[115:116], v[118:119], v[115:116], 1.0
	buffer_store_dword v115, v126, s[0:3], 0 offen
	buffer_store_dword v116, v126, s[0:3], 0 offen offset:4
	v_xor_b32_e32 v116, 0x80000000, v116
.LBB120_3:
	s_cmpk_eq_i32 s8, 0x79
	v_add_u32_e32 v118, 0x1d0, v117
	v_mov_b32_e32 v119, v117
	s_mov_b64 s[4:5], -1
	ds_write_b64 v117, v[115:116]
	s_cbranch_scc1 .LBB120_557
; %bb.4:
	buffer_load_dword v115, off, s[0:3], 0 offset:440
	buffer_load_dword v116, off, s[0:3], 0 offset:444
	s_movk_i32 s12, 0x48
	s_movk_i32 s13, 0x50
	;; [unrolled: 1-line block ×46, first 2 shown]
	v_cmp_eq_u32_e64 s[4:5], 56, v0
	s_waitcnt vmcnt(0)
	ds_write_b64 v118, v[115:116]
	s_waitcnt lgkmcnt(0)
	; wave barrier
	s_and_saveexec_b64 s[6:7], s[4:5]
	s_cbranch_execz .LBB120_10
; %bb.5:
	s_and_b64 vcc, exec, s[10:11]
	s_cbranch_vccz .LBB120_7
; %bb.6:
	buffer_load_dword v115, v119, s[0:3], 0 offen
	buffer_load_dword v116, v119, s[0:3], 0 offen offset:4
	ds_read_b64 v[120:121], v118
	s_waitcnt vmcnt(0) lgkmcnt(0)
	v_mul_f64 v[115:116], v[115:116], v[120:121]
	s_cbranch_execz .LBB120_8
	s_branch .LBB120_9
.LBB120_7:
                                        ; implicit-def: $vgpr115_vgpr116
.LBB120_8:
	ds_read_b64 v[115:116], v118
.LBB120_9:
	v_mov_b32_e32 v120, 0
	ds_read_b64 v[120:121], v120 offset:440
	s_waitcnt lgkmcnt(0)
	v_mul_f64 v[115:116], v[115:116], v[120:121]
	buffer_store_dword v116, off, s[0:3], 0 offset:444
	buffer_store_dword v115, off, s[0:3], 0 offset:440
.LBB120_10:
	s_or_b64 exec, exec, s[6:7]
	buffer_load_dword v115, off, s[0:3], 0 offset:432
	buffer_load_dword v116, off, s[0:3], 0 offset:436
	s_or_b32 s14, 0, 8
	s_mov_b32 s15, 16
	s_mov_b32 s16, 24
	s_mov_b32 s17, 32
	s_mov_b32 s18, 40
	s_mov_b32 s19, 48
	s_mov_b32 s20, 56
	s_mov_b32 s21, 64
	s_mov_b32 s22, s12
	s_mov_b32 s23, s13
	v_cmp_lt_u32_e64 s[6:7], 54, v0
	s_waitcnt vmcnt(0)
	ds_write_b64 v118, v[115:116]
	s_waitcnt lgkmcnt(0)
	; wave barrier
	s_and_saveexec_b64 s[8:9], s[6:7]
	s_cbranch_execz .LBB120_16
; %bb.11:
	s_andn2_b64 vcc, exec, s[10:11]
	s_cbranch_vccnz .LBB120_13
; %bb.12:
	buffer_load_dword v115, v119, s[0:3], 0 offen
	buffer_load_dword v116, v119, s[0:3], 0 offen offset:4
	ds_read_b64 v[120:121], v118
	s_waitcnt vmcnt(0) lgkmcnt(0)
	v_mul_f64 v[115:116], v[115:116], v[120:121]
	s_cbranch_execz .LBB120_14
	s_branch .LBB120_15
.LBB120_13:
                                        ; implicit-def: $vgpr115_vgpr116
.LBB120_14:
	ds_read_b64 v[115:116], v118
.LBB120_15:
	buffer_load_dword v124, off, s[0:3], 0 offset:440
	buffer_load_dword v125, off, s[0:3], 0 offset:444
	v_mov_b32_e32 v120, 0
	ds_read2_b64 v[120:123], v120 offset0:54 offset1:113
	s_waitcnt vmcnt(0) lgkmcnt(0)
	v_fma_f64 v[122:123], v[124:125], v[122:123], v[115:116]
	v_cndmask_b32_e64 v116, v116, v123, s[4:5]
	v_cndmask_b32_e64 v115, v115, v122, s[4:5]
	v_mul_f64 v[115:116], v[115:116], v[120:121]
	buffer_store_dword v116, off, s[0:3], 0 offset:436
	buffer_store_dword v115, off, s[0:3], 0 offset:432
.LBB120_16:
	s_or_b64 exec, exec, s[8:9]
	buffer_load_dword v115, off, s[0:3], 0 offset:424
	buffer_load_dword v116, off, s[0:3], 0 offset:428
	v_cmp_lt_u32_e64 s[4:5], 53, v0
	s_waitcnt vmcnt(0)
	ds_write_b64 v118, v[115:116]
	s_waitcnt lgkmcnt(0)
	; wave barrier
	s_and_saveexec_b64 s[8:9], s[4:5]
	s_cbranch_execz .LBB120_26
; %bb.17:
	s_andn2_b64 vcc, exec, s[10:11]
	s_cbranch_vccnz .LBB120_19
; %bb.18:
	buffer_load_dword v115, v119, s[0:3], 0 offen
	buffer_load_dword v116, v119, s[0:3], 0 offen offset:4
	ds_read_b64 v[120:121], v118
	s_waitcnt vmcnt(0) lgkmcnt(0)
	v_mul_f64 v[115:116], v[115:116], v[120:121]
	s_cbranch_execz .LBB120_20
	s_branch .LBB120_21
.LBB120_19:
                                        ; implicit-def: $vgpr115_vgpr116
.LBB120_20:
	ds_read_b64 v[115:116], v118
.LBB120_21:
	s_and_saveexec_b64 s[12:13], s[6:7]
	s_cbranch_execz .LBB120_25
; %bb.22:
	v_subrev_u32_e32 v120, 54, v0
	s_movk_i32 s69, 0x380
	s_mov_b64 s[6:7], 0
.LBB120_23:                             ; =>This Inner Loop Header: Depth=1
	v_mov_b32_e32 v122, s68
	buffer_load_dword v121, v122, s[0:3], 0 offen
	s_nop 0
	buffer_load_dword v122, v122, s[0:3], 0 offen offset:4
	v_mov_b32_e32 v123, s69
	ds_read_b64 v[123:124], v123
	v_add_u32_e32 v120, -1, v120
	s_add_i32 s69, s69, 8
	s_add_i32 s68, s68, 8
	v_cmp_eq_u32_e32 vcc, 0, v120
	s_or_b64 s[6:7], vcc, s[6:7]
	s_waitcnt vmcnt(0) lgkmcnt(0)
	v_fma_f64 v[115:116], v[121:122], v[123:124], v[115:116]
	s_andn2_b64 exec, exec, s[6:7]
	s_cbranch_execnz .LBB120_23
; %bb.24:
	s_or_b64 exec, exec, s[6:7]
.LBB120_25:
	s_or_b64 exec, exec, s[12:13]
	v_mov_b32_e32 v120, 0
	ds_read_b64 v[120:121], v120 offset:424
	s_waitcnt lgkmcnt(0)
	v_mul_f64 v[115:116], v[115:116], v[120:121]
	buffer_store_dword v116, off, s[0:3], 0 offset:428
	buffer_store_dword v115, off, s[0:3], 0 offset:424
.LBB120_26:
	s_or_b64 exec, exec, s[8:9]
	buffer_load_dword v115, off, s[0:3], 0 offset:416
	buffer_load_dword v116, off, s[0:3], 0 offset:420
	v_cmp_lt_u32_e64 s[6:7], 52, v0
	s_waitcnt vmcnt(0)
	ds_write_b64 v118, v[115:116]
	s_waitcnt lgkmcnt(0)
	; wave barrier
	s_and_saveexec_b64 s[8:9], s[6:7]
	s_cbranch_execz .LBB120_36
; %bb.27:
	s_andn2_b64 vcc, exec, s[10:11]
	s_cbranch_vccnz .LBB120_29
; %bb.28:
	buffer_load_dword v115, v119, s[0:3], 0 offen
	buffer_load_dword v116, v119, s[0:3], 0 offen offset:4
	ds_read_b64 v[120:121], v118
	s_waitcnt vmcnt(0) lgkmcnt(0)
	v_mul_f64 v[115:116], v[115:116], v[120:121]
	s_cbranch_execz .LBB120_30
	s_branch .LBB120_31
.LBB120_29:
                                        ; implicit-def: $vgpr115_vgpr116
.LBB120_30:
	ds_read_b64 v[115:116], v118
.LBB120_31:
	s_and_saveexec_b64 s[12:13], s[4:5]
	s_cbranch_execz .LBB120_35
; %bb.32:
	v_subrev_u32_e32 v120, 53, v0
	s_movk_i32 s68, 0x378
	s_mov_b64 s[4:5], 0
.LBB120_33:                             ; =>This Inner Loop Header: Depth=1
	v_mov_b32_e32 v122, s67
	buffer_load_dword v121, v122, s[0:3], 0 offen
	s_nop 0
	buffer_load_dword v122, v122, s[0:3], 0 offen offset:4
	v_mov_b32_e32 v123, s68
	ds_read_b64 v[123:124], v123
	v_add_u32_e32 v120, -1, v120
	s_add_i32 s68, s68, 8
	s_add_i32 s67, s67, 8
	v_cmp_eq_u32_e32 vcc, 0, v120
	s_or_b64 s[4:5], vcc, s[4:5]
	s_waitcnt vmcnt(0) lgkmcnt(0)
	v_fma_f64 v[115:116], v[121:122], v[123:124], v[115:116]
	s_andn2_b64 exec, exec, s[4:5]
	s_cbranch_execnz .LBB120_33
; %bb.34:
	s_or_b64 exec, exec, s[4:5]
.LBB120_35:
	s_or_b64 exec, exec, s[12:13]
	v_mov_b32_e32 v120, 0
	ds_read_b64 v[120:121], v120 offset:416
	s_waitcnt lgkmcnt(0)
	v_mul_f64 v[115:116], v[115:116], v[120:121]
	buffer_store_dword v116, off, s[0:3], 0 offset:420
	buffer_store_dword v115, off, s[0:3], 0 offset:416
.LBB120_36:
	;; [unrolled: 59-line block ×8, first 2 shown]
	s_or_b64 exec, exec, s[8:9]
	buffer_load_dword v115, off, s[0:3], 0 offset:360
	buffer_load_dword v116, off, s[0:3], 0 offset:364
	v_cmp_lt_u32_e64 s[4:5], 45, v0
	s_waitcnt vmcnt(0)
	ds_write_b64 v118, v[115:116]
	s_waitcnt lgkmcnt(0)
	; wave barrier
	s_and_saveexec_b64 s[8:9], s[4:5]
	s_cbranch_execz .LBB120_106
; %bb.97:
	s_andn2_b64 vcc, exec, s[10:11]
	s_cbranch_vccnz .LBB120_99
; %bb.98:
	buffer_load_dword v115, v119, s[0:3], 0 offen
	buffer_load_dword v116, v119, s[0:3], 0 offen offset:4
	ds_read_b64 v[120:121], v118
	s_waitcnt vmcnt(0) lgkmcnt(0)
	v_mul_f64 v[115:116], v[115:116], v[120:121]
	s_cbranch_execz .LBB120_100
	s_branch .LBB120_101
.LBB120_99:
                                        ; implicit-def: $vgpr115_vgpr116
.LBB120_100:
	ds_read_b64 v[115:116], v118
.LBB120_101:
	s_and_saveexec_b64 s[12:13], s[6:7]
	s_cbranch_execz .LBB120_105
; %bb.102:
	v_subrev_u32_e32 v120, 46, v0
	s_movk_i32 s61, 0x340
	s_mov_b64 s[6:7], 0
.LBB120_103:                            ; =>This Inner Loop Header: Depth=1
	v_mov_b32_e32 v122, s60
	buffer_load_dword v121, v122, s[0:3], 0 offen
	s_nop 0
	buffer_load_dword v122, v122, s[0:3], 0 offen offset:4
	v_mov_b32_e32 v123, s61
	ds_read_b64 v[123:124], v123
	v_add_u32_e32 v120, -1, v120
	s_add_i32 s61, s61, 8
	s_add_i32 s60, s60, 8
	v_cmp_eq_u32_e32 vcc, 0, v120
	s_or_b64 s[6:7], vcc, s[6:7]
	s_waitcnt vmcnt(0) lgkmcnt(0)
	v_fma_f64 v[115:116], v[121:122], v[123:124], v[115:116]
	s_andn2_b64 exec, exec, s[6:7]
	s_cbranch_execnz .LBB120_103
; %bb.104:
	s_or_b64 exec, exec, s[6:7]
.LBB120_105:
	s_or_b64 exec, exec, s[12:13]
	v_mov_b32_e32 v120, 0
	ds_read_b64 v[120:121], v120 offset:360
	s_waitcnt lgkmcnt(0)
	v_mul_f64 v[115:116], v[115:116], v[120:121]
	buffer_store_dword v116, off, s[0:3], 0 offset:364
	buffer_store_dword v115, off, s[0:3], 0 offset:360
.LBB120_106:
	s_or_b64 exec, exec, s[8:9]
	buffer_load_dword v115, off, s[0:3], 0 offset:352
	buffer_load_dword v116, off, s[0:3], 0 offset:356
	v_cmp_lt_u32_e64 s[6:7], 44, v0
	s_waitcnt vmcnt(0)
	ds_write_b64 v118, v[115:116]
	s_waitcnt lgkmcnt(0)
	; wave barrier
	s_and_saveexec_b64 s[8:9], s[6:7]
	s_cbranch_execz .LBB120_116
; %bb.107:
	s_andn2_b64 vcc, exec, s[10:11]
	s_cbranch_vccnz .LBB120_109
; %bb.108:
	buffer_load_dword v115, v119, s[0:3], 0 offen
	buffer_load_dword v116, v119, s[0:3], 0 offen offset:4
	ds_read_b64 v[120:121], v118
	s_waitcnt vmcnt(0) lgkmcnt(0)
	v_mul_f64 v[115:116], v[115:116], v[120:121]
	s_cbranch_execz .LBB120_110
	s_branch .LBB120_111
.LBB120_109:
                                        ; implicit-def: $vgpr115_vgpr116
.LBB120_110:
	ds_read_b64 v[115:116], v118
.LBB120_111:
	s_and_saveexec_b64 s[12:13], s[4:5]
	s_cbranch_execz .LBB120_115
; %bb.112:
	v_subrev_u32_e32 v120, 45, v0
	s_movk_i32 s60, 0x338
	s_mov_b64 s[4:5], 0
.LBB120_113:                            ; =>This Inner Loop Header: Depth=1
	v_mov_b32_e32 v122, s59
	buffer_load_dword v121, v122, s[0:3], 0 offen
	s_nop 0
	buffer_load_dword v122, v122, s[0:3], 0 offen offset:4
	v_mov_b32_e32 v123, s60
	ds_read_b64 v[123:124], v123
	v_add_u32_e32 v120, -1, v120
	s_add_i32 s60, s60, 8
	s_add_i32 s59, s59, 8
	v_cmp_eq_u32_e32 vcc, 0, v120
	s_or_b64 s[4:5], vcc, s[4:5]
	s_waitcnt vmcnt(0) lgkmcnt(0)
	v_fma_f64 v[115:116], v[121:122], v[123:124], v[115:116]
	s_andn2_b64 exec, exec, s[4:5]
	s_cbranch_execnz .LBB120_113
; %bb.114:
	s_or_b64 exec, exec, s[4:5]
.LBB120_115:
	s_or_b64 exec, exec, s[12:13]
	v_mov_b32_e32 v120, 0
	ds_read_b64 v[120:121], v120 offset:352
	s_waitcnt lgkmcnt(0)
	v_mul_f64 v[115:116], v[115:116], v[120:121]
	buffer_store_dword v116, off, s[0:3], 0 offset:356
	buffer_store_dword v115, off, s[0:3], 0 offset:352
.LBB120_116:
	;; [unrolled: 59-line block ×10, first 2 shown]
	s_or_b64 exec, exec, s[8:9]
	buffer_load_dword v115, off, s[0:3], 0 offset:280
	buffer_load_dword v116, off, s[0:3], 0 offset:284
	v_cmp_lt_u32_e64 s[4:5], 35, v0
	s_waitcnt vmcnt(0)
	ds_write_b64 v118, v[115:116]
	s_waitcnt lgkmcnt(0)
	; wave barrier
	s_and_saveexec_b64 s[8:9], s[4:5]
	s_cbranch_execz .LBB120_206
; %bb.197:
	s_andn2_b64 vcc, exec, s[10:11]
	s_cbranch_vccnz .LBB120_199
; %bb.198:
	buffer_load_dword v115, v119, s[0:3], 0 offen
	buffer_load_dword v116, v119, s[0:3], 0 offen offset:4
	ds_read_b64 v[120:121], v118
	s_waitcnt vmcnt(0) lgkmcnt(0)
	v_mul_f64 v[115:116], v[115:116], v[120:121]
	s_cbranch_execz .LBB120_200
	s_branch .LBB120_201
.LBB120_199:
                                        ; implicit-def: $vgpr115_vgpr116
.LBB120_200:
	ds_read_b64 v[115:116], v118
.LBB120_201:
	s_and_saveexec_b64 s[12:13], s[6:7]
	s_cbranch_execz .LBB120_205
; %bb.202:
	v_subrev_u32_e32 v120, 36, v0
	s_movk_i32 s51, 0x2f0
	s_mov_b64 s[6:7], 0
.LBB120_203:                            ; =>This Inner Loop Header: Depth=1
	v_mov_b32_e32 v123, s50
	buffer_load_dword v121, v123, s[0:3], 0 offen
	buffer_load_dword v122, v123, s[0:3], 0 offen offset:4
	v_mov_b32_e32 v123, s51
	ds_read_b64 v[123:124], v123
	v_add_u32_e32 v120, -1, v120
	s_add_i32 s51, s51, 8
	s_add_i32 s50, s50, 8
	v_cmp_eq_u32_e32 vcc, 0, v120
	s_or_b64 s[6:7], vcc, s[6:7]
	s_waitcnt vmcnt(0) lgkmcnt(0)
	v_fma_f64 v[115:116], v[121:122], v[123:124], v[115:116]
	s_andn2_b64 exec, exec, s[6:7]
	s_cbranch_execnz .LBB120_203
; %bb.204:
	s_or_b64 exec, exec, s[6:7]
.LBB120_205:
	s_or_b64 exec, exec, s[12:13]
	v_mov_b32_e32 v120, 0
	ds_read_b64 v[120:121], v120 offset:280
	s_waitcnt lgkmcnt(0)
	v_mul_f64 v[115:116], v[115:116], v[120:121]
	buffer_store_dword v116, off, s[0:3], 0 offset:284
	buffer_store_dword v115, off, s[0:3], 0 offset:280
.LBB120_206:
	s_or_b64 exec, exec, s[8:9]
	buffer_load_dword v115, off, s[0:3], 0 offset:272
	buffer_load_dword v116, off, s[0:3], 0 offset:276
	v_cmp_lt_u32_e64 s[6:7], 34, v0
	s_waitcnt vmcnt(0)
	ds_write_b64 v118, v[115:116]
	s_waitcnt lgkmcnt(0)
	; wave barrier
	s_and_saveexec_b64 s[8:9], s[6:7]
	s_cbranch_execz .LBB120_216
; %bb.207:
	s_andn2_b64 vcc, exec, s[10:11]
	s_cbranch_vccnz .LBB120_209
; %bb.208:
	buffer_load_dword v115, v119, s[0:3], 0 offen
	buffer_load_dword v116, v119, s[0:3], 0 offen offset:4
	ds_read_b64 v[120:121], v118
	s_waitcnt vmcnt(0) lgkmcnt(0)
	v_mul_f64 v[115:116], v[115:116], v[120:121]
	s_cbranch_execz .LBB120_210
	s_branch .LBB120_211
.LBB120_209:
                                        ; implicit-def: $vgpr115_vgpr116
.LBB120_210:
	ds_read_b64 v[115:116], v118
.LBB120_211:
	s_and_saveexec_b64 s[12:13], s[4:5]
	s_cbranch_execz .LBB120_215
; %bb.212:
	v_subrev_u32_e32 v120, 35, v0
	s_movk_i32 s50, 0x2e8
	s_mov_b64 s[4:5], 0
.LBB120_213:                            ; =>This Inner Loop Header: Depth=1
	v_mov_b32_e32 v123, s49
	buffer_load_dword v121, v123, s[0:3], 0 offen
	buffer_load_dword v122, v123, s[0:3], 0 offen offset:4
	v_mov_b32_e32 v123, s50
	ds_read_b64 v[123:124], v123
	v_add_u32_e32 v120, -1, v120
	s_add_i32 s50, s50, 8
	s_add_i32 s49, s49, 8
	v_cmp_eq_u32_e32 vcc, 0, v120
	s_or_b64 s[4:5], vcc, s[4:5]
	s_waitcnt vmcnt(0) lgkmcnt(0)
	v_fma_f64 v[115:116], v[121:122], v[123:124], v[115:116]
	s_andn2_b64 exec, exec, s[4:5]
	s_cbranch_execnz .LBB120_213
; %bb.214:
	s_or_b64 exec, exec, s[4:5]
.LBB120_215:
	s_or_b64 exec, exec, s[12:13]
	v_mov_b32_e32 v120, 0
	ds_read_b64 v[120:121], v120 offset:272
	s_waitcnt lgkmcnt(0)
	v_mul_f64 v[115:116], v[115:116], v[120:121]
	buffer_store_dword v116, off, s[0:3], 0 offset:276
	buffer_store_dword v115, off, s[0:3], 0 offset:272
.LBB120_216:
	;; [unrolled: 58-line block ×20, first 2 shown]
	s_or_b64 exec, exec, s[8:9]
	buffer_load_dword v115, off, s[0:3], 0 offset:120
	buffer_load_dword v116, off, s[0:3], 0 offset:124
	v_cmp_lt_u32_e64 s[4:5], 15, v0
	s_waitcnt vmcnt(0)
	ds_write_b64 v118, v[115:116]
	s_waitcnt lgkmcnt(0)
	; wave barrier
	s_and_saveexec_b64 s[8:9], s[4:5]
	s_cbranch_execz .LBB120_406
; %bb.397:
	s_andn2_b64 vcc, exec, s[10:11]
	s_cbranch_vccnz .LBB120_399
; %bb.398:
	buffer_load_dword v115, v119, s[0:3], 0 offen
	buffer_load_dword v116, v119, s[0:3], 0 offen offset:4
	ds_read_b64 v[120:121], v118
	s_waitcnt vmcnt(0) lgkmcnt(0)
	v_mul_f64 v[115:116], v[115:116], v[120:121]
	s_cbranch_execz .LBB120_400
	s_branch .LBB120_401
.LBB120_399:
                                        ; implicit-def: $vgpr115_vgpr116
.LBB120_400:
	ds_read_b64 v[115:116], v118
.LBB120_401:
	s_and_saveexec_b64 s[12:13], s[6:7]
	s_cbranch_execz .LBB120_405
; %bb.402:
	v_add_u32_e32 v120, -16, v0
	s_movk_i32 s30, 0x250
	s_mov_b64 s[6:7], 0
.LBB120_403:                            ; =>This Inner Loop Header: Depth=1
	v_mov_b32_e32 v123, s29
	buffer_load_dword v121, v123, s[0:3], 0 offen
	buffer_load_dword v122, v123, s[0:3], 0 offen offset:4
	v_mov_b32_e32 v123, s30
	ds_read_b64 v[123:124], v123
	v_add_u32_e32 v120, -1, v120
	s_add_i32 s30, s30, 8
	s_add_i32 s29, s29, 8
	v_cmp_eq_u32_e32 vcc, 0, v120
	s_or_b64 s[6:7], vcc, s[6:7]
	s_waitcnt vmcnt(0) lgkmcnt(0)
	v_fma_f64 v[115:116], v[121:122], v[123:124], v[115:116]
	s_andn2_b64 exec, exec, s[6:7]
	s_cbranch_execnz .LBB120_403
; %bb.404:
	s_or_b64 exec, exec, s[6:7]
.LBB120_405:
	s_or_b64 exec, exec, s[12:13]
	v_mov_b32_e32 v120, 0
	ds_read_b64 v[120:121], v120 offset:120
	s_waitcnt lgkmcnt(0)
	v_mul_f64 v[115:116], v[115:116], v[120:121]
	buffer_store_dword v116, off, s[0:3], 0 offset:124
	buffer_store_dword v115, off, s[0:3], 0 offset:120
.LBB120_406:
	s_or_b64 exec, exec, s[8:9]
	buffer_load_dword v115, off, s[0:3], 0 offset:112
	buffer_load_dword v116, off, s[0:3], 0 offset:116
	v_cmp_lt_u32_e64 s[6:7], 14, v0
	s_waitcnt vmcnt(0)
	ds_write_b64 v118, v[115:116]
	s_waitcnt lgkmcnt(0)
	; wave barrier
	s_and_saveexec_b64 s[8:9], s[6:7]
	s_cbranch_execz .LBB120_416
; %bb.407:
	s_andn2_b64 vcc, exec, s[10:11]
	s_cbranch_vccnz .LBB120_409
; %bb.408:
	buffer_load_dword v115, v119, s[0:3], 0 offen
	buffer_load_dword v116, v119, s[0:3], 0 offen offset:4
	ds_read_b64 v[120:121], v118
	s_waitcnt vmcnt(0) lgkmcnt(0)
	v_mul_f64 v[115:116], v[115:116], v[120:121]
	s_cbranch_execz .LBB120_410
	s_branch .LBB120_411
.LBB120_409:
                                        ; implicit-def: $vgpr115_vgpr116
.LBB120_410:
	ds_read_b64 v[115:116], v118
.LBB120_411:
	s_and_saveexec_b64 s[12:13], s[4:5]
	s_cbranch_execz .LBB120_415
; %bb.412:
	v_add_u32_e32 v120, -15, v0
	s_movk_i32 s29, 0x248
	s_mov_b64 s[4:5], 0
.LBB120_413:                            ; =>This Inner Loop Header: Depth=1
	v_mov_b32_e32 v123, s28
	buffer_load_dword v121, v123, s[0:3], 0 offen
	buffer_load_dword v122, v123, s[0:3], 0 offen offset:4
	v_mov_b32_e32 v123, s29
	ds_read_b64 v[123:124], v123
	v_add_u32_e32 v120, -1, v120
	s_add_i32 s29, s29, 8
	s_add_i32 s28, s28, 8
	v_cmp_eq_u32_e32 vcc, 0, v120
	s_or_b64 s[4:5], vcc, s[4:5]
	s_waitcnt vmcnt(0) lgkmcnt(0)
	v_fma_f64 v[115:116], v[121:122], v[123:124], v[115:116]
	s_andn2_b64 exec, exec, s[4:5]
	s_cbranch_execnz .LBB120_413
; %bb.414:
	s_or_b64 exec, exec, s[4:5]
.LBB120_415:
	s_or_b64 exec, exec, s[12:13]
	v_mov_b32_e32 v120, 0
	ds_read_b64 v[120:121], v120 offset:112
	s_waitcnt lgkmcnt(0)
	v_mul_f64 v[115:116], v[115:116], v[120:121]
	buffer_store_dword v116, off, s[0:3], 0 offset:116
	buffer_store_dword v115, off, s[0:3], 0 offset:112
.LBB120_416:
	;; [unrolled: 58-line block ×15, first 2 shown]
	s_or_b64 exec, exec, s[8:9]
	buffer_load_dword v115, off, s[0:3], 0
	buffer_load_dword v116, off, s[0:3], 0 offset:4
	v_cmp_ne_u32_e32 vcc, 0, v0
	s_waitcnt vmcnt(0)
	ds_write_b64 v118, v[115:116]
	s_waitcnt lgkmcnt(0)
	; wave barrier
	s_and_saveexec_b64 s[6:7], vcc
	s_cbranch_execz .LBB120_556
; %bb.547:
	s_andn2_b64 vcc, exec, s[10:11]
	s_cbranch_vccnz .LBB120_549
; %bb.548:
	buffer_load_dword v115, v119, s[0:3], 0 offen
	buffer_load_dword v116, v119, s[0:3], 0 offen offset:4
	ds_read_b64 v[120:121], v118
	s_waitcnt vmcnt(0) lgkmcnt(0)
	v_mul_f64 v[115:116], v[115:116], v[120:121]
	s_cbranch_execz .LBB120_550
	s_branch .LBB120_551
.LBB120_549:
                                        ; implicit-def: $vgpr115_vgpr116
.LBB120_550:
	ds_read_b64 v[115:116], v118
.LBB120_551:
	s_and_saveexec_b64 s[8:9], s[4:5]
	s_cbranch_execz .LBB120_555
; %bb.552:
	v_add_u32_e32 v120, -1, v0
	s_movk_i32 s12, 0x1d8
	s_mov_b64 s[4:5], 0
.LBB120_553:                            ; =>This Inner Loop Header: Depth=1
	v_mov_b32_e32 v123, s14
	buffer_load_dword v121, v123, s[0:3], 0 offen
	buffer_load_dword v122, v123, s[0:3], 0 offen offset:4
	v_mov_b32_e32 v123, s12
	ds_read_b64 v[123:124], v123
	v_add_u32_e32 v120, -1, v120
	s_add_i32 s12, s12, 8
	s_add_i32 s14, s14, 8
	v_cmp_eq_u32_e32 vcc, 0, v120
	s_or_b64 s[4:5], vcc, s[4:5]
	s_waitcnt vmcnt(0) lgkmcnt(0)
	v_fma_f64 v[115:116], v[121:122], v[123:124], v[115:116]
	s_andn2_b64 exec, exec, s[4:5]
	s_cbranch_execnz .LBB120_553
; %bb.554:
	s_or_b64 exec, exec, s[4:5]
.LBB120_555:
	s_or_b64 exec, exec, s[8:9]
	v_mov_b32_e32 v120, 0
	ds_read_b64 v[120:121], v120
	s_waitcnt lgkmcnt(0)
	v_mul_f64 v[115:116], v[115:116], v[120:121]
	buffer_store_dword v116, off, s[0:3], 0 offset:4
	buffer_store_dword v115, off, s[0:3], 0
.LBB120_556:
	s_or_b64 exec, exec, s[6:7]
	s_mov_b64 s[4:5], 0
.LBB120_557:
	s_and_b64 vcc, exec, s[4:5]
	s_cbranch_vccz .LBB120_1109
; %bb.558:
	buffer_load_dword v115, off, s[0:3], 0 offset:8
	buffer_load_dword v116, off, s[0:3], 0 offset:12
	v_cmp_eq_u32_e64 s[6:7], 0, v0
	s_waitcnt vmcnt(0)
	ds_write_b64 v118, v[115:116]
	s_waitcnt lgkmcnt(0)
	; wave barrier
	s_and_saveexec_b64 s[4:5], s[6:7]
	s_cbranch_execz .LBB120_564
; %bb.559:
	s_and_b64 vcc, exec, s[10:11]
	s_cbranch_vccz .LBB120_561
; %bb.560:
	buffer_load_dword v115, v119, s[0:3], 0 offen
	buffer_load_dword v116, v119, s[0:3], 0 offen offset:4
	ds_read_b64 v[120:121], v118
	s_waitcnt vmcnt(0) lgkmcnt(0)
	v_mul_f64 v[115:116], v[115:116], v[120:121]
	s_cbranch_execz .LBB120_562
	s_branch .LBB120_563
.LBB120_561:
                                        ; implicit-def: $vgpr115_vgpr116
.LBB120_562:
	ds_read_b64 v[115:116], v118
.LBB120_563:
	v_mov_b32_e32 v120, 0
	ds_read_b64 v[120:121], v120 offset:8
	s_waitcnt lgkmcnt(0)
	v_mul_f64 v[115:116], v[115:116], v[120:121]
	buffer_store_dword v116, off, s[0:3], 0 offset:12
	buffer_store_dword v115, off, s[0:3], 0 offset:8
.LBB120_564:
	s_or_b64 exec, exec, s[4:5]
	buffer_load_dword v115, off, s[0:3], 0 offset:16
	buffer_load_dword v116, off, s[0:3], 0 offset:20
	v_cndmask_b32_e64 v120, 0, 1, s[10:11]
	v_cmp_gt_u32_e32 vcc, 2, v0
	v_cmp_ne_u32_e64 s[4:5], 1, v120
	s_waitcnt vmcnt(0)
	ds_write_b64 v118, v[115:116]
	s_waitcnt lgkmcnt(0)
	; wave barrier
	s_and_saveexec_b64 s[8:9], vcc
	s_cbranch_execz .LBB120_570
; %bb.565:
	s_and_b64 vcc, exec, s[4:5]
	s_cbranch_vccnz .LBB120_567
; %bb.566:
	buffer_load_dword v115, v119, s[0:3], 0 offen
	buffer_load_dword v116, v119, s[0:3], 0 offen offset:4
	ds_read_b64 v[120:121], v118
	s_waitcnt vmcnt(0) lgkmcnt(0)
	v_mul_f64 v[115:116], v[115:116], v[120:121]
	s_cbranch_execz .LBB120_568
	s_branch .LBB120_569
.LBB120_567:
                                        ; implicit-def: $vgpr115_vgpr116
.LBB120_568:
	ds_read_b64 v[115:116], v118
.LBB120_569:
	buffer_load_dword v124, off, s[0:3], 0 offset:8
	buffer_load_dword v125, off, s[0:3], 0 offset:12
	v_mov_b32_e32 v120, 0
	ds_read2_b64 v[120:123], v120 offset0:2 offset1:59
	s_waitcnt vmcnt(0) lgkmcnt(0)
	v_fma_f64 v[122:123], v[124:125], v[122:123], v[115:116]
	v_cndmask_b32_e64 v116, v116, v123, s[6:7]
	v_cndmask_b32_e64 v115, v115, v122, s[6:7]
	v_mul_f64 v[115:116], v[115:116], v[120:121]
	buffer_store_dword v116, off, s[0:3], 0 offset:20
	buffer_store_dword v115, off, s[0:3], 0 offset:16
.LBB120_570:
	s_or_b64 exec, exec, s[8:9]
	buffer_load_dword v115, off, s[0:3], 0 offset:24
	buffer_load_dword v116, off, s[0:3], 0 offset:28
	v_cmp_gt_u32_e32 vcc, 3, v0
	s_waitcnt vmcnt(0)
	ds_write_b64 v118, v[115:116]
	s_waitcnt lgkmcnt(0)
	; wave barrier
	s_and_saveexec_b64 s[8:9], vcc
	s_cbranch_execz .LBB120_578
; %bb.571:
	s_and_b64 vcc, exec, s[4:5]
	s_cbranch_vccnz .LBB120_573
; %bb.572:
	buffer_load_dword v115, v119, s[0:3], 0 offen
	buffer_load_dword v116, v119, s[0:3], 0 offen offset:4
	ds_read_b64 v[120:121], v118
	s_waitcnt vmcnt(0) lgkmcnt(0)
	v_mul_f64 v[115:116], v[115:116], v[120:121]
	s_cbranch_execz .LBB120_574
	s_branch .LBB120_575
.LBB120_573:
                                        ; implicit-def: $vgpr115_vgpr116
.LBB120_574:
	ds_read_b64 v[115:116], v118
.LBB120_575:
	v_cmp_ne_u32_e32 vcc, 2, v0
	s_and_saveexec_b64 s[10:11], vcc
	s_cbranch_execz .LBB120_577
; %bb.576:
	buffer_load_dword v120, v119, s[0:3], 0 offen offset:8
	buffer_load_dword v121, v119, s[0:3], 0 offen offset:12
	buffer_load_dword v122, off, s[0:3], 0 offset:16
	buffer_load_dword v123, off, s[0:3], 0 offset:20
	ds_read_b64 v[124:125], v118 offset:8
	v_mov_b32_e32 v126, 0
	ds_read_b64 v[126:127], v126 offset:480
	s_waitcnt vmcnt(2) lgkmcnt(1)
	v_fma_f64 v[115:116], v[120:121], v[124:125], v[115:116]
	s_waitcnt vmcnt(0) lgkmcnt(0)
	v_fma_f64 v[120:121], v[122:123], v[126:127], v[115:116]
	v_cndmask_b32_e64 v116, v116, v121, s[6:7]
	v_cndmask_b32_e64 v115, v115, v120, s[6:7]
.LBB120_577:
	s_or_b64 exec, exec, s[10:11]
	v_mov_b32_e32 v120, 0
	ds_read_b64 v[120:121], v120 offset:24
	s_waitcnt lgkmcnt(0)
	v_mul_f64 v[115:116], v[115:116], v[120:121]
	buffer_store_dword v116, off, s[0:3], 0 offset:28
	buffer_store_dword v115, off, s[0:3], 0 offset:24
.LBB120_578:
	s_or_b64 exec, exec, s[8:9]
	buffer_load_dword v115, off, s[0:3], 0 offset:32
	buffer_load_dword v116, off, s[0:3], 0 offset:36
	v_cmp_gt_u32_e32 vcc, 4, v0
	s_waitcnt vmcnt(0)
	ds_write_b64 v118, v[115:116]
	s_waitcnt lgkmcnt(0)
	; wave barrier
	s_and_saveexec_b64 s[6:7], vcc
	s_cbranch_execz .LBB120_588
; %bb.579:
	s_and_b64 vcc, exec, s[4:5]
	s_cbranch_vccnz .LBB120_581
; %bb.580:
	buffer_load_dword v115, v119, s[0:3], 0 offen
	buffer_load_dword v116, v119, s[0:3], 0 offen offset:4
	ds_read_b64 v[120:121], v118
	s_waitcnt vmcnt(0) lgkmcnt(0)
	v_mul_f64 v[115:116], v[115:116], v[120:121]
	s_cbranch_execz .LBB120_582
	s_branch .LBB120_583
.LBB120_581:
                                        ; implicit-def: $vgpr115_vgpr116
.LBB120_582:
	ds_read_b64 v[115:116], v118
.LBB120_583:
	v_cmp_ne_u32_e32 vcc, 3, v0
	s_and_saveexec_b64 s[8:9], vcc
	s_cbranch_execz .LBB120_587
; %bb.584:
	s_mov_b32 s10, 0
	v_add_u32_e32 v120, 0x1d8, v117
	v_add3_u32 v121, v117, s10, 8
	s_mov_b64 s[10:11], 0
	v_mov_b32_e32 v122, v0
.LBB120_585:                            ; =>This Inner Loop Header: Depth=1
	buffer_load_dword v123, v121, s[0:3], 0 offen
	buffer_load_dword v124, v121, s[0:3], 0 offen offset:4
	ds_read_b64 v[125:126], v120
	v_add_u32_e32 v122, 1, v122
	v_cmp_lt_u32_e32 vcc, 2, v122
	v_add_u32_e32 v120, 8, v120
	s_or_b64 s[10:11], vcc, s[10:11]
	v_add_u32_e32 v121, 8, v121
	s_waitcnt vmcnt(0) lgkmcnt(0)
	v_fma_f64 v[115:116], v[123:124], v[125:126], v[115:116]
	s_andn2_b64 exec, exec, s[10:11]
	s_cbranch_execnz .LBB120_585
; %bb.586:
	s_or_b64 exec, exec, s[10:11]
.LBB120_587:
	s_or_b64 exec, exec, s[8:9]
	v_mov_b32_e32 v120, 0
	ds_read_b64 v[120:121], v120 offset:32
	s_waitcnt lgkmcnt(0)
	v_mul_f64 v[115:116], v[115:116], v[120:121]
	buffer_store_dword v116, off, s[0:3], 0 offset:36
	buffer_store_dword v115, off, s[0:3], 0 offset:32
.LBB120_588:
	s_or_b64 exec, exec, s[6:7]
	buffer_load_dword v115, off, s[0:3], 0 offset:40
	buffer_load_dword v116, off, s[0:3], 0 offset:44
	v_cmp_gt_u32_e32 vcc, 5, v0
	s_waitcnt vmcnt(0)
	ds_write_b64 v118, v[115:116]
	s_waitcnt lgkmcnt(0)
	; wave barrier
	s_and_saveexec_b64 s[6:7], vcc
	s_cbranch_execz .LBB120_598
; %bb.589:
	s_and_b64 vcc, exec, s[4:5]
	s_cbranch_vccnz .LBB120_591
; %bb.590:
	buffer_load_dword v115, v119, s[0:3], 0 offen
	buffer_load_dword v116, v119, s[0:3], 0 offen offset:4
	ds_read_b64 v[120:121], v118
	s_waitcnt vmcnt(0) lgkmcnt(0)
	v_mul_f64 v[115:116], v[115:116], v[120:121]
	s_cbranch_execz .LBB120_592
	s_branch .LBB120_593
.LBB120_591:
                                        ; implicit-def: $vgpr115_vgpr116
.LBB120_592:
	ds_read_b64 v[115:116], v118
.LBB120_593:
	v_cmp_ne_u32_e32 vcc, 4, v0
	s_and_saveexec_b64 s[8:9], vcc
	s_cbranch_execz .LBB120_597
; %bb.594:
	s_mov_b32 s10, 0
	v_add_u32_e32 v120, 0x1d8, v117
	v_add3_u32 v121, v117, s10, 8
	s_mov_b64 s[10:11], 0
	v_mov_b32_e32 v122, v0
.LBB120_595:                            ; =>This Inner Loop Header: Depth=1
	buffer_load_dword v123, v121, s[0:3], 0 offen
	buffer_load_dword v124, v121, s[0:3], 0 offen offset:4
	ds_read_b64 v[125:126], v120
	v_add_u32_e32 v122, 1, v122
	v_cmp_lt_u32_e32 vcc, 3, v122
	v_add_u32_e32 v120, 8, v120
	s_or_b64 s[10:11], vcc, s[10:11]
	v_add_u32_e32 v121, 8, v121
	s_waitcnt vmcnt(0) lgkmcnt(0)
	v_fma_f64 v[115:116], v[123:124], v[125:126], v[115:116]
	s_andn2_b64 exec, exec, s[10:11]
	s_cbranch_execnz .LBB120_595
; %bb.596:
	s_or_b64 exec, exec, s[10:11]
.LBB120_597:
	s_or_b64 exec, exec, s[8:9]
	v_mov_b32_e32 v120, 0
	ds_read_b64 v[120:121], v120 offset:40
	s_waitcnt lgkmcnt(0)
	v_mul_f64 v[115:116], v[115:116], v[120:121]
	buffer_store_dword v116, off, s[0:3], 0 offset:44
	buffer_store_dword v115, off, s[0:3], 0 offset:40
.LBB120_598:
	;; [unrolled: 59-line block ×42, first 2 shown]
	s_or_b64 exec, exec, s[6:7]
	buffer_load_dword v115, off, s[0:3], 0 offset:368
	buffer_load_dword v116, off, s[0:3], 0 offset:372
	v_cmp_gt_u32_e32 vcc, 46, v0
	s_waitcnt vmcnt(0)
	ds_write_b64 v118, v[115:116]
	s_waitcnt lgkmcnt(0)
	; wave barrier
	s_and_saveexec_b64 s[6:7], vcc
	s_cbranch_execz .LBB120_1008
; %bb.999:
	s_and_b64 vcc, exec, s[4:5]
	s_cbranch_vccnz .LBB120_1001
; %bb.1000:
	buffer_load_dword v115, v119, s[0:3], 0 offen
	buffer_load_dword v116, v119, s[0:3], 0 offen offset:4
	ds_read_b64 v[120:121], v118
	s_waitcnt vmcnt(0) lgkmcnt(0)
	v_mul_f64 v[115:116], v[115:116], v[120:121]
	s_cbranch_execz .LBB120_1002
	s_branch .LBB120_1003
.LBB120_1001:
                                        ; implicit-def: $vgpr115_vgpr116
.LBB120_1002:
	ds_read_b64 v[115:116], v118
.LBB120_1003:
	v_cmp_ne_u32_e32 vcc, 45, v0
	s_and_saveexec_b64 s[8:9], vcc
	s_cbranch_execz .LBB120_1007
; %bb.1004:
	s_mov_b32 s10, 0
	v_add_u32_e32 v120, 0x1d8, v117
	v_add3_u32 v121, v117, s10, 8
	s_mov_b64 s[10:11], 0
	v_mov_b32_e32 v122, v0
.LBB120_1005:                           ; =>This Inner Loop Header: Depth=1
	buffer_load_dword v123, v121, s[0:3], 0 offen
	buffer_load_dword v124, v121, s[0:3], 0 offen offset:4
	ds_read_b64 v[125:126], v120
	v_add_u32_e32 v122, 1, v122
	v_cmp_lt_u32_e32 vcc, 44, v122
	v_add_u32_e32 v120, 8, v120
	s_or_b64 s[10:11], vcc, s[10:11]
	v_add_u32_e32 v121, 8, v121
	s_waitcnt vmcnt(0) lgkmcnt(0)
	v_fma_f64 v[115:116], v[123:124], v[125:126], v[115:116]
	s_andn2_b64 exec, exec, s[10:11]
	s_cbranch_execnz .LBB120_1005
; %bb.1006:
	s_or_b64 exec, exec, s[10:11]
.LBB120_1007:
	s_or_b64 exec, exec, s[8:9]
	v_mov_b32_e32 v120, 0
	ds_read_b64 v[120:121], v120 offset:368
	s_waitcnt lgkmcnt(0)
	v_mul_f64 v[115:116], v[115:116], v[120:121]
	buffer_store_dword v116, off, s[0:3], 0 offset:372
	buffer_store_dword v115, off, s[0:3], 0 offset:368
.LBB120_1008:
	s_or_b64 exec, exec, s[6:7]
	buffer_load_dword v115, off, s[0:3], 0 offset:376
	buffer_load_dword v116, off, s[0:3], 0 offset:380
	v_cmp_gt_u32_e32 vcc, 47, v0
	s_waitcnt vmcnt(0)
	ds_write_b64 v118, v[115:116]
	s_waitcnt lgkmcnt(0)
	; wave barrier
	s_and_saveexec_b64 s[6:7], vcc
	s_cbranch_execz .LBB120_1018
; %bb.1009:
	s_and_b64 vcc, exec, s[4:5]
	s_cbranch_vccnz .LBB120_1011
; %bb.1010:
	buffer_load_dword v115, v119, s[0:3], 0 offen
	buffer_load_dword v116, v119, s[0:3], 0 offen offset:4
	ds_read_b64 v[120:121], v118
	s_waitcnt vmcnt(0) lgkmcnt(0)
	v_mul_f64 v[115:116], v[115:116], v[120:121]
	s_cbranch_execz .LBB120_1012
	s_branch .LBB120_1013
.LBB120_1011:
                                        ; implicit-def: $vgpr115_vgpr116
.LBB120_1012:
	ds_read_b64 v[115:116], v118
.LBB120_1013:
	v_cmp_ne_u32_e32 vcc, 46, v0
	s_and_saveexec_b64 s[8:9], vcc
	s_cbranch_execz .LBB120_1017
; %bb.1014:
	s_mov_b32 s10, 0
	v_add_u32_e32 v120, 0x1d8, v117
	v_add3_u32 v121, v117, s10, 8
	s_mov_b64 s[10:11], 0
	v_mov_b32_e32 v122, v0
.LBB120_1015:                           ; =>This Inner Loop Header: Depth=1
	buffer_load_dword v123, v121, s[0:3], 0 offen
	buffer_load_dword v124, v121, s[0:3], 0 offen offset:4
	ds_read_b64 v[125:126], v120
	v_add_u32_e32 v122, 1, v122
	v_cmp_lt_u32_e32 vcc, 45, v122
	v_add_u32_e32 v120, 8, v120
	s_or_b64 s[10:11], vcc, s[10:11]
	v_add_u32_e32 v121, 8, v121
	s_waitcnt vmcnt(0) lgkmcnt(0)
	v_fma_f64 v[115:116], v[123:124], v[125:126], v[115:116]
	s_andn2_b64 exec, exec, s[10:11]
	s_cbranch_execnz .LBB120_1015
; %bb.1016:
	s_or_b64 exec, exec, s[10:11]
.LBB120_1017:
	s_or_b64 exec, exec, s[8:9]
	v_mov_b32_e32 v120, 0
	ds_read_b64 v[120:121], v120 offset:376
	s_waitcnt lgkmcnt(0)
	v_mul_f64 v[115:116], v[115:116], v[120:121]
	buffer_store_dword v116, off, s[0:3], 0 offset:380
	buffer_store_dword v115, off, s[0:3], 0 offset:376
.LBB120_1018:
	;; [unrolled: 59-line block ×9, first 2 shown]
	s_or_b64 exec, exec, s[6:7]
	buffer_load_dword v115, off, s[0:3], 0 offset:440
	buffer_load_dword v116, off, s[0:3], 0 offset:444
	v_cmp_gt_u32_e64 s[6:7], 55, v0
	s_waitcnt vmcnt(0)
	ds_write_b64 v118, v[115:116]
	s_waitcnt lgkmcnt(0)
	; wave barrier
	s_and_saveexec_b64 s[8:9], s[6:7]
	s_cbranch_execz .LBB120_1098
; %bb.1089:
	s_and_b64 vcc, exec, s[4:5]
	s_cbranch_vccnz .LBB120_1091
; %bb.1090:
	buffer_load_dword v115, v119, s[0:3], 0 offen
	buffer_load_dword v116, v119, s[0:3], 0 offen offset:4
	ds_read_b64 v[120:121], v118
	s_waitcnt vmcnt(0) lgkmcnt(0)
	v_mul_f64 v[115:116], v[115:116], v[120:121]
	s_cbranch_execz .LBB120_1092
	s_branch .LBB120_1093
.LBB120_1091:
                                        ; implicit-def: $vgpr115_vgpr116
.LBB120_1092:
	ds_read_b64 v[115:116], v118
.LBB120_1093:
	v_cmp_ne_u32_e32 vcc, 54, v0
	s_and_saveexec_b64 s[10:11], vcc
	s_cbranch_execz .LBB120_1097
; %bb.1094:
	s_mov_b32 s12, 0
	v_add_u32_e32 v120, 0x1d8, v117
	v_add3_u32 v121, v117, s12, 8
	s_mov_b64 s[12:13], 0
	v_mov_b32_e32 v122, v0
.LBB120_1095:                           ; =>This Inner Loop Header: Depth=1
	buffer_load_dword v123, v121, s[0:3], 0 offen
	buffer_load_dword v124, v121, s[0:3], 0 offen offset:4
	ds_read_b64 v[125:126], v120
	v_add_u32_e32 v122, 1, v122
	v_cmp_lt_u32_e32 vcc, 53, v122
	v_add_u32_e32 v120, 8, v120
	s_or_b64 s[12:13], vcc, s[12:13]
	v_add_u32_e32 v121, 8, v121
	s_waitcnt vmcnt(0) lgkmcnt(0)
	v_fma_f64 v[115:116], v[123:124], v[125:126], v[115:116]
	s_andn2_b64 exec, exec, s[12:13]
	s_cbranch_execnz .LBB120_1095
; %bb.1096:
	s_or_b64 exec, exec, s[12:13]
.LBB120_1097:
	s_or_b64 exec, exec, s[10:11]
	v_mov_b32_e32 v120, 0
	ds_read_b64 v[120:121], v120 offset:440
	s_waitcnt lgkmcnt(0)
	v_mul_f64 v[115:116], v[115:116], v[120:121]
	buffer_store_dword v116, off, s[0:3], 0 offset:444
	buffer_store_dword v115, off, s[0:3], 0 offset:440
.LBB120_1098:
	s_or_b64 exec, exec, s[8:9]
	buffer_load_dword v115, off, s[0:3], 0 offset:448
	buffer_load_dword v116, off, s[0:3], 0 offset:452
	v_cmp_ne_u32_e32 vcc, 56, v0
	s_waitcnt vmcnt(0)
	ds_write_b64 v118, v[115:116]
	s_waitcnt lgkmcnt(0)
	; wave barrier
	s_and_saveexec_b64 s[8:9], vcc
	s_cbranch_execz .LBB120_1108
; %bb.1099:
	s_and_b64 vcc, exec, s[4:5]
	s_cbranch_vccnz .LBB120_1101
; %bb.1100:
	buffer_load_dword v115, v119, s[0:3], 0 offen
	buffer_load_dword v116, v119, s[0:3], 0 offen offset:4
	ds_read_b64 v[119:120], v118
	s_waitcnt vmcnt(0) lgkmcnt(0)
	v_mul_f64 v[115:116], v[115:116], v[119:120]
	s_cbranch_execz .LBB120_1102
	s_branch .LBB120_1103
.LBB120_1101:
                                        ; implicit-def: $vgpr115_vgpr116
.LBB120_1102:
	ds_read_b64 v[115:116], v118
.LBB120_1103:
	s_and_saveexec_b64 s[4:5], s[6:7]
	s_cbranch_execz .LBB120_1107
; %bb.1104:
	s_mov_b32 s6, 0
	v_add_u32_e32 v118, 0x1d8, v117
	v_add3_u32 v117, v117, s6, 8
	s_mov_b64 s[6:7], 0
.LBB120_1105:                           ; =>This Inner Loop Header: Depth=1
	buffer_load_dword v119, v117, s[0:3], 0 offen
	buffer_load_dword v120, v117, s[0:3], 0 offen offset:4
	ds_read_b64 v[121:122], v118
	v_add_u32_e32 v0, 1, v0
	v_cmp_lt_u32_e32 vcc, 54, v0
	v_add_u32_e32 v118, 8, v118
	s_or_b64 s[6:7], vcc, s[6:7]
	v_add_u32_e32 v117, 8, v117
	s_waitcnt vmcnt(0) lgkmcnt(0)
	v_fma_f64 v[115:116], v[119:120], v[121:122], v[115:116]
	s_andn2_b64 exec, exec, s[6:7]
	s_cbranch_execnz .LBB120_1105
; %bb.1106:
	s_or_b64 exec, exec, s[6:7]
.LBB120_1107:
	s_or_b64 exec, exec, s[4:5]
	v_mov_b32_e32 v0, 0
	ds_read_b64 v[117:118], v0 offset:448
	s_waitcnt lgkmcnt(0)
	v_mul_f64 v[115:116], v[115:116], v[117:118]
	buffer_store_dword v116, off, s[0:3], 0 offset:452
	buffer_store_dword v115, off, s[0:3], 0 offset:448
.LBB120_1108:
	s_or_b64 exec, exec, s[8:9]
.LBB120_1109:
	buffer_load_dword v115, off, s[0:3], 0
	buffer_load_dword v116, off, s[0:3], 0 offset:4
	s_waitcnt vmcnt(0)
	flat_store_dwordx2 v[1:2], v[115:116]
	buffer_load_dword v0, off, s[0:3], 0 offset:8
	s_nop 0
	buffer_load_dword v1, off, s[0:3], 0 offset:12
	s_waitcnt vmcnt(0)
	flat_store_dwordx2 v[3:4], v[0:1]
	buffer_load_dword v0, off, s[0:3], 0 offset:16
	s_nop 0
	buffer_load_dword v1, off, s[0:3], 0 offset:20
	s_waitcnt vmcnt(0)
	flat_store_dwordx2 v[5:6], v[0:1]
	buffer_load_dword v0, off, s[0:3], 0 offset:24
	s_nop 0
	buffer_load_dword v1, off, s[0:3], 0 offset:28
	s_waitcnt vmcnt(0)
	flat_store_dwordx2 v[7:8], v[0:1]
	buffer_load_dword v0, off, s[0:3], 0 offset:32
	s_nop 0
	buffer_load_dword v1, off, s[0:3], 0 offset:36
	s_waitcnt vmcnt(0)
	flat_store_dwordx2 v[9:10], v[0:1]
	buffer_load_dword v0, off, s[0:3], 0 offset:40
	s_nop 0
	buffer_load_dword v1, off, s[0:3], 0 offset:44
	s_waitcnt vmcnt(0)
	flat_store_dwordx2 v[11:12], v[0:1]
	buffer_load_dword v0, off, s[0:3], 0 offset:48
	s_nop 0
	buffer_load_dword v1, off, s[0:3], 0 offset:52
	s_waitcnt vmcnt(0)
	flat_store_dwordx2 v[13:14], v[0:1]
	buffer_load_dword v0, off, s[0:3], 0 offset:56
	s_nop 0
	buffer_load_dword v1, off, s[0:3], 0 offset:60
	s_waitcnt vmcnt(0)
	flat_store_dwordx2 v[15:16], v[0:1]
	buffer_load_dword v0, off, s[0:3], 0 offset:64
	s_nop 0
	buffer_load_dword v1, off, s[0:3], 0 offset:68
	s_waitcnt vmcnt(0)
	flat_store_dwordx2 v[17:18], v[0:1]
	buffer_load_dword v0, off, s[0:3], 0 offset:72
	s_nop 0
	buffer_load_dword v1, off, s[0:3], 0 offset:76
	s_waitcnt vmcnt(0)
	flat_store_dwordx2 v[19:20], v[0:1]
	buffer_load_dword v0, off, s[0:3], 0 offset:80
	s_nop 0
	buffer_load_dword v1, off, s[0:3], 0 offset:84
	s_waitcnt vmcnt(0)
	flat_store_dwordx2 v[21:22], v[0:1]
	buffer_load_dword v0, off, s[0:3], 0 offset:88
	s_nop 0
	buffer_load_dword v1, off, s[0:3], 0 offset:92
	s_waitcnt vmcnt(0)
	flat_store_dwordx2 v[23:24], v[0:1]
	buffer_load_dword v0, off, s[0:3], 0 offset:96
	s_nop 0
	buffer_load_dword v1, off, s[0:3], 0 offset:100
	s_waitcnt vmcnt(0)
	flat_store_dwordx2 v[25:26], v[0:1]
	buffer_load_dword v0, off, s[0:3], 0 offset:104
	s_nop 0
	buffer_load_dword v1, off, s[0:3], 0 offset:108
	s_waitcnt vmcnt(0)
	flat_store_dwordx2 v[27:28], v[0:1]
	buffer_load_dword v0, off, s[0:3], 0 offset:112
	s_nop 0
	buffer_load_dword v1, off, s[0:3], 0 offset:116
	s_waitcnt vmcnt(0)
	flat_store_dwordx2 v[29:30], v[0:1]
	buffer_load_dword v0, off, s[0:3], 0 offset:120
	s_nop 0
	buffer_load_dword v1, off, s[0:3], 0 offset:124
	s_waitcnt vmcnt(0)
	flat_store_dwordx2 v[31:32], v[0:1]
	buffer_load_dword v0, off, s[0:3], 0 offset:128
	s_nop 0
	buffer_load_dword v1, off, s[0:3], 0 offset:132
	s_waitcnt vmcnt(0)
	flat_store_dwordx2 v[33:34], v[0:1]
	buffer_load_dword v0, off, s[0:3], 0 offset:136
	s_nop 0
	buffer_load_dword v1, off, s[0:3], 0 offset:140
	s_waitcnt vmcnt(0)
	flat_store_dwordx2 v[35:36], v[0:1]
	buffer_load_dword v0, off, s[0:3], 0 offset:144
	s_nop 0
	buffer_load_dword v1, off, s[0:3], 0 offset:148
	s_waitcnt vmcnt(0)
	flat_store_dwordx2 v[37:38], v[0:1]
	buffer_load_dword v0, off, s[0:3], 0 offset:152
	s_nop 0
	buffer_load_dword v1, off, s[0:3], 0 offset:156
	s_waitcnt vmcnt(0)
	flat_store_dwordx2 v[39:40], v[0:1]
	buffer_load_dword v0, off, s[0:3], 0 offset:160
	s_nop 0
	buffer_load_dword v1, off, s[0:3], 0 offset:164
	s_waitcnt vmcnt(0)
	flat_store_dwordx2 v[41:42], v[0:1]
	buffer_load_dword v0, off, s[0:3], 0 offset:168
	s_nop 0
	buffer_load_dword v1, off, s[0:3], 0 offset:172
	s_waitcnt vmcnt(0)
	flat_store_dwordx2 v[43:44], v[0:1]
	buffer_load_dword v0, off, s[0:3], 0 offset:176
	s_nop 0
	buffer_load_dword v1, off, s[0:3], 0 offset:180
	s_waitcnt vmcnt(0)
	flat_store_dwordx2 v[45:46], v[0:1]
	buffer_load_dword v0, off, s[0:3], 0 offset:184
	s_nop 0
	buffer_load_dword v1, off, s[0:3], 0 offset:188
	s_waitcnt vmcnt(0)
	flat_store_dwordx2 v[47:48], v[0:1]
	buffer_load_dword v0, off, s[0:3], 0 offset:192
	s_nop 0
	buffer_load_dword v1, off, s[0:3], 0 offset:196
	s_waitcnt vmcnt(0)
	flat_store_dwordx2 v[49:50], v[0:1]
	buffer_load_dword v0, off, s[0:3], 0 offset:200
	s_nop 0
	buffer_load_dword v1, off, s[0:3], 0 offset:204
	s_waitcnt vmcnt(0)
	flat_store_dwordx2 v[51:52], v[0:1]
	buffer_load_dword v0, off, s[0:3], 0 offset:208
	s_nop 0
	buffer_load_dword v1, off, s[0:3], 0 offset:212
	s_waitcnt vmcnt(0)
	flat_store_dwordx2 v[53:54], v[0:1]
	buffer_load_dword v0, off, s[0:3], 0 offset:216
	s_nop 0
	buffer_load_dword v1, off, s[0:3], 0 offset:220
	s_waitcnt vmcnt(0)
	flat_store_dwordx2 v[55:56], v[0:1]
	buffer_load_dword v0, off, s[0:3], 0 offset:224
	s_nop 0
	buffer_load_dword v1, off, s[0:3], 0 offset:228
	s_waitcnt vmcnt(0)
	flat_store_dwordx2 v[57:58], v[0:1]
	buffer_load_dword v0, off, s[0:3], 0 offset:232
	s_nop 0
	buffer_load_dword v1, off, s[0:3], 0 offset:236
	s_waitcnt vmcnt(0)
	flat_store_dwordx2 v[59:60], v[0:1]
	buffer_load_dword v0, off, s[0:3], 0 offset:240
	s_nop 0
	buffer_load_dword v1, off, s[0:3], 0 offset:244
	s_waitcnt vmcnt(0)
	flat_store_dwordx2 v[61:62], v[0:1]
	buffer_load_dword v0, off, s[0:3], 0 offset:248
	s_nop 0
	buffer_load_dword v1, off, s[0:3], 0 offset:252
	s_waitcnt vmcnt(0)
	flat_store_dwordx2 v[63:64], v[0:1]
	buffer_load_dword v0, off, s[0:3], 0 offset:256
	s_nop 0
	buffer_load_dword v1, off, s[0:3], 0 offset:260
	s_waitcnt vmcnt(0)
	flat_store_dwordx2 v[65:66], v[0:1]
	buffer_load_dword v0, off, s[0:3], 0 offset:264
	s_nop 0
	buffer_load_dword v1, off, s[0:3], 0 offset:268
	s_waitcnt vmcnt(0)
	flat_store_dwordx2 v[67:68], v[0:1]
	buffer_load_dword v0, off, s[0:3], 0 offset:272
	s_nop 0
	buffer_load_dword v1, off, s[0:3], 0 offset:276
	s_waitcnt vmcnt(0)
	flat_store_dwordx2 v[69:70], v[0:1]
	buffer_load_dword v0, off, s[0:3], 0 offset:280
	s_nop 0
	buffer_load_dword v1, off, s[0:3], 0 offset:284
	s_waitcnt vmcnt(0)
	flat_store_dwordx2 v[71:72], v[0:1]
	buffer_load_dword v0, off, s[0:3], 0 offset:288
	s_nop 0
	buffer_load_dword v1, off, s[0:3], 0 offset:292
	s_waitcnt vmcnt(0)
	flat_store_dwordx2 v[73:74], v[0:1]
	buffer_load_dword v0, off, s[0:3], 0 offset:296
	s_nop 0
	buffer_load_dword v1, off, s[0:3], 0 offset:300
	s_waitcnt vmcnt(0)
	flat_store_dwordx2 v[75:76], v[0:1]
	buffer_load_dword v0, off, s[0:3], 0 offset:304
	s_nop 0
	buffer_load_dword v1, off, s[0:3], 0 offset:308
	s_waitcnt vmcnt(0)
	flat_store_dwordx2 v[77:78], v[0:1]
	buffer_load_dword v0, off, s[0:3], 0 offset:312
	s_nop 0
	buffer_load_dword v1, off, s[0:3], 0 offset:316
	s_waitcnt vmcnt(0)
	flat_store_dwordx2 v[79:80], v[0:1]
	buffer_load_dword v0, off, s[0:3], 0 offset:320
	s_nop 0
	buffer_load_dword v1, off, s[0:3], 0 offset:324
	s_waitcnt vmcnt(0)
	flat_store_dwordx2 v[81:82], v[0:1]
	buffer_load_dword v0, off, s[0:3], 0 offset:328
	s_nop 0
	buffer_load_dword v1, off, s[0:3], 0 offset:332
	s_waitcnt vmcnt(0)
	flat_store_dwordx2 v[83:84], v[0:1]
	buffer_load_dword v0, off, s[0:3], 0 offset:336
	s_nop 0
	buffer_load_dword v1, off, s[0:3], 0 offset:340
	s_waitcnt vmcnt(0)
	flat_store_dwordx2 v[85:86], v[0:1]
	buffer_load_dword v0, off, s[0:3], 0 offset:344
	s_nop 0
	buffer_load_dword v1, off, s[0:3], 0 offset:348
	s_waitcnt vmcnt(0)
	flat_store_dwordx2 v[87:88], v[0:1]
	buffer_load_dword v0, off, s[0:3], 0 offset:352
	s_nop 0
	buffer_load_dword v1, off, s[0:3], 0 offset:356
	s_waitcnt vmcnt(0)
	flat_store_dwordx2 v[89:90], v[0:1]
	buffer_load_dword v0, off, s[0:3], 0 offset:360
	s_nop 0
	buffer_load_dword v1, off, s[0:3], 0 offset:364
	s_waitcnt vmcnt(0)
	flat_store_dwordx2 v[91:92], v[0:1]
	buffer_load_dword v0, off, s[0:3], 0 offset:368
	s_nop 0
	buffer_load_dword v1, off, s[0:3], 0 offset:372
	s_waitcnt vmcnt(0)
	flat_store_dwordx2 v[93:94], v[0:1]
	buffer_load_dword v0, off, s[0:3], 0 offset:376
	s_nop 0
	buffer_load_dword v1, off, s[0:3], 0 offset:380
	s_waitcnt vmcnt(0)
	flat_store_dwordx2 v[95:96], v[0:1]
	buffer_load_dword v0, off, s[0:3], 0 offset:384
	s_nop 0
	buffer_load_dword v1, off, s[0:3], 0 offset:388
	s_waitcnt vmcnt(0)
	flat_store_dwordx2 v[97:98], v[0:1]
	buffer_load_dword v0, off, s[0:3], 0 offset:392
	s_nop 0
	buffer_load_dword v1, off, s[0:3], 0 offset:396
	s_waitcnt vmcnt(0)
	flat_store_dwordx2 v[99:100], v[0:1]
	buffer_load_dword v0, off, s[0:3], 0 offset:400
	s_nop 0
	buffer_load_dword v1, off, s[0:3], 0 offset:404
	s_waitcnt vmcnt(0)
	flat_store_dwordx2 v[101:102], v[0:1]
	buffer_load_dword v0, off, s[0:3], 0 offset:408
	s_nop 0
	buffer_load_dword v1, off, s[0:3], 0 offset:412
	s_waitcnt vmcnt(0)
	flat_store_dwordx2 v[103:104], v[0:1]
	buffer_load_dword v0, off, s[0:3], 0 offset:416
	s_nop 0
	buffer_load_dword v1, off, s[0:3], 0 offset:420
	s_waitcnt vmcnt(0)
	flat_store_dwordx2 v[105:106], v[0:1]
	buffer_load_dword v0, off, s[0:3], 0 offset:424
	s_nop 0
	buffer_load_dword v1, off, s[0:3], 0 offset:428
	s_waitcnt vmcnt(0)
	flat_store_dwordx2 v[107:108], v[0:1]
	buffer_load_dword v0, off, s[0:3], 0 offset:432
	s_nop 0
	buffer_load_dword v1, off, s[0:3], 0 offset:436
	s_waitcnt vmcnt(0)
	flat_store_dwordx2 v[109:110], v[0:1]
	buffer_load_dword v0, off, s[0:3], 0 offset:440
	s_nop 0
	buffer_load_dword v1, off, s[0:3], 0 offset:444
	s_waitcnt vmcnt(0)
	flat_store_dwordx2 v[111:112], v[0:1]
	buffer_load_dword v0, off, s[0:3], 0 offset:448
	s_nop 0
	buffer_load_dword v1, off, s[0:3], 0 offset:452
	s_waitcnt vmcnt(0)
	flat_store_dwordx2 v[113:114], v[0:1]
.LBB120_1110:
	s_endpgm
	.section	.rodata,"a",@progbits
	.p2align	6, 0x0
	.amdhsa_kernel _ZN9rocsolver6v33100L18trti2_kernel_smallILi57EdPKPdEEv13rocblas_fill_17rocblas_diagonal_T1_iil
		.amdhsa_group_segment_fixed_size 920
		.amdhsa_private_segment_fixed_size 464
		.amdhsa_kernarg_size 32
		.amdhsa_user_sgpr_count 6
		.amdhsa_user_sgpr_private_segment_buffer 1
		.amdhsa_user_sgpr_dispatch_ptr 0
		.amdhsa_user_sgpr_queue_ptr 0
		.amdhsa_user_sgpr_kernarg_segment_ptr 1
		.amdhsa_user_sgpr_dispatch_id 0
		.amdhsa_user_sgpr_flat_scratch_init 0
		.amdhsa_user_sgpr_private_segment_size 0
		.amdhsa_uses_dynamic_stack 0
		.amdhsa_system_sgpr_private_segment_wavefront_offset 1
		.amdhsa_system_sgpr_workgroup_id_x 1
		.amdhsa_system_sgpr_workgroup_id_y 0
		.amdhsa_system_sgpr_workgroup_id_z 0
		.amdhsa_system_sgpr_workgroup_info 0
		.amdhsa_system_vgpr_workitem_id 0
		.amdhsa_next_free_vgpr 128
		.amdhsa_next_free_sgpr 70
		.amdhsa_reserve_vcc 1
		.amdhsa_reserve_flat_scratch 0
		.amdhsa_float_round_mode_32 0
		.amdhsa_float_round_mode_16_64 0
		.amdhsa_float_denorm_mode_32 3
		.amdhsa_float_denorm_mode_16_64 3
		.amdhsa_dx10_clamp 1
		.amdhsa_ieee_mode 1
		.amdhsa_fp16_overflow 0
		.amdhsa_exception_fp_ieee_invalid_op 0
		.amdhsa_exception_fp_denorm_src 0
		.amdhsa_exception_fp_ieee_div_zero 0
		.amdhsa_exception_fp_ieee_overflow 0
		.amdhsa_exception_fp_ieee_underflow 0
		.amdhsa_exception_fp_ieee_inexact 0
		.amdhsa_exception_int_div_zero 0
	.end_amdhsa_kernel
	.section	.text._ZN9rocsolver6v33100L18trti2_kernel_smallILi57EdPKPdEEv13rocblas_fill_17rocblas_diagonal_T1_iil,"axG",@progbits,_ZN9rocsolver6v33100L18trti2_kernel_smallILi57EdPKPdEEv13rocblas_fill_17rocblas_diagonal_T1_iil,comdat
.Lfunc_end120:
	.size	_ZN9rocsolver6v33100L18trti2_kernel_smallILi57EdPKPdEEv13rocblas_fill_17rocblas_diagonal_T1_iil, .Lfunc_end120-_ZN9rocsolver6v33100L18trti2_kernel_smallILi57EdPKPdEEv13rocblas_fill_17rocblas_diagonal_T1_iil
                                        ; -- End function
	.set _ZN9rocsolver6v33100L18trti2_kernel_smallILi57EdPKPdEEv13rocblas_fill_17rocblas_diagonal_T1_iil.num_vgpr, 128
	.set _ZN9rocsolver6v33100L18trti2_kernel_smallILi57EdPKPdEEv13rocblas_fill_17rocblas_diagonal_T1_iil.num_agpr, 0
	.set _ZN9rocsolver6v33100L18trti2_kernel_smallILi57EdPKPdEEv13rocblas_fill_17rocblas_diagonal_T1_iil.numbered_sgpr, 70
	.set _ZN9rocsolver6v33100L18trti2_kernel_smallILi57EdPKPdEEv13rocblas_fill_17rocblas_diagonal_T1_iil.num_named_barrier, 0
	.set _ZN9rocsolver6v33100L18trti2_kernel_smallILi57EdPKPdEEv13rocblas_fill_17rocblas_diagonal_T1_iil.private_seg_size, 464
	.set _ZN9rocsolver6v33100L18trti2_kernel_smallILi57EdPKPdEEv13rocblas_fill_17rocblas_diagonal_T1_iil.uses_vcc, 1
	.set _ZN9rocsolver6v33100L18trti2_kernel_smallILi57EdPKPdEEv13rocblas_fill_17rocblas_diagonal_T1_iil.uses_flat_scratch, 0
	.set _ZN9rocsolver6v33100L18trti2_kernel_smallILi57EdPKPdEEv13rocblas_fill_17rocblas_diagonal_T1_iil.has_dyn_sized_stack, 0
	.set _ZN9rocsolver6v33100L18trti2_kernel_smallILi57EdPKPdEEv13rocblas_fill_17rocblas_diagonal_T1_iil.has_recursion, 0
	.set _ZN9rocsolver6v33100L18trti2_kernel_smallILi57EdPKPdEEv13rocblas_fill_17rocblas_diagonal_T1_iil.has_indirect_call, 0
	.section	.AMDGPU.csdata,"",@progbits
; Kernel info:
; codeLenInByte = 33932
; TotalNumSgprs: 74
; NumVgprs: 128
; ScratchSize: 464
; MemoryBound: 0
; FloatMode: 240
; IeeeMode: 1
; LDSByteSize: 920 bytes/workgroup (compile time only)
; SGPRBlocks: 9
; VGPRBlocks: 31
; NumSGPRsForWavesPerEU: 74
; NumVGPRsForWavesPerEU: 128
; Occupancy: 2
; WaveLimiterHint : 1
; COMPUTE_PGM_RSRC2:SCRATCH_EN: 1
; COMPUTE_PGM_RSRC2:USER_SGPR: 6
; COMPUTE_PGM_RSRC2:TRAP_HANDLER: 0
; COMPUTE_PGM_RSRC2:TGID_X_EN: 1
; COMPUTE_PGM_RSRC2:TGID_Y_EN: 0
; COMPUTE_PGM_RSRC2:TGID_Z_EN: 0
; COMPUTE_PGM_RSRC2:TIDIG_COMP_CNT: 0
	.section	.text._ZN9rocsolver6v33100L18trti2_kernel_smallILi58EdPKPdEEv13rocblas_fill_17rocblas_diagonal_T1_iil,"axG",@progbits,_ZN9rocsolver6v33100L18trti2_kernel_smallILi58EdPKPdEEv13rocblas_fill_17rocblas_diagonal_T1_iil,comdat
	.globl	_ZN9rocsolver6v33100L18trti2_kernel_smallILi58EdPKPdEEv13rocblas_fill_17rocblas_diagonal_T1_iil ; -- Begin function _ZN9rocsolver6v33100L18trti2_kernel_smallILi58EdPKPdEEv13rocblas_fill_17rocblas_diagonal_T1_iil
	.p2align	8
	.type	_ZN9rocsolver6v33100L18trti2_kernel_smallILi58EdPKPdEEv13rocblas_fill_17rocblas_diagonal_T1_iil,@function
_ZN9rocsolver6v33100L18trti2_kernel_smallILi58EdPKPdEEv13rocblas_fill_17rocblas_diagonal_T1_iil: ; @_ZN9rocsolver6v33100L18trti2_kernel_smallILi58EdPKPdEEv13rocblas_fill_17rocblas_diagonal_T1_iil
; %bb.0:
	s_add_u32 s0, s0, s7
	s_addc_u32 s1, s1, 0
	v_cmp_gt_u32_e32 vcc, 58, v0
	s_and_saveexec_b64 s[8:9], vcc
	s_cbranch_execz .LBB121_1130
; %bb.1:
	s_load_dwordx2 s[12:13], s[4:5], 0x10
	s_load_dwordx4 s[8:11], s[4:5], 0x0
	s_ashr_i32 s7, s6, 31
	s_lshl_b64 s[6:7], s[6:7], 3
	v_lshlrev_b32_e32 v119, 3, v0
	s_waitcnt lgkmcnt(0)
	s_ashr_i32 s5, s12, 31
	s_add_u32 s6, s10, s6
	s_addc_u32 s7, s11, s7
	s_load_dwordx2 s[6:7], s[6:7], 0x0
	s_mov_b32 s4, s12
	s_lshl_b64 s[4:5], s[4:5], 3
	s_waitcnt lgkmcnt(0)
	s_add_u32 s4, s6, s4
	s_addc_u32 s5, s7, s5
	v_mov_b32_e32 v2, s5
	v_add_co_u32_e32 v1, vcc, s4, v119
	v_addc_co_u32_e32 v2, vcc, 0, v2, vcc
	flat_load_dwordx2 v[5:6], v[1:2]
	s_mov_b32 s6, s13
	s_ashr_i32 s7, s13, 31
	s_lshl_b64 s[6:7], s[6:7], 3
	v_mov_b32_e32 v4, s7
	v_add_co_u32_e32 v3, vcc, s6, v1
	v_addc_co_u32_e32 v4, vcc, v2, v4, vcc
	s_add_i32 s6, s13, s13
	v_add_u32_e32 v9, s6, v0
	v_ashrrev_i32_e32 v10, 31, v9
	v_mov_b32_e32 v11, s5
	v_add_u32_e32 v12, s13, v9
	v_ashrrev_i32_e32 v13, 31, v12
	v_mov_b32_e32 v14, s5
	v_mov_b32_e32 v15, s5
	;; [unrolled: 1-line block ×54, first 2 shown]
	s_cmpk_lg_i32 s9, 0x84
	s_cselect_b64 s[10:11], -1, 0
	s_cmpk_eq_i32 s9, 0x84
	s_waitcnt vmcnt(0) lgkmcnt(0)
	buffer_store_dword v6, off, s[0:3], 0 offset:4
	buffer_store_dword v5, off, s[0:3], 0
	flat_load_dwordx2 v[7:8], v[3:4]
	v_lshlrev_b64 v[5:6], 3, v[9:10]
	s_waitcnt vmcnt(0) lgkmcnt(0)
	buffer_store_dword v8, off, s[0:3], 0 offset:12
	buffer_store_dword v7, off, s[0:3], 0 offset:8
	v_add_co_u32_e32 v5, vcc, s4, v5
	v_addc_co_u32_e32 v6, vcc, v11, v6, vcc
	flat_load_dwordx2 v[10:11], v[5:6]
	v_lshlrev_b64 v[7:8], 3, v[12:13]
	s_waitcnt vmcnt(0) lgkmcnt(0)
	buffer_store_dword v11, off, s[0:3], 0 offset:20
	buffer_store_dword v10, off, s[0:3], 0 offset:16
	v_add_co_u32_e32 v7, vcc, s4, v7
	v_addc_co_u32_e32 v8, vcc, v14, v8, vcc
	flat_load_dwordx2 v[13:14], v[7:8]
	v_add_u32_e32 v11, s13, v12
	v_ashrrev_i32_e32 v12, 31, v11
	v_lshlrev_b64 v[9:10], 3, v[11:12]
	s_waitcnt vmcnt(0) lgkmcnt(0)
	buffer_store_dword v14, off, s[0:3], 0 offset:28
	buffer_store_dword v13, off, s[0:3], 0 offset:24
	v_add_co_u32_e32 v9, vcc, s4, v9
	v_addc_co_u32_e32 v10, vcc, v15, v10, vcc
	flat_load_dwordx2 v[13:14], v[9:10]
	v_add_u32_e32 v15, s13, v11
	v_ashrrev_i32_e32 v16, 31, v15
	v_lshlrev_b64 v[11:12], 3, v[15:16]
	v_add_u32_e32 v18, s13, v15
	v_add_co_u32_e32 v11, vcc, s4, v11
	v_addc_co_u32_e32 v12, vcc, v17, v12, vcc
	v_ashrrev_i32_e32 v19, 31, v18
	s_waitcnt vmcnt(0) lgkmcnt(0)
	buffer_store_dword v14, off, s[0:3], 0 offset:36
	buffer_store_dword v13, off, s[0:3], 0 offset:32
	flat_load_dwordx2 v[16:17], v[11:12]
	v_lshlrev_b64 v[13:14], 3, v[18:19]
	s_waitcnt vmcnt(0) lgkmcnt(0)
	buffer_store_dword v17, off, s[0:3], 0 offset:44
	buffer_store_dword v16, off, s[0:3], 0 offset:40
	v_add_co_u32_e32 v13, vcc, s4, v13
	v_addc_co_u32_e32 v14, vcc, v20, v14, vcc
	flat_load_dwordx2 v[19:20], v[13:14]
	v_add_u32_e32 v17, s13, v18
	v_ashrrev_i32_e32 v18, 31, v17
	v_lshlrev_b64 v[15:16], 3, v[17:18]
	s_waitcnt vmcnt(0) lgkmcnt(0)
	buffer_store_dword v20, off, s[0:3], 0 offset:52
	buffer_store_dword v19, off, s[0:3], 0 offset:48
	v_add_co_u32_e32 v15, vcc, s4, v15
	v_addc_co_u32_e32 v16, vcc, v21, v16, vcc
	flat_load_dwordx2 v[19:20], v[15:16]
	v_add_u32_e32 v21, s13, v17
	v_ashrrev_i32_e32 v22, 31, v21
	v_lshlrev_b64 v[17:18], 3, v[21:22]
	v_add_u32_e32 v24, s13, v21
	v_add_co_u32_e32 v17, vcc, s4, v17
	v_addc_co_u32_e32 v18, vcc, v23, v18, vcc
	v_ashrrev_i32_e32 v25, 31, v24
	s_waitcnt vmcnt(0) lgkmcnt(0)
	buffer_store_dword v20, off, s[0:3], 0 offset:60
	buffer_store_dword v19, off, s[0:3], 0 offset:56
	;; [unrolled: 27-line block ×7, first 2 shown]
	flat_load_dwordx2 v[52:53], v[47:48]
	v_lshlrev_b64 v[49:50], 3, v[54:55]
	s_waitcnt vmcnt(0) lgkmcnt(0)
	buffer_store_dword v53, off, s[0:3], 0 offset:188
	buffer_store_dword v52, off, s[0:3], 0 offset:184
	v_add_co_u32_e32 v49, vcc, s4, v49
	v_addc_co_u32_e32 v50, vcc, v56, v50, vcc
	flat_load_dwordx2 v[55:56], v[49:50]
	v_add_u32_e32 v53, s13, v54
	v_ashrrev_i32_e32 v54, 31, v53
	v_lshlrev_b64 v[51:52], 3, v[53:54]
	s_waitcnt vmcnt(0) lgkmcnt(0)
	buffer_store_dword v56, off, s[0:3], 0 offset:196
	buffer_store_dword v55, off, s[0:3], 0 offset:192
	v_add_co_u32_e32 v51, vcc, s4, v51
	v_addc_co_u32_e32 v52, vcc, v57, v52, vcc
	flat_load_dwordx2 v[55:56], v[51:52]
	v_add_u32_e32 v57, s13, v53
	v_ashrrev_i32_e32 v58, 31, v57
	v_lshlrev_b64 v[53:54], 3, v[57:58]
	v_add_u32_e32 v60, s13, v57
	v_add_co_u32_e32 v53, vcc, s4, v53
	v_addc_co_u32_e32 v54, vcc, v59, v54, vcc
	s_waitcnt vmcnt(0) lgkmcnt(0)
	buffer_store_dword v56, off, s[0:3], 0 offset:204
	buffer_store_dword v55, off, s[0:3], 0 offset:200
	flat_load_dwordx2 v[58:59], v[53:54]
	v_ashrrev_i32_e32 v61, 31, v60
	v_lshlrev_b64 v[55:56], 3, v[60:61]
	s_waitcnt vmcnt(0) lgkmcnt(0)
	buffer_store_dword v59, off, s[0:3], 0 offset:212
	buffer_store_dword v58, off, s[0:3], 0 offset:208
	v_add_co_u32_e32 v55, vcc, s4, v55
	v_addc_co_u32_e32 v56, vcc, v62, v56, vcc
	flat_load_dwordx2 v[61:62], v[55:56]
	v_add_u32_e32 v59, s13, v60
	v_ashrrev_i32_e32 v60, 31, v59
	v_lshlrev_b64 v[57:58], 3, v[59:60]
	s_waitcnt vmcnt(0) lgkmcnt(0)
	buffer_store_dword v62, off, s[0:3], 0 offset:220
	buffer_store_dword v61, off, s[0:3], 0 offset:216
	v_add_co_u32_e32 v57, vcc, s4, v57
	v_addc_co_u32_e32 v58, vcc, v63, v58, vcc
	flat_load_dwordx2 v[61:62], v[57:58]
	v_add_u32_e32 v63, s13, v59
	;; [unrolled: 9-line block ×30, first 2 shown]
	v_ashrrev_i32_e32 v116, 31, v115
	v_lshlrev_b64 v[115:116], 3, v[115:116]
	v_mov_b32_e32 v118, s5
	v_add_co_u32_e32 v115, vcc, s4, v115
	v_addc_co_u32_e32 v116, vcc, v118, v116, vcc
	s_waitcnt vmcnt(0) lgkmcnt(0)
	buffer_store_dword v121, off, s[0:3], 0 offset:452
	buffer_store_dword v120, off, s[0:3], 0 offset:448
	flat_load_dwordx2 v[120:121], v[115:116]
	v_mov_b32_e32 v117, 0
	v_mov_b32_e32 v118, 0xbff00000
	s_waitcnt vmcnt(0) lgkmcnt(0)
	buffer_store_dword v121, off, s[0:3], 0 offset:460
	buffer_store_dword v120, off, s[0:3], 0 offset:456
	s_cbranch_scc1 .LBB121_3
; %bb.2:
	v_mov_b32_e32 v117, 0
	v_lshl_add_u32 v128, v0, 3, v117
	buffer_load_dword v117, v128, s[0:3], 0 offen
	buffer_load_dword v118, v128, s[0:3], 0 offen offset:4
	s_waitcnt vmcnt(0)
	v_div_scale_f64 v[120:121], s[4:5], v[117:118], v[117:118], 1.0
	v_rcp_f64_e32 v[122:123], v[120:121]
	v_fma_f64 v[124:125], -v[120:121], v[122:123], 1.0
	v_fma_f64 v[122:123], v[122:123], v[124:125], v[122:123]
	v_div_scale_f64 v[124:125], vcc, 1.0, v[117:118], 1.0
	v_fma_f64 v[126:127], -v[120:121], v[122:123], 1.0
	v_fma_f64 v[122:123], v[122:123], v[126:127], v[122:123]
	v_mul_f64 v[126:127], v[124:125], v[122:123]
	v_fma_f64 v[120:121], -v[120:121], v[126:127], v[124:125]
	v_div_fmas_f64 v[120:121], v[120:121], v[122:123], v[126:127]
	v_div_fixup_f64 v[117:118], v[120:121], v[117:118], 1.0
	buffer_store_dword v117, v128, s[0:3], 0 offen
	buffer_store_dword v118, v128, s[0:3], 0 offen offset:4
	v_xor_b32_e32 v118, 0x80000000, v118
.LBB121_3:
	s_cmpk_eq_i32 s8, 0x79
	v_add_u32_e32 v120, 0x1d0, v119
	v_mov_b32_e32 v121, v119
	s_mov_b64 s[4:5], -1
	ds_write_b64 v119, v[117:118]
	s_cbranch_scc1 .LBB121_567
; %bb.4:
	buffer_load_dword v117, off, s[0:3], 0 offset:448
	buffer_load_dword v118, off, s[0:3], 0 offset:452
	s_movk_i32 s12, 0x48
	s_movk_i32 s13, 0x50
	;; [unrolled: 1-line block ×47, first 2 shown]
	v_cmp_eq_u32_e64 s[4:5], 57, v0
	s_waitcnt vmcnt(0)
	ds_write_b64 v120, v[117:118]
	s_waitcnt lgkmcnt(0)
	; wave barrier
	s_and_saveexec_b64 s[6:7], s[4:5]
	s_cbranch_execz .LBB121_10
; %bb.5:
	s_and_b64 vcc, exec, s[10:11]
	s_cbranch_vccz .LBB121_7
; %bb.6:
	buffer_load_dword v117, v121, s[0:3], 0 offen
	buffer_load_dword v118, v121, s[0:3], 0 offen offset:4
	ds_read_b64 v[122:123], v120
	s_waitcnt vmcnt(0) lgkmcnt(0)
	v_mul_f64 v[117:118], v[117:118], v[122:123]
	s_cbranch_execz .LBB121_8
	s_branch .LBB121_9
.LBB121_7:
                                        ; implicit-def: $vgpr117_vgpr118
.LBB121_8:
	ds_read_b64 v[117:118], v120
.LBB121_9:
	v_mov_b32_e32 v122, 0
	ds_read_b64 v[122:123], v122 offset:448
	s_waitcnt lgkmcnt(0)
	v_mul_f64 v[117:118], v[117:118], v[122:123]
	buffer_store_dword v118, off, s[0:3], 0 offset:452
	buffer_store_dword v117, off, s[0:3], 0 offset:448
.LBB121_10:
	s_or_b64 exec, exec, s[6:7]
	buffer_load_dword v117, off, s[0:3], 0 offset:440
	buffer_load_dword v118, off, s[0:3], 0 offset:444
	s_or_b32 s14, 0, 8
	s_mov_b32 s15, 16
	s_mov_b32 s16, 24
	s_mov_b32 s17, 32
	s_mov_b32 s18, 40
	s_mov_b32 s19, 48
	s_mov_b32 s20, 56
	s_mov_b32 s21, 64
	s_mov_b32 s22, s12
	s_mov_b32 s23, s13
	v_cmp_lt_u32_e64 s[6:7], 55, v0
	s_waitcnt vmcnt(0)
	ds_write_b64 v120, v[117:118]
	s_waitcnt lgkmcnt(0)
	; wave barrier
	s_and_saveexec_b64 s[8:9], s[6:7]
	s_cbranch_execz .LBB121_16
; %bb.11:
	s_andn2_b64 vcc, exec, s[10:11]
	s_cbranch_vccnz .LBB121_13
; %bb.12:
	buffer_load_dword v117, v121, s[0:3], 0 offen
	buffer_load_dword v118, v121, s[0:3], 0 offen offset:4
	ds_read_b64 v[122:123], v120
	s_waitcnt vmcnt(0) lgkmcnt(0)
	v_mul_f64 v[117:118], v[117:118], v[122:123]
	s_cbranch_execz .LBB121_14
	s_branch .LBB121_15
.LBB121_13:
                                        ; implicit-def: $vgpr117_vgpr118
.LBB121_14:
	ds_read_b64 v[117:118], v120
.LBB121_15:
	buffer_load_dword v126, off, s[0:3], 0 offset:448
	buffer_load_dword v127, off, s[0:3], 0 offset:452
	v_mov_b32_e32 v122, 0
	ds_read2_b64 v[122:125], v122 offset0:55 offset1:114
	s_waitcnt vmcnt(0) lgkmcnt(0)
	v_fma_f64 v[124:125], v[126:127], v[124:125], v[117:118]
	v_cndmask_b32_e64 v118, v118, v125, s[4:5]
	v_cndmask_b32_e64 v117, v117, v124, s[4:5]
	v_mul_f64 v[117:118], v[117:118], v[122:123]
	buffer_store_dword v118, off, s[0:3], 0 offset:444
	buffer_store_dword v117, off, s[0:3], 0 offset:440
.LBB121_16:
	s_or_b64 exec, exec, s[8:9]
	buffer_load_dword v117, off, s[0:3], 0 offset:432
	buffer_load_dword v118, off, s[0:3], 0 offset:436
	v_cmp_lt_u32_e64 s[4:5], 54, v0
	s_waitcnt vmcnt(0)
	ds_write_b64 v120, v[117:118]
	s_waitcnt lgkmcnt(0)
	; wave barrier
	s_and_saveexec_b64 s[8:9], s[4:5]
	s_cbranch_execz .LBB121_26
; %bb.17:
	s_andn2_b64 vcc, exec, s[10:11]
	s_cbranch_vccnz .LBB121_19
; %bb.18:
	buffer_load_dword v117, v121, s[0:3], 0 offen
	buffer_load_dword v118, v121, s[0:3], 0 offen offset:4
	ds_read_b64 v[122:123], v120
	s_waitcnt vmcnt(0) lgkmcnt(0)
	v_mul_f64 v[117:118], v[117:118], v[122:123]
	s_cbranch_execz .LBB121_20
	s_branch .LBB121_21
.LBB121_19:
                                        ; implicit-def: $vgpr117_vgpr118
.LBB121_20:
	ds_read_b64 v[117:118], v120
.LBB121_21:
	s_and_saveexec_b64 s[12:13], s[6:7]
	s_cbranch_execz .LBB121_25
; %bb.22:
	v_subrev_u32_e32 v122, 55, v0
	s_movk_i32 s70, 0x388
	s_mov_b64 s[6:7], 0
.LBB121_23:                             ; =>This Inner Loop Header: Depth=1
	v_mov_b32_e32 v124, s69
	buffer_load_dword v123, v124, s[0:3], 0 offen
	s_nop 0
	buffer_load_dword v124, v124, s[0:3], 0 offen offset:4
	v_mov_b32_e32 v125, s70
	ds_read_b64 v[125:126], v125
	v_add_u32_e32 v122, -1, v122
	s_add_i32 s70, s70, 8
	s_add_i32 s69, s69, 8
	v_cmp_eq_u32_e32 vcc, 0, v122
	s_or_b64 s[6:7], vcc, s[6:7]
	s_waitcnt vmcnt(0) lgkmcnt(0)
	v_fma_f64 v[117:118], v[123:124], v[125:126], v[117:118]
	s_andn2_b64 exec, exec, s[6:7]
	s_cbranch_execnz .LBB121_23
; %bb.24:
	s_or_b64 exec, exec, s[6:7]
.LBB121_25:
	s_or_b64 exec, exec, s[12:13]
	v_mov_b32_e32 v122, 0
	ds_read_b64 v[122:123], v122 offset:432
	s_waitcnt lgkmcnt(0)
	v_mul_f64 v[117:118], v[117:118], v[122:123]
	buffer_store_dword v118, off, s[0:3], 0 offset:436
	buffer_store_dword v117, off, s[0:3], 0 offset:432
.LBB121_26:
	s_or_b64 exec, exec, s[8:9]
	buffer_load_dword v117, off, s[0:3], 0 offset:424
	buffer_load_dword v118, off, s[0:3], 0 offset:428
	v_cmp_lt_u32_e64 s[6:7], 53, v0
	s_waitcnt vmcnt(0)
	ds_write_b64 v120, v[117:118]
	s_waitcnt lgkmcnt(0)
	; wave barrier
	s_and_saveexec_b64 s[8:9], s[6:7]
	s_cbranch_execz .LBB121_36
; %bb.27:
	s_andn2_b64 vcc, exec, s[10:11]
	s_cbranch_vccnz .LBB121_29
; %bb.28:
	buffer_load_dword v117, v121, s[0:3], 0 offen
	buffer_load_dword v118, v121, s[0:3], 0 offen offset:4
	ds_read_b64 v[122:123], v120
	s_waitcnt vmcnt(0) lgkmcnt(0)
	v_mul_f64 v[117:118], v[117:118], v[122:123]
	s_cbranch_execz .LBB121_30
	s_branch .LBB121_31
.LBB121_29:
                                        ; implicit-def: $vgpr117_vgpr118
.LBB121_30:
	ds_read_b64 v[117:118], v120
.LBB121_31:
	s_and_saveexec_b64 s[12:13], s[4:5]
	s_cbranch_execz .LBB121_35
; %bb.32:
	v_subrev_u32_e32 v122, 54, v0
	s_movk_i32 s69, 0x380
	s_mov_b64 s[4:5], 0
.LBB121_33:                             ; =>This Inner Loop Header: Depth=1
	v_mov_b32_e32 v124, s68
	buffer_load_dword v123, v124, s[0:3], 0 offen
	s_nop 0
	buffer_load_dword v124, v124, s[0:3], 0 offen offset:4
	v_mov_b32_e32 v125, s69
	ds_read_b64 v[125:126], v125
	v_add_u32_e32 v122, -1, v122
	s_add_i32 s69, s69, 8
	s_add_i32 s68, s68, 8
	v_cmp_eq_u32_e32 vcc, 0, v122
	s_or_b64 s[4:5], vcc, s[4:5]
	s_waitcnt vmcnt(0) lgkmcnt(0)
	v_fma_f64 v[117:118], v[123:124], v[125:126], v[117:118]
	s_andn2_b64 exec, exec, s[4:5]
	s_cbranch_execnz .LBB121_33
; %bb.34:
	s_or_b64 exec, exec, s[4:5]
.LBB121_35:
	s_or_b64 exec, exec, s[12:13]
	v_mov_b32_e32 v122, 0
	ds_read_b64 v[122:123], v122 offset:424
	s_waitcnt lgkmcnt(0)
	v_mul_f64 v[117:118], v[117:118], v[122:123]
	buffer_store_dword v118, off, s[0:3], 0 offset:428
	buffer_store_dword v117, off, s[0:3], 0 offset:424
.LBB121_36:
	;; [unrolled: 59-line block ×8, first 2 shown]
	s_or_b64 exec, exec, s[8:9]
	buffer_load_dword v117, off, s[0:3], 0 offset:368
	buffer_load_dword v118, off, s[0:3], 0 offset:372
	v_cmp_lt_u32_e64 s[4:5], 46, v0
	s_waitcnt vmcnt(0)
	ds_write_b64 v120, v[117:118]
	s_waitcnt lgkmcnt(0)
	; wave barrier
	s_and_saveexec_b64 s[8:9], s[4:5]
	s_cbranch_execz .LBB121_106
; %bb.97:
	s_andn2_b64 vcc, exec, s[10:11]
	s_cbranch_vccnz .LBB121_99
; %bb.98:
	buffer_load_dword v117, v121, s[0:3], 0 offen
	buffer_load_dword v118, v121, s[0:3], 0 offen offset:4
	ds_read_b64 v[122:123], v120
	s_waitcnt vmcnt(0) lgkmcnt(0)
	v_mul_f64 v[117:118], v[117:118], v[122:123]
	s_cbranch_execz .LBB121_100
	s_branch .LBB121_101
.LBB121_99:
                                        ; implicit-def: $vgpr117_vgpr118
.LBB121_100:
	ds_read_b64 v[117:118], v120
.LBB121_101:
	s_and_saveexec_b64 s[12:13], s[6:7]
	s_cbranch_execz .LBB121_105
; %bb.102:
	v_subrev_u32_e32 v122, 47, v0
	s_movk_i32 s62, 0x348
	s_mov_b64 s[6:7], 0
.LBB121_103:                            ; =>This Inner Loop Header: Depth=1
	v_mov_b32_e32 v124, s61
	buffer_load_dword v123, v124, s[0:3], 0 offen
	s_nop 0
	buffer_load_dword v124, v124, s[0:3], 0 offen offset:4
	v_mov_b32_e32 v125, s62
	ds_read_b64 v[125:126], v125
	v_add_u32_e32 v122, -1, v122
	s_add_i32 s62, s62, 8
	s_add_i32 s61, s61, 8
	v_cmp_eq_u32_e32 vcc, 0, v122
	s_or_b64 s[6:7], vcc, s[6:7]
	s_waitcnt vmcnt(0) lgkmcnt(0)
	v_fma_f64 v[117:118], v[123:124], v[125:126], v[117:118]
	s_andn2_b64 exec, exec, s[6:7]
	s_cbranch_execnz .LBB121_103
; %bb.104:
	s_or_b64 exec, exec, s[6:7]
.LBB121_105:
	s_or_b64 exec, exec, s[12:13]
	v_mov_b32_e32 v122, 0
	ds_read_b64 v[122:123], v122 offset:368
	s_waitcnt lgkmcnt(0)
	v_mul_f64 v[117:118], v[117:118], v[122:123]
	buffer_store_dword v118, off, s[0:3], 0 offset:372
	buffer_store_dword v117, off, s[0:3], 0 offset:368
.LBB121_106:
	s_or_b64 exec, exec, s[8:9]
	buffer_load_dword v117, off, s[0:3], 0 offset:360
	buffer_load_dword v118, off, s[0:3], 0 offset:364
	v_cmp_lt_u32_e64 s[6:7], 45, v0
	s_waitcnt vmcnt(0)
	ds_write_b64 v120, v[117:118]
	s_waitcnt lgkmcnt(0)
	; wave barrier
	s_and_saveexec_b64 s[8:9], s[6:7]
	s_cbranch_execz .LBB121_116
; %bb.107:
	s_andn2_b64 vcc, exec, s[10:11]
	s_cbranch_vccnz .LBB121_109
; %bb.108:
	buffer_load_dword v117, v121, s[0:3], 0 offen
	buffer_load_dword v118, v121, s[0:3], 0 offen offset:4
	ds_read_b64 v[122:123], v120
	s_waitcnt vmcnt(0) lgkmcnt(0)
	v_mul_f64 v[117:118], v[117:118], v[122:123]
	s_cbranch_execz .LBB121_110
	s_branch .LBB121_111
.LBB121_109:
                                        ; implicit-def: $vgpr117_vgpr118
.LBB121_110:
	ds_read_b64 v[117:118], v120
.LBB121_111:
	s_and_saveexec_b64 s[12:13], s[4:5]
	s_cbranch_execz .LBB121_115
; %bb.112:
	v_subrev_u32_e32 v122, 46, v0
	s_movk_i32 s61, 0x340
	s_mov_b64 s[4:5], 0
.LBB121_113:                            ; =>This Inner Loop Header: Depth=1
	v_mov_b32_e32 v124, s60
	buffer_load_dword v123, v124, s[0:3], 0 offen
	s_nop 0
	buffer_load_dword v124, v124, s[0:3], 0 offen offset:4
	v_mov_b32_e32 v125, s61
	ds_read_b64 v[125:126], v125
	v_add_u32_e32 v122, -1, v122
	s_add_i32 s61, s61, 8
	s_add_i32 s60, s60, 8
	v_cmp_eq_u32_e32 vcc, 0, v122
	s_or_b64 s[4:5], vcc, s[4:5]
	s_waitcnt vmcnt(0) lgkmcnt(0)
	v_fma_f64 v[117:118], v[123:124], v[125:126], v[117:118]
	s_andn2_b64 exec, exec, s[4:5]
	s_cbranch_execnz .LBB121_113
; %bb.114:
	s_or_b64 exec, exec, s[4:5]
.LBB121_115:
	s_or_b64 exec, exec, s[12:13]
	v_mov_b32_e32 v122, 0
	ds_read_b64 v[122:123], v122 offset:360
	s_waitcnt lgkmcnt(0)
	v_mul_f64 v[117:118], v[117:118], v[122:123]
	buffer_store_dword v118, off, s[0:3], 0 offset:364
	buffer_store_dword v117, off, s[0:3], 0 offset:360
.LBB121_116:
	;; [unrolled: 59-line block ×11, first 2 shown]
	s_or_b64 exec, exec, s[4:5]
	buffer_load_dword v117, off, s[0:3], 0 offset:280
	buffer_load_dword v118, off, s[0:3], 0 offset:284
	v_cmp_lt_u32_e64 s[4:5], 35, v0
	s_waitcnt vmcnt(0)
	ds_write_b64 v120, v[117:118]
	s_waitcnt lgkmcnt(0)
	; wave barrier
	s_and_saveexec_b64 s[6:7], s[4:5]
	s_cbranch_execz .LBB121_216
; %bb.207:
	s_andn2_b64 vcc, exec, s[10:11]
	s_cbranch_vccnz .LBB121_209
; %bb.208:
	buffer_load_dword v117, v121, s[0:3], 0 offen
	buffer_load_dword v118, v121, s[0:3], 0 offen offset:4
	ds_read_b64 v[122:123], v120
	s_waitcnt vmcnt(0) lgkmcnt(0)
	v_mul_f64 v[117:118], v[117:118], v[122:123]
	s_cbranch_execz .LBB121_210
	s_branch .LBB121_211
.LBB121_209:
                                        ; implicit-def: $vgpr117_vgpr118
.LBB121_210:
	ds_read_b64 v[117:118], v120
.LBB121_211:
	s_and_saveexec_b64 s[12:13], s[8:9]
	s_cbranch_execz .LBB121_215
; %bb.212:
	v_subrev_u32_e32 v122, 36, v0
	s_movk_i32 s51, 0x2f0
	s_mov_b64 s[8:9], 0
.LBB121_213:                            ; =>This Inner Loop Header: Depth=1
	v_mov_b32_e32 v125, s50
	buffer_load_dword v123, v125, s[0:3], 0 offen
	buffer_load_dword v124, v125, s[0:3], 0 offen offset:4
	v_mov_b32_e32 v125, s51
	ds_read_b64 v[125:126], v125
	v_add_u32_e32 v122, -1, v122
	s_add_i32 s51, s51, 8
	s_add_i32 s50, s50, 8
	v_cmp_eq_u32_e32 vcc, 0, v122
	s_or_b64 s[8:9], vcc, s[8:9]
	s_waitcnt vmcnt(0) lgkmcnt(0)
	v_fma_f64 v[117:118], v[123:124], v[125:126], v[117:118]
	s_andn2_b64 exec, exec, s[8:9]
	s_cbranch_execnz .LBB121_213
; %bb.214:
	s_or_b64 exec, exec, s[8:9]
.LBB121_215:
	s_or_b64 exec, exec, s[12:13]
	v_mov_b32_e32 v122, 0
	ds_read_b64 v[122:123], v122 offset:280
	s_waitcnt lgkmcnt(0)
	v_mul_f64 v[117:118], v[117:118], v[122:123]
	buffer_store_dword v118, off, s[0:3], 0 offset:284
	buffer_store_dword v117, off, s[0:3], 0 offset:280
.LBB121_216:
	s_or_b64 exec, exec, s[6:7]
	buffer_load_dword v117, off, s[0:3], 0 offset:272
	buffer_load_dword v118, off, s[0:3], 0 offset:276
	v_cmp_lt_u32_e64 s[6:7], 34, v0
	s_waitcnt vmcnt(0)
	ds_write_b64 v120, v[117:118]
	s_waitcnt lgkmcnt(0)
	; wave barrier
	s_and_saveexec_b64 s[8:9], s[6:7]
	s_cbranch_execz .LBB121_226
; %bb.217:
	s_andn2_b64 vcc, exec, s[10:11]
	s_cbranch_vccnz .LBB121_219
; %bb.218:
	buffer_load_dword v117, v121, s[0:3], 0 offen
	buffer_load_dword v118, v121, s[0:3], 0 offen offset:4
	ds_read_b64 v[122:123], v120
	s_waitcnt vmcnt(0) lgkmcnt(0)
	v_mul_f64 v[117:118], v[117:118], v[122:123]
	s_cbranch_execz .LBB121_220
	s_branch .LBB121_221
.LBB121_219:
                                        ; implicit-def: $vgpr117_vgpr118
.LBB121_220:
	ds_read_b64 v[117:118], v120
.LBB121_221:
	s_and_saveexec_b64 s[12:13], s[4:5]
	s_cbranch_execz .LBB121_225
; %bb.222:
	v_subrev_u32_e32 v122, 35, v0
	s_movk_i32 s50, 0x2e8
	s_mov_b64 s[4:5], 0
.LBB121_223:                            ; =>This Inner Loop Header: Depth=1
	v_mov_b32_e32 v125, s49
	buffer_load_dword v123, v125, s[0:3], 0 offen
	buffer_load_dword v124, v125, s[0:3], 0 offen offset:4
	v_mov_b32_e32 v125, s50
	ds_read_b64 v[125:126], v125
	v_add_u32_e32 v122, -1, v122
	s_add_i32 s50, s50, 8
	s_add_i32 s49, s49, 8
	v_cmp_eq_u32_e32 vcc, 0, v122
	s_or_b64 s[4:5], vcc, s[4:5]
	s_waitcnt vmcnt(0) lgkmcnt(0)
	v_fma_f64 v[117:118], v[123:124], v[125:126], v[117:118]
	s_andn2_b64 exec, exec, s[4:5]
	s_cbranch_execnz .LBB121_223
; %bb.224:
	s_or_b64 exec, exec, s[4:5]
.LBB121_225:
	s_or_b64 exec, exec, s[12:13]
	v_mov_b32_e32 v122, 0
	ds_read_b64 v[122:123], v122 offset:272
	s_waitcnt lgkmcnt(0)
	v_mul_f64 v[117:118], v[117:118], v[122:123]
	buffer_store_dword v118, off, s[0:3], 0 offset:276
	buffer_store_dword v117, off, s[0:3], 0 offset:272
.LBB121_226:
	;; [unrolled: 58-line block ×20, first 2 shown]
	s_or_b64 exec, exec, s[8:9]
	buffer_load_dword v117, off, s[0:3], 0 offset:120
	buffer_load_dword v118, off, s[0:3], 0 offset:124
	v_cmp_lt_u32_e64 s[4:5], 15, v0
	s_waitcnt vmcnt(0)
	ds_write_b64 v120, v[117:118]
	s_waitcnt lgkmcnt(0)
	; wave barrier
	s_and_saveexec_b64 s[8:9], s[4:5]
	s_cbranch_execz .LBB121_416
; %bb.407:
	s_andn2_b64 vcc, exec, s[10:11]
	s_cbranch_vccnz .LBB121_409
; %bb.408:
	buffer_load_dword v117, v121, s[0:3], 0 offen
	buffer_load_dword v118, v121, s[0:3], 0 offen offset:4
	ds_read_b64 v[122:123], v120
	s_waitcnt vmcnt(0) lgkmcnt(0)
	v_mul_f64 v[117:118], v[117:118], v[122:123]
	s_cbranch_execz .LBB121_410
	s_branch .LBB121_411
.LBB121_409:
                                        ; implicit-def: $vgpr117_vgpr118
.LBB121_410:
	ds_read_b64 v[117:118], v120
.LBB121_411:
	s_and_saveexec_b64 s[12:13], s[6:7]
	s_cbranch_execz .LBB121_415
; %bb.412:
	v_add_u32_e32 v122, -16, v0
	s_movk_i32 s30, 0x250
	s_mov_b64 s[6:7], 0
.LBB121_413:                            ; =>This Inner Loop Header: Depth=1
	v_mov_b32_e32 v125, s29
	buffer_load_dword v123, v125, s[0:3], 0 offen
	buffer_load_dword v124, v125, s[0:3], 0 offen offset:4
	v_mov_b32_e32 v125, s30
	ds_read_b64 v[125:126], v125
	v_add_u32_e32 v122, -1, v122
	s_add_i32 s30, s30, 8
	s_add_i32 s29, s29, 8
	v_cmp_eq_u32_e32 vcc, 0, v122
	s_or_b64 s[6:7], vcc, s[6:7]
	s_waitcnt vmcnt(0) lgkmcnt(0)
	v_fma_f64 v[117:118], v[123:124], v[125:126], v[117:118]
	s_andn2_b64 exec, exec, s[6:7]
	s_cbranch_execnz .LBB121_413
; %bb.414:
	s_or_b64 exec, exec, s[6:7]
.LBB121_415:
	s_or_b64 exec, exec, s[12:13]
	v_mov_b32_e32 v122, 0
	ds_read_b64 v[122:123], v122 offset:120
	s_waitcnt lgkmcnt(0)
	v_mul_f64 v[117:118], v[117:118], v[122:123]
	buffer_store_dword v118, off, s[0:3], 0 offset:124
	buffer_store_dword v117, off, s[0:3], 0 offset:120
.LBB121_416:
	s_or_b64 exec, exec, s[8:9]
	buffer_load_dword v117, off, s[0:3], 0 offset:112
	buffer_load_dword v118, off, s[0:3], 0 offset:116
	v_cmp_lt_u32_e64 s[6:7], 14, v0
	s_waitcnt vmcnt(0)
	ds_write_b64 v120, v[117:118]
	s_waitcnt lgkmcnt(0)
	; wave barrier
	s_and_saveexec_b64 s[8:9], s[6:7]
	s_cbranch_execz .LBB121_426
; %bb.417:
	s_andn2_b64 vcc, exec, s[10:11]
	s_cbranch_vccnz .LBB121_419
; %bb.418:
	buffer_load_dword v117, v121, s[0:3], 0 offen
	buffer_load_dword v118, v121, s[0:3], 0 offen offset:4
	ds_read_b64 v[122:123], v120
	s_waitcnt vmcnt(0) lgkmcnt(0)
	v_mul_f64 v[117:118], v[117:118], v[122:123]
	s_cbranch_execz .LBB121_420
	s_branch .LBB121_421
.LBB121_419:
                                        ; implicit-def: $vgpr117_vgpr118
.LBB121_420:
	ds_read_b64 v[117:118], v120
.LBB121_421:
	s_and_saveexec_b64 s[12:13], s[4:5]
	s_cbranch_execz .LBB121_425
; %bb.422:
	v_add_u32_e32 v122, -15, v0
	s_movk_i32 s29, 0x248
	s_mov_b64 s[4:5], 0
.LBB121_423:                            ; =>This Inner Loop Header: Depth=1
	v_mov_b32_e32 v125, s28
	buffer_load_dword v123, v125, s[0:3], 0 offen
	buffer_load_dword v124, v125, s[0:3], 0 offen offset:4
	v_mov_b32_e32 v125, s29
	ds_read_b64 v[125:126], v125
	v_add_u32_e32 v122, -1, v122
	s_add_i32 s29, s29, 8
	s_add_i32 s28, s28, 8
	v_cmp_eq_u32_e32 vcc, 0, v122
	s_or_b64 s[4:5], vcc, s[4:5]
	s_waitcnt vmcnt(0) lgkmcnt(0)
	v_fma_f64 v[117:118], v[123:124], v[125:126], v[117:118]
	s_andn2_b64 exec, exec, s[4:5]
	s_cbranch_execnz .LBB121_423
; %bb.424:
	s_or_b64 exec, exec, s[4:5]
.LBB121_425:
	s_or_b64 exec, exec, s[12:13]
	v_mov_b32_e32 v122, 0
	ds_read_b64 v[122:123], v122 offset:112
	s_waitcnt lgkmcnt(0)
	v_mul_f64 v[117:118], v[117:118], v[122:123]
	buffer_store_dword v118, off, s[0:3], 0 offset:116
	buffer_store_dword v117, off, s[0:3], 0 offset:112
.LBB121_426:
	;; [unrolled: 58-line block ×15, first 2 shown]
	s_or_b64 exec, exec, s[8:9]
	buffer_load_dword v117, off, s[0:3], 0
	buffer_load_dword v118, off, s[0:3], 0 offset:4
	v_cmp_ne_u32_e32 vcc, 0, v0
	s_waitcnt vmcnt(0)
	ds_write_b64 v120, v[117:118]
	s_waitcnt lgkmcnt(0)
	; wave barrier
	s_and_saveexec_b64 s[6:7], vcc
	s_cbranch_execz .LBB121_566
; %bb.557:
	s_andn2_b64 vcc, exec, s[10:11]
	s_cbranch_vccnz .LBB121_559
; %bb.558:
	buffer_load_dword v117, v121, s[0:3], 0 offen
	buffer_load_dword v118, v121, s[0:3], 0 offen offset:4
	ds_read_b64 v[122:123], v120
	s_waitcnt vmcnt(0) lgkmcnt(0)
	v_mul_f64 v[117:118], v[117:118], v[122:123]
	s_cbranch_execz .LBB121_560
	s_branch .LBB121_561
.LBB121_559:
                                        ; implicit-def: $vgpr117_vgpr118
.LBB121_560:
	ds_read_b64 v[117:118], v120
.LBB121_561:
	s_and_saveexec_b64 s[8:9], s[4:5]
	s_cbranch_execz .LBB121_565
; %bb.562:
	v_add_u32_e32 v122, -1, v0
	s_movk_i32 s12, 0x1d8
	s_mov_b64 s[4:5], 0
.LBB121_563:                            ; =>This Inner Loop Header: Depth=1
	v_mov_b32_e32 v125, s14
	buffer_load_dword v123, v125, s[0:3], 0 offen
	buffer_load_dword v124, v125, s[0:3], 0 offen offset:4
	v_mov_b32_e32 v125, s12
	ds_read_b64 v[125:126], v125
	v_add_u32_e32 v122, -1, v122
	s_add_i32 s12, s12, 8
	s_add_i32 s14, s14, 8
	v_cmp_eq_u32_e32 vcc, 0, v122
	s_or_b64 s[4:5], vcc, s[4:5]
	s_waitcnt vmcnt(0) lgkmcnt(0)
	v_fma_f64 v[117:118], v[123:124], v[125:126], v[117:118]
	s_andn2_b64 exec, exec, s[4:5]
	s_cbranch_execnz .LBB121_563
; %bb.564:
	s_or_b64 exec, exec, s[4:5]
.LBB121_565:
	s_or_b64 exec, exec, s[8:9]
	v_mov_b32_e32 v122, 0
	ds_read_b64 v[122:123], v122
	s_waitcnt lgkmcnt(0)
	v_mul_f64 v[117:118], v[117:118], v[122:123]
	buffer_store_dword v118, off, s[0:3], 0 offset:4
	buffer_store_dword v117, off, s[0:3], 0
.LBB121_566:
	s_or_b64 exec, exec, s[6:7]
	s_mov_b64 s[4:5], 0
.LBB121_567:
	s_and_b64 vcc, exec, s[4:5]
	s_cbranch_vccz .LBB121_1129
; %bb.568:
	buffer_load_dword v117, off, s[0:3], 0 offset:8
	buffer_load_dword v118, off, s[0:3], 0 offset:12
	v_cmp_eq_u32_e64 s[6:7], 0, v0
	s_waitcnt vmcnt(0)
	ds_write_b64 v120, v[117:118]
	s_waitcnt lgkmcnt(0)
	; wave barrier
	s_and_saveexec_b64 s[4:5], s[6:7]
	s_cbranch_execz .LBB121_574
; %bb.569:
	s_and_b64 vcc, exec, s[10:11]
	s_cbranch_vccz .LBB121_571
; %bb.570:
	buffer_load_dword v117, v121, s[0:3], 0 offen
	buffer_load_dword v118, v121, s[0:3], 0 offen offset:4
	ds_read_b64 v[122:123], v120
	s_waitcnt vmcnt(0) lgkmcnt(0)
	v_mul_f64 v[117:118], v[117:118], v[122:123]
	s_cbranch_execz .LBB121_572
	s_branch .LBB121_573
.LBB121_571:
                                        ; implicit-def: $vgpr117_vgpr118
.LBB121_572:
	ds_read_b64 v[117:118], v120
.LBB121_573:
	v_mov_b32_e32 v122, 0
	ds_read_b64 v[122:123], v122 offset:8
	s_waitcnt lgkmcnt(0)
	v_mul_f64 v[117:118], v[117:118], v[122:123]
	buffer_store_dword v118, off, s[0:3], 0 offset:12
	buffer_store_dword v117, off, s[0:3], 0 offset:8
.LBB121_574:
	s_or_b64 exec, exec, s[4:5]
	buffer_load_dword v117, off, s[0:3], 0 offset:16
	buffer_load_dword v118, off, s[0:3], 0 offset:20
	v_cndmask_b32_e64 v122, 0, 1, s[10:11]
	v_cmp_gt_u32_e32 vcc, 2, v0
	v_cmp_ne_u32_e64 s[4:5], 1, v122
	s_waitcnt vmcnt(0)
	ds_write_b64 v120, v[117:118]
	s_waitcnt lgkmcnt(0)
	; wave barrier
	s_and_saveexec_b64 s[8:9], vcc
	s_cbranch_execz .LBB121_580
; %bb.575:
	s_and_b64 vcc, exec, s[4:5]
	s_cbranch_vccnz .LBB121_577
; %bb.576:
	buffer_load_dword v117, v121, s[0:3], 0 offen
	buffer_load_dword v118, v121, s[0:3], 0 offen offset:4
	ds_read_b64 v[122:123], v120
	s_waitcnt vmcnt(0) lgkmcnt(0)
	v_mul_f64 v[117:118], v[117:118], v[122:123]
	s_cbranch_execz .LBB121_578
	s_branch .LBB121_579
.LBB121_577:
                                        ; implicit-def: $vgpr117_vgpr118
.LBB121_578:
	ds_read_b64 v[117:118], v120
.LBB121_579:
	buffer_load_dword v126, off, s[0:3], 0 offset:8
	buffer_load_dword v127, off, s[0:3], 0 offset:12
	v_mov_b32_e32 v122, 0
	ds_read2_b64 v[122:125], v122 offset0:2 offset1:59
	s_waitcnt vmcnt(0) lgkmcnt(0)
	v_fma_f64 v[124:125], v[126:127], v[124:125], v[117:118]
	v_cndmask_b32_e64 v118, v118, v125, s[6:7]
	v_cndmask_b32_e64 v117, v117, v124, s[6:7]
	v_mul_f64 v[117:118], v[117:118], v[122:123]
	buffer_store_dword v118, off, s[0:3], 0 offset:20
	buffer_store_dword v117, off, s[0:3], 0 offset:16
.LBB121_580:
	s_or_b64 exec, exec, s[8:9]
	buffer_load_dword v117, off, s[0:3], 0 offset:24
	buffer_load_dword v118, off, s[0:3], 0 offset:28
	v_cmp_gt_u32_e32 vcc, 3, v0
	s_waitcnt vmcnt(0)
	ds_write_b64 v120, v[117:118]
	s_waitcnt lgkmcnt(0)
	; wave barrier
	s_and_saveexec_b64 s[8:9], vcc
	s_cbranch_execz .LBB121_588
; %bb.581:
	s_and_b64 vcc, exec, s[4:5]
	s_cbranch_vccnz .LBB121_583
; %bb.582:
	buffer_load_dword v117, v121, s[0:3], 0 offen
	buffer_load_dword v118, v121, s[0:3], 0 offen offset:4
	ds_read_b64 v[122:123], v120
	s_waitcnt vmcnt(0) lgkmcnt(0)
	v_mul_f64 v[117:118], v[117:118], v[122:123]
	s_cbranch_execz .LBB121_584
	s_branch .LBB121_585
.LBB121_583:
                                        ; implicit-def: $vgpr117_vgpr118
.LBB121_584:
	ds_read_b64 v[117:118], v120
.LBB121_585:
	v_cmp_ne_u32_e32 vcc, 2, v0
	s_and_saveexec_b64 s[10:11], vcc
	s_cbranch_execz .LBB121_587
; %bb.586:
	buffer_load_dword v122, v121, s[0:3], 0 offen offset:8
	buffer_load_dword v123, v121, s[0:3], 0 offen offset:12
	buffer_load_dword v124, off, s[0:3], 0 offset:16
	buffer_load_dword v125, off, s[0:3], 0 offset:20
	ds_read_b64 v[126:127], v120 offset:8
	v_mov_b32_e32 v128, 0
	ds_read_b64 v[128:129], v128 offset:480
	s_waitcnt vmcnt(2) lgkmcnt(1)
	v_fma_f64 v[117:118], v[122:123], v[126:127], v[117:118]
	s_waitcnt vmcnt(0) lgkmcnt(0)
	v_fma_f64 v[122:123], v[124:125], v[128:129], v[117:118]
	v_cndmask_b32_e64 v118, v118, v123, s[6:7]
	v_cndmask_b32_e64 v117, v117, v122, s[6:7]
.LBB121_587:
	s_or_b64 exec, exec, s[10:11]
	v_mov_b32_e32 v122, 0
	ds_read_b64 v[122:123], v122 offset:24
	s_waitcnt lgkmcnt(0)
	v_mul_f64 v[117:118], v[117:118], v[122:123]
	buffer_store_dword v118, off, s[0:3], 0 offset:28
	buffer_store_dword v117, off, s[0:3], 0 offset:24
.LBB121_588:
	s_or_b64 exec, exec, s[8:9]
	buffer_load_dword v117, off, s[0:3], 0 offset:32
	buffer_load_dword v118, off, s[0:3], 0 offset:36
	v_cmp_gt_u32_e32 vcc, 4, v0
	s_waitcnt vmcnt(0)
	ds_write_b64 v120, v[117:118]
	s_waitcnt lgkmcnt(0)
	; wave barrier
	s_and_saveexec_b64 s[6:7], vcc
	s_cbranch_execz .LBB121_598
; %bb.589:
	s_and_b64 vcc, exec, s[4:5]
	s_cbranch_vccnz .LBB121_591
; %bb.590:
	buffer_load_dword v117, v121, s[0:3], 0 offen
	buffer_load_dword v118, v121, s[0:3], 0 offen offset:4
	ds_read_b64 v[122:123], v120
	s_waitcnt vmcnt(0) lgkmcnt(0)
	v_mul_f64 v[117:118], v[117:118], v[122:123]
	s_cbranch_execz .LBB121_592
	s_branch .LBB121_593
.LBB121_591:
                                        ; implicit-def: $vgpr117_vgpr118
.LBB121_592:
	ds_read_b64 v[117:118], v120
.LBB121_593:
	v_cmp_ne_u32_e32 vcc, 3, v0
	s_and_saveexec_b64 s[8:9], vcc
	s_cbranch_execz .LBB121_597
; %bb.594:
	s_mov_b32 s10, 0
	v_add_u32_e32 v122, 0x1d8, v119
	v_add3_u32 v123, v119, s10, 8
	s_mov_b64 s[10:11], 0
	v_mov_b32_e32 v124, v0
.LBB121_595:                            ; =>This Inner Loop Header: Depth=1
	buffer_load_dword v125, v123, s[0:3], 0 offen
	buffer_load_dword v126, v123, s[0:3], 0 offen offset:4
	ds_read_b64 v[127:128], v122
	v_add_u32_e32 v124, 1, v124
	v_cmp_lt_u32_e32 vcc, 2, v124
	v_add_u32_e32 v122, 8, v122
	s_or_b64 s[10:11], vcc, s[10:11]
	v_add_u32_e32 v123, 8, v123
	s_waitcnt vmcnt(0) lgkmcnt(0)
	v_fma_f64 v[117:118], v[125:126], v[127:128], v[117:118]
	s_andn2_b64 exec, exec, s[10:11]
	s_cbranch_execnz .LBB121_595
; %bb.596:
	s_or_b64 exec, exec, s[10:11]
.LBB121_597:
	s_or_b64 exec, exec, s[8:9]
	v_mov_b32_e32 v122, 0
	ds_read_b64 v[122:123], v122 offset:32
	s_waitcnt lgkmcnt(0)
	v_mul_f64 v[117:118], v[117:118], v[122:123]
	buffer_store_dword v118, off, s[0:3], 0 offset:36
	buffer_store_dword v117, off, s[0:3], 0 offset:32
.LBB121_598:
	s_or_b64 exec, exec, s[6:7]
	buffer_load_dword v117, off, s[0:3], 0 offset:40
	buffer_load_dword v118, off, s[0:3], 0 offset:44
	v_cmp_gt_u32_e32 vcc, 5, v0
	s_waitcnt vmcnt(0)
	ds_write_b64 v120, v[117:118]
	s_waitcnt lgkmcnt(0)
	; wave barrier
	s_and_saveexec_b64 s[6:7], vcc
	s_cbranch_execz .LBB121_608
; %bb.599:
	s_and_b64 vcc, exec, s[4:5]
	s_cbranch_vccnz .LBB121_601
; %bb.600:
	buffer_load_dword v117, v121, s[0:3], 0 offen
	buffer_load_dword v118, v121, s[0:3], 0 offen offset:4
	ds_read_b64 v[122:123], v120
	s_waitcnt vmcnt(0) lgkmcnt(0)
	v_mul_f64 v[117:118], v[117:118], v[122:123]
	s_cbranch_execz .LBB121_602
	s_branch .LBB121_603
.LBB121_601:
                                        ; implicit-def: $vgpr117_vgpr118
.LBB121_602:
	ds_read_b64 v[117:118], v120
.LBB121_603:
	v_cmp_ne_u32_e32 vcc, 4, v0
	s_and_saveexec_b64 s[8:9], vcc
	s_cbranch_execz .LBB121_607
; %bb.604:
	s_mov_b32 s10, 0
	v_add_u32_e32 v122, 0x1d8, v119
	v_add3_u32 v123, v119, s10, 8
	s_mov_b64 s[10:11], 0
	v_mov_b32_e32 v124, v0
.LBB121_605:                            ; =>This Inner Loop Header: Depth=1
	buffer_load_dword v125, v123, s[0:3], 0 offen
	buffer_load_dword v126, v123, s[0:3], 0 offen offset:4
	ds_read_b64 v[127:128], v122
	v_add_u32_e32 v124, 1, v124
	v_cmp_lt_u32_e32 vcc, 3, v124
	v_add_u32_e32 v122, 8, v122
	s_or_b64 s[10:11], vcc, s[10:11]
	v_add_u32_e32 v123, 8, v123
	s_waitcnt vmcnt(0) lgkmcnt(0)
	v_fma_f64 v[117:118], v[125:126], v[127:128], v[117:118]
	s_andn2_b64 exec, exec, s[10:11]
	s_cbranch_execnz .LBB121_605
; %bb.606:
	s_or_b64 exec, exec, s[10:11]
.LBB121_607:
	s_or_b64 exec, exec, s[8:9]
	v_mov_b32_e32 v122, 0
	ds_read_b64 v[122:123], v122 offset:40
	s_waitcnt lgkmcnt(0)
	v_mul_f64 v[117:118], v[117:118], v[122:123]
	buffer_store_dword v118, off, s[0:3], 0 offset:44
	buffer_store_dword v117, off, s[0:3], 0 offset:40
.LBB121_608:
	;; [unrolled: 59-line block ×41, first 2 shown]
	s_or_b64 exec, exec, s[6:7]
	buffer_load_dword v117, off, s[0:3], 0 offset:360
	buffer_load_dword v118, off, s[0:3], 0 offset:364
	v_cmp_gt_u32_e32 vcc, 45, v0
	s_waitcnt vmcnt(0)
	ds_write_b64 v120, v[117:118]
	s_waitcnt lgkmcnt(0)
	; wave barrier
	s_and_saveexec_b64 s[6:7], vcc
	s_cbranch_execz .LBB121_1008
; %bb.999:
	s_and_b64 vcc, exec, s[4:5]
	s_cbranch_vccnz .LBB121_1001
; %bb.1000:
	buffer_load_dword v117, v121, s[0:3], 0 offen
	buffer_load_dword v118, v121, s[0:3], 0 offen offset:4
	ds_read_b64 v[122:123], v120
	s_waitcnt vmcnt(0) lgkmcnt(0)
	v_mul_f64 v[117:118], v[117:118], v[122:123]
	s_cbranch_execz .LBB121_1002
	s_branch .LBB121_1003
.LBB121_1001:
                                        ; implicit-def: $vgpr117_vgpr118
.LBB121_1002:
	ds_read_b64 v[117:118], v120
.LBB121_1003:
	v_cmp_ne_u32_e32 vcc, 44, v0
	s_and_saveexec_b64 s[8:9], vcc
	s_cbranch_execz .LBB121_1007
; %bb.1004:
	s_mov_b32 s10, 0
	v_add_u32_e32 v122, 0x1d8, v119
	v_add3_u32 v123, v119, s10, 8
	s_mov_b64 s[10:11], 0
	v_mov_b32_e32 v124, v0
.LBB121_1005:                           ; =>This Inner Loop Header: Depth=1
	buffer_load_dword v125, v123, s[0:3], 0 offen
	buffer_load_dword v126, v123, s[0:3], 0 offen offset:4
	ds_read_b64 v[127:128], v122
	v_add_u32_e32 v124, 1, v124
	v_cmp_lt_u32_e32 vcc, 43, v124
	v_add_u32_e32 v122, 8, v122
	s_or_b64 s[10:11], vcc, s[10:11]
	v_add_u32_e32 v123, 8, v123
	s_waitcnt vmcnt(0) lgkmcnt(0)
	v_fma_f64 v[117:118], v[125:126], v[127:128], v[117:118]
	s_andn2_b64 exec, exec, s[10:11]
	s_cbranch_execnz .LBB121_1005
; %bb.1006:
	s_or_b64 exec, exec, s[10:11]
.LBB121_1007:
	s_or_b64 exec, exec, s[8:9]
	v_mov_b32_e32 v122, 0
	ds_read_b64 v[122:123], v122 offset:360
	s_waitcnt lgkmcnt(0)
	v_mul_f64 v[117:118], v[117:118], v[122:123]
	buffer_store_dword v118, off, s[0:3], 0 offset:364
	buffer_store_dword v117, off, s[0:3], 0 offset:360
.LBB121_1008:
	s_or_b64 exec, exec, s[6:7]
	buffer_load_dword v117, off, s[0:3], 0 offset:368
	buffer_load_dword v118, off, s[0:3], 0 offset:372
	v_cmp_gt_u32_e32 vcc, 46, v0
	s_waitcnt vmcnt(0)
	ds_write_b64 v120, v[117:118]
	s_waitcnt lgkmcnt(0)
	; wave barrier
	s_and_saveexec_b64 s[6:7], vcc
	s_cbranch_execz .LBB121_1018
; %bb.1009:
	s_and_b64 vcc, exec, s[4:5]
	s_cbranch_vccnz .LBB121_1011
; %bb.1010:
	buffer_load_dword v117, v121, s[0:3], 0 offen
	buffer_load_dword v118, v121, s[0:3], 0 offen offset:4
	ds_read_b64 v[122:123], v120
	s_waitcnt vmcnt(0) lgkmcnt(0)
	v_mul_f64 v[117:118], v[117:118], v[122:123]
	s_cbranch_execz .LBB121_1012
	s_branch .LBB121_1013
.LBB121_1011:
                                        ; implicit-def: $vgpr117_vgpr118
.LBB121_1012:
	ds_read_b64 v[117:118], v120
.LBB121_1013:
	v_cmp_ne_u32_e32 vcc, 45, v0
	s_and_saveexec_b64 s[8:9], vcc
	s_cbranch_execz .LBB121_1017
; %bb.1014:
	s_mov_b32 s10, 0
	v_add_u32_e32 v122, 0x1d8, v119
	v_add3_u32 v123, v119, s10, 8
	s_mov_b64 s[10:11], 0
	v_mov_b32_e32 v124, v0
.LBB121_1015:                           ; =>This Inner Loop Header: Depth=1
	buffer_load_dword v125, v123, s[0:3], 0 offen
	buffer_load_dword v126, v123, s[0:3], 0 offen offset:4
	ds_read_b64 v[127:128], v122
	v_add_u32_e32 v124, 1, v124
	v_cmp_lt_u32_e32 vcc, 44, v124
	v_add_u32_e32 v122, 8, v122
	s_or_b64 s[10:11], vcc, s[10:11]
	v_add_u32_e32 v123, 8, v123
	s_waitcnt vmcnt(0) lgkmcnt(0)
	v_fma_f64 v[117:118], v[125:126], v[127:128], v[117:118]
	s_andn2_b64 exec, exec, s[10:11]
	s_cbranch_execnz .LBB121_1015
; %bb.1016:
	s_or_b64 exec, exec, s[10:11]
.LBB121_1017:
	s_or_b64 exec, exec, s[8:9]
	v_mov_b32_e32 v122, 0
	ds_read_b64 v[122:123], v122 offset:368
	s_waitcnt lgkmcnt(0)
	v_mul_f64 v[117:118], v[117:118], v[122:123]
	buffer_store_dword v118, off, s[0:3], 0 offset:372
	buffer_store_dword v117, off, s[0:3], 0 offset:368
.LBB121_1018:
	;; [unrolled: 59-line block ×11, first 2 shown]
	s_or_b64 exec, exec, s[6:7]
	buffer_load_dword v117, off, s[0:3], 0 offset:448
	buffer_load_dword v118, off, s[0:3], 0 offset:452
	v_cmp_gt_u32_e64 s[6:7], 56, v0
	s_waitcnt vmcnt(0)
	ds_write_b64 v120, v[117:118]
	s_waitcnt lgkmcnt(0)
	; wave barrier
	s_and_saveexec_b64 s[8:9], s[6:7]
	s_cbranch_execz .LBB121_1118
; %bb.1109:
	s_and_b64 vcc, exec, s[4:5]
	s_cbranch_vccnz .LBB121_1111
; %bb.1110:
	buffer_load_dword v117, v121, s[0:3], 0 offen
	buffer_load_dword v118, v121, s[0:3], 0 offen offset:4
	ds_read_b64 v[122:123], v120
	s_waitcnt vmcnt(0) lgkmcnt(0)
	v_mul_f64 v[117:118], v[117:118], v[122:123]
	s_cbranch_execz .LBB121_1112
	s_branch .LBB121_1113
.LBB121_1111:
                                        ; implicit-def: $vgpr117_vgpr118
.LBB121_1112:
	ds_read_b64 v[117:118], v120
.LBB121_1113:
	v_cmp_ne_u32_e32 vcc, 55, v0
	s_and_saveexec_b64 s[10:11], vcc
	s_cbranch_execz .LBB121_1117
; %bb.1114:
	s_mov_b32 s12, 0
	v_add_u32_e32 v122, 0x1d8, v119
	v_add3_u32 v123, v119, s12, 8
	s_mov_b64 s[12:13], 0
	v_mov_b32_e32 v124, v0
.LBB121_1115:                           ; =>This Inner Loop Header: Depth=1
	buffer_load_dword v125, v123, s[0:3], 0 offen
	buffer_load_dword v126, v123, s[0:3], 0 offen offset:4
	ds_read_b64 v[127:128], v122
	v_add_u32_e32 v124, 1, v124
	v_cmp_lt_u32_e32 vcc, 54, v124
	v_add_u32_e32 v122, 8, v122
	s_or_b64 s[12:13], vcc, s[12:13]
	v_add_u32_e32 v123, 8, v123
	s_waitcnt vmcnt(0) lgkmcnt(0)
	v_fma_f64 v[117:118], v[125:126], v[127:128], v[117:118]
	s_andn2_b64 exec, exec, s[12:13]
	s_cbranch_execnz .LBB121_1115
; %bb.1116:
	s_or_b64 exec, exec, s[12:13]
.LBB121_1117:
	s_or_b64 exec, exec, s[10:11]
	v_mov_b32_e32 v122, 0
	ds_read_b64 v[122:123], v122 offset:448
	s_waitcnt lgkmcnt(0)
	v_mul_f64 v[117:118], v[117:118], v[122:123]
	buffer_store_dword v118, off, s[0:3], 0 offset:452
	buffer_store_dword v117, off, s[0:3], 0 offset:448
.LBB121_1118:
	s_or_b64 exec, exec, s[8:9]
	buffer_load_dword v117, off, s[0:3], 0 offset:456
	buffer_load_dword v118, off, s[0:3], 0 offset:460
	v_cmp_ne_u32_e32 vcc, 57, v0
	s_waitcnt vmcnt(0)
	ds_write_b64 v120, v[117:118]
	s_waitcnt lgkmcnt(0)
	; wave barrier
	s_and_saveexec_b64 s[8:9], vcc
	s_cbranch_execz .LBB121_1128
; %bb.1119:
	s_and_b64 vcc, exec, s[4:5]
	s_cbranch_vccnz .LBB121_1121
; %bb.1120:
	buffer_load_dword v117, v121, s[0:3], 0 offen
	buffer_load_dword v118, v121, s[0:3], 0 offen offset:4
	ds_read_b64 v[121:122], v120
	s_waitcnt vmcnt(0) lgkmcnt(0)
	v_mul_f64 v[117:118], v[117:118], v[121:122]
	s_cbranch_execz .LBB121_1122
	s_branch .LBB121_1123
.LBB121_1121:
                                        ; implicit-def: $vgpr117_vgpr118
.LBB121_1122:
	ds_read_b64 v[117:118], v120
.LBB121_1123:
	s_and_saveexec_b64 s[4:5], s[6:7]
	s_cbranch_execz .LBB121_1127
; %bb.1124:
	s_mov_b32 s6, 0
	v_add_u32_e32 v120, 0x1d8, v119
	v_add3_u32 v119, v119, s6, 8
	s_mov_b64 s[6:7], 0
.LBB121_1125:                           ; =>This Inner Loop Header: Depth=1
	buffer_load_dword v121, v119, s[0:3], 0 offen
	buffer_load_dword v122, v119, s[0:3], 0 offen offset:4
	ds_read_b64 v[123:124], v120
	v_add_u32_e32 v0, 1, v0
	v_cmp_lt_u32_e32 vcc, 55, v0
	v_add_u32_e32 v120, 8, v120
	s_or_b64 s[6:7], vcc, s[6:7]
	v_add_u32_e32 v119, 8, v119
	s_waitcnt vmcnt(0) lgkmcnt(0)
	v_fma_f64 v[117:118], v[121:122], v[123:124], v[117:118]
	s_andn2_b64 exec, exec, s[6:7]
	s_cbranch_execnz .LBB121_1125
; %bb.1126:
	s_or_b64 exec, exec, s[6:7]
.LBB121_1127:
	s_or_b64 exec, exec, s[4:5]
	v_mov_b32_e32 v0, 0
	ds_read_b64 v[119:120], v0 offset:456
	s_waitcnt lgkmcnt(0)
	v_mul_f64 v[117:118], v[117:118], v[119:120]
	buffer_store_dword v118, off, s[0:3], 0 offset:460
	buffer_store_dword v117, off, s[0:3], 0 offset:456
.LBB121_1128:
	s_or_b64 exec, exec, s[8:9]
.LBB121_1129:
	buffer_load_dword v117, off, s[0:3], 0
	buffer_load_dword v118, off, s[0:3], 0 offset:4
	s_waitcnt vmcnt(0)
	flat_store_dwordx2 v[1:2], v[117:118]
	buffer_load_dword v0, off, s[0:3], 0 offset:8
	s_nop 0
	buffer_load_dword v1, off, s[0:3], 0 offset:12
	s_waitcnt vmcnt(0)
	flat_store_dwordx2 v[3:4], v[0:1]
	buffer_load_dword v0, off, s[0:3], 0 offset:16
	s_nop 0
	buffer_load_dword v1, off, s[0:3], 0 offset:20
	s_waitcnt vmcnt(0)
	flat_store_dwordx2 v[5:6], v[0:1]
	buffer_load_dword v0, off, s[0:3], 0 offset:24
	s_nop 0
	buffer_load_dword v1, off, s[0:3], 0 offset:28
	s_waitcnt vmcnt(0)
	flat_store_dwordx2 v[7:8], v[0:1]
	buffer_load_dword v0, off, s[0:3], 0 offset:32
	s_nop 0
	buffer_load_dword v1, off, s[0:3], 0 offset:36
	s_waitcnt vmcnt(0)
	flat_store_dwordx2 v[9:10], v[0:1]
	buffer_load_dword v0, off, s[0:3], 0 offset:40
	s_nop 0
	buffer_load_dword v1, off, s[0:3], 0 offset:44
	s_waitcnt vmcnt(0)
	flat_store_dwordx2 v[11:12], v[0:1]
	buffer_load_dword v0, off, s[0:3], 0 offset:48
	s_nop 0
	buffer_load_dword v1, off, s[0:3], 0 offset:52
	s_waitcnt vmcnt(0)
	flat_store_dwordx2 v[13:14], v[0:1]
	buffer_load_dword v0, off, s[0:3], 0 offset:56
	s_nop 0
	buffer_load_dword v1, off, s[0:3], 0 offset:60
	s_waitcnt vmcnt(0)
	flat_store_dwordx2 v[15:16], v[0:1]
	buffer_load_dword v0, off, s[0:3], 0 offset:64
	s_nop 0
	buffer_load_dword v1, off, s[0:3], 0 offset:68
	s_waitcnt vmcnt(0)
	flat_store_dwordx2 v[17:18], v[0:1]
	buffer_load_dword v0, off, s[0:3], 0 offset:72
	s_nop 0
	buffer_load_dword v1, off, s[0:3], 0 offset:76
	s_waitcnt vmcnt(0)
	flat_store_dwordx2 v[19:20], v[0:1]
	buffer_load_dword v0, off, s[0:3], 0 offset:80
	s_nop 0
	buffer_load_dword v1, off, s[0:3], 0 offset:84
	s_waitcnt vmcnt(0)
	flat_store_dwordx2 v[21:22], v[0:1]
	buffer_load_dword v0, off, s[0:3], 0 offset:88
	s_nop 0
	buffer_load_dword v1, off, s[0:3], 0 offset:92
	s_waitcnt vmcnt(0)
	flat_store_dwordx2 v[23:24], v[0:1]
	buffer_load_dword v0, off, s[0:3], 0 offset:96
	s_nop 0
	buffer_load_dword v1, off, s[0:3], 0 offset:100
	s_waitcnt vmcnt(0)
	flat_store_dwordx2 v[25:26], v[0:1]
	buffer_load_dword v0, off, s[0:3], 0 offset:104
	s_nop 0
	buffer_load_dword v1, off, s[0:3], 0 offset:108
	s_waitcnt vmcnt(0)
	flat_store_dwordx2 v[27:28], v[0:1]
	buffer_load_dword v0, off, s[0:3], 0 offset:112
	s_nop 0
	buffer_load_dword v1, off, s[0:3], 0 offset:116
	s_waitcnt vmcnt(0)
	flat_store_dwordx2 v[29:30], v[0:1]
	buffer_load_dword v0, off, s[0:3], 0 offset:120
	s_nop 0
	buffer_load_dword v1, off, s[0:3], 0 offset:124
	s_waitcnt vmcnt(0)
	flat_store_dwordx2 v[31:32], v[0:1]
	buffer_load_dword v0, off, s[0:3], 0 offset:128
	s_nop 0
	buffer_load_dword v1, off, s[0:3], 0 offset:132
	s_waitcnt vmcnt(0)
	flat_store_dwordx2 v[33:34], v[0:1]
	buffer_load_dword v0, off, s[0:3], 0 offset:136
	s_nop 0
	buffer_load_dword v1, off, s[0:3], 0 offset:140
	s_waitcnt vmcnt(0)
	flat_store_dwordx2 v[35:36], v[0:1]
	buffer_load_dword v0, off, s[0:3], 0 offset:144
	s_nop 0
	buffer_load_dword v1, off, s[0:3], 0 offset:148
	s_waitcnt vmcnt(0)
	flat_store_dwordx2 v[37:38], v[0:1]
	buffer_load_dword v0, off, s[0:3], 0 offset:152
	s_nop 0
	buffer_load_dword v1, off, s[0:3], 0 offset:156
	s_waitcnt vmcnt(0)
	flat_store_dwordx2 v[39:40], v[0:1]
	buffer_load_dword v0, off, s[0:3], 0 offset:160
	s_nop 0
	buffer_load_dword v1, off, s[0:3], 0 offset:164
	s_waitcnt vmcnt(0)
	flat_store_dwordx2 v[41:42], v[0:1]
	buffer_load_dword v0, off, s[0:3], 0 offset:168
	s_nop 0
	buffer_load_dword v1, off, s[0:3], 0 offset:172
	s_waitcnt vmcnt(0)
	flat_store_dwordx2 v[43:44], v[0:1]
	buffer_load_dword v0, off, s[0:3], 0 offset:176
	s_nop 0
	buffer_load_dword v1, off, s[0:3], 0 offset:180
	s_waitcnt vmcnt(0)
	flat_store_dwordx2 v[45:46], v[0:1]
	buffer_load_dword v0, off, s[0:3], 0 offset:184
	s_nop 0
	buffer_load_dword v1, off, s[0:3], 0 offset:188
	s_waitcnt vmcnt(0)
	flat_store_dwordx2 v[47:48], v[0:1]
	buffer_load_dword v0, off, s[0:3], 0 offset:192
	s_nop 0
	buffer_load_dword v1, off, s[0:3], 0 offset:196
	s_waitcnt vmcnt(0)
	flat_store_dwordx2 v[49:50], v[0:1]
	buffer_load_dword v0, off, s[0:3], 0 offset:200
	s_nop 0
	buffer_load_dword v1, off, s[0:3], 0 offset:204
	s_waitcnt vmcnt(0)
	flat_store_dwordx2 v[51:52], v[0:1]
	buffer_load_dword v0, off, s[0:3], 0 offset:208
	s_nop 0
	buffer_load_dword v1, off, s[0:3], 0 offset:212
	s_waitcnt vmcnt(0)
	flat_store_dwordx2 v[53:54], v[0:1]
	buffer_load_dword v0, off, s[0:3], 0 offset:216
	s_nop 0
	buffer_load_dword v1, off, s[0:3], 0 offset:220
	s_waitcnt vmcnt(0)
	flat_store_dwordx2 v[55:56], v[0:1]
	buffer_load_dword v0, off, s[0:3], 0 offset:224
	s_nop 0
	buffer_load_dword v1, off, s[0:3], 0 offset:228
	s_waitcnt vmcnt(0)
	flat_store_dwordx2 v[57:58], v[0:1]
	buffer_load_dword v0, off, s[0:3], 0 offset:232
	s_nop 0
	buffer_load_dword v1, off, s[0:3], 0 offset:236
	s_waitcnt vmcnt(0)
	flat_store_dwordx2 v[59:60], v[0:1]
	buffer_load_dword v0, off, s[0:3], 0 offset:240
	s_nop 0
	buffer_load_dword v1, off, s[0:3], 0 offset:244
	s_waitcnt vmcnt(0)
	flat_store_dwordx2 v[61:62], v[0:1]
	buffer_load_dword v0, off, s[0:3], 0 offset:248
	s_nop 0
	buffer_load_dword v1, off, s[0:3], 0 offset:252
	s_waitcnt vmcnt(0)
	flat_store_dwordx2 v[63:64], v[0:1]
	buffer_load_dword v0, off, s[0:3], 0 offset:256
	s_nop 0
	buffer_load_dword v1, off, s[0:3], 0 offset:260
	s_waitcnt vmcnt(0)
	flat_store_dwordx2 v[65:66], v[0:1]
	buffer_load_dword v0, off, s[0:3], 0 offset:264
	s_nop 0
	buffer_load_dword v1, off, s[0:3], 0 offset:268
	s_waitcnt vmcnt(0)
	flat_store_dwordx2 v[67:68], v[0:1]
	buffer_load_dword v0, off, s[0:3], 0 offset:272
	s_nop 0
	buffer_load_dword v1, off, s[0:3], 0 offset:276
	s_waitcnt vmcnt(0)
	flat_store_dwordx2 v[69:70], v[0:1]
	buffer_load_dword v0, off, s[0:3], 0 offset:280
	s_nop 0
	buffer_load_dword v1, off, s[0:3], 0 offset:284
	s_waitcnt vmcnt(0)
	flat_store_dwordx2 v[71:72], v[0:1]
	buffer_load_dword v0, off, s[0:3], 0 offset:288
	s_nop 0
	buffer_load_dword v1, off, s[0:3], 0 offset:292
	s_waitcnt vmcnt(0)
	flat_store_dwordx2 v[73:74], v[0:1]
	buffer_load_dword v0, off, s[0:3], 0 offset:296
	s_nop 0
	buffer_load_dword v1, off, s[0:3], 0 offset:300
	s_waitcnt vmcnt(0)
	flat_store_dwordx2 v[75:76], v[0:1]
	buffer_load_dword v0, off, s[0:3], 0 offset:304
	s_nop 0
	buffer_load_dword v1, off, s[0:3], 0 offset:308
	s_waitcnt vmcnt(0)
	flat_store_dwordx2 v[77:78], v[0:1]
	buffer_load_dword v0, off, s[0:3], 0 offset:312
	s_nop 0
	buffer_load_dword v1, off, s[0:3], 0 offset:316
	s_waitcnt vmcnt(0)
	flat_store_dwordx2 v[79:80], v[0:1]
	buffer_load_dword v0, off, s[0:3], 0 offset:320
	s_nop 0
	buffer_load_dword v1, off, s[0:3], 0 offset:324
	s_waitcnt vmcnt(0)
	flat_store_dwordx2 v[81:82], v[0:1]
	buffer_load_dword v0, off, s[0:3], 0 offset:328
	s_nop 0
	buffer_load_dword v1, off, s[0:3], 0 offset:332
	s_waitcnt vmcnt(0)
	flat_store_dwordx2 v[83:84], v[0:1]
	buffer_load_dword v0, off, s[0:3], 0 offset:336
	s_nop 0
	buffer_load_dword v1, off, s[0:3], 0 offset:340
	s_waitcnt vmcnt(0)
	flat_store_dwordx2 v[85:86], v[0:1]
	buffer_load_dword v0, off, s[0:3], 0 offset:344
	s_nop 0
	buffer_load_dword v1, off, s[0:3], 0 offset:348
	s_waitcnt vmcnt(0)
	flat_store_dwordx2 v[87:88], v[0:1]
	buffer_load_dword v0, off, s[0:3], 0 offset:352
	s_nop 0
	buffer_load_dword v1, off, s[0:3], 0 offset:356
	s_waitcnt vmcnt(0)
	flat_store_dwordx2 v[89:90], v[0:1]
	buffer_load_dword v0, off, s[0:3], 0 offset:360
	s_nop 0
	buffer_load_dword v1, off, s[0:3], 0 offset:364
	s_waitcnt vmcnt(0)
	flat_store_dwordx2 v[91:92], v[0:1]
	buffer_load_dword v0, off, s[0:3], 0 offset:368
	s_nop 0
	buffer_load_dword v1, off, s[0:3], 0 offset:372
	s_waitcnt vmcnt(0)
	flat_store_dwordx2 v[93:94], v[0:1]
	buffer_load_dword v0, off, s[0:3], 0 offset:376
	s_nop 0
	buffer_load_dword v1, off, s[0:3], 0 offset:380
	s_waitcnt vmcnt(0)
	flat_store_dwordx2 v[95:96], v[0:1]
	buffer_load_dword v0, off, s[0:3], 0 offset:384
	s_nop 0
	buffer_load_dword v1, off, s[0:3], 0 offset:388
	s_waitcnt vmcnt(0)
	flat_store_dwordx2 v[97:98], v[0:1]
	buffer_load_dword v0, off, s[0:3], 0 offset:392
	s_nop 0
	buffer_load_dword v1, off, s[0:3], 0 offset:396
	s_waitcnt vmcnt(0)
	flat_store_dwordx2 v[99:100], v[0:1]
	buffer_load_dword v0, off, s[0:3], 0 offset:400
	s_nop 0
	buffer_load_dword v1, off, s[0:3], 0 offset:404
	s_waitcnt vmcnt(0)
	flat_store_dwordx2 v[101:102], v[0:1]
	buffer_load_dword v0, off, s[0:3], 0 offset:408
	s_nop 0
	buffer_load_dword v1, off, s[0:3], 0 offset:412
	s_waitcnt vmcnt(0)
	flat_store_dwordx2 v[103:104], v[0:1]
	buffer_load_dword v0, off, s[0:3], 0 offset:416
	s_nop 0
	buffer_load_dword v1, off, s[0:3], 0 offset:420
	s_waitcnt vmcnt(0)
	flat_store_dwordx2 v[105:106], v[0:1]
	buffer_load_dword v0, off, s[0:3], 0 offset:424
	s_nop 0
	buffer_load_dword v1, off, s[0:3], 0 offset:428
	s_waitcnt vmcnt(0)
	flat_store_dwordx2 v[107:108], v[0:1]
	buffer_load_dword v0, off, s[0:3], 0 offset:432
	s_nop 0
	buffer_load_dword v1, off, s[0:3], 0 offset:436
	s_waitcnt vmcnt(0)
	flat_store_dwordx2 v[109:110], v[0:1]
	buffer_load_dword v0, off, s[0:3], 0 offset:440
	s_nop 0
	buffer_load_dword v1, off, s[0:3], 0 offset:444
	s_waitcnt vmcnt(0)
	flat_store_dwordx2 v[111:112], v[0:1]
	buffer_load_dword v0, off, s[0:3], 0 offset:448
	s_nop 0
	buffer_load_dword v1, off, s[0:3], 0 offset:452
	s_waitcnt vmcnt(0)
	flat_store_dwordx2 v[113:114], v[0:1]
	buffer_load_dword v0, off, s[0:3], 0 offset:456
	s_nop 0
	buffer_load_dword v1, off, s[0:3], 0 offset:460
	s_waitcnt vmcnt(0)
	flat_store_dwordx2 v[115:116], v[0:1]
.LBB121_1130:
	s_endpgm
	.section	.rodata,"a",@progbits
	.p2align	6, 0x0
	.amdhsa_kernel _ZN9rocsolver6v33100L18trti2_kernel_smallILi58EdPKPdEEv13rocblas_fill_17rocblas_diagonal_T1_iil
		.amdhsa_group_segment_fixed_size 928
		.amdhsa_private_segment_fixed_size 480
		.amdhsa_kernarg_size 32
		.amdhsa_user_sgpr_count 6
		.amdhsa_user_sgpr_private_segment_buffer 1
		.amdhsa_user_sgpr_dispatch_ptr 0
		.amdhsa_user_sgpr_queue_ptr 0
		.amdhsa_user_sgpr_kernarg_segment_ptr 1
		.amdhsa_user_sgpr_dispatch_id 0
		.amdhsa_user_sgpr_flat_scratch_init 0
		.amdhsa_user_sgpr_private_segment_size 0
		.amdhsa_uses_dynamic_stack 0
		.amdhsa_system_sgpr_private_segment_wavefront_offset 1
		.amdhsa_system_sgpr_workgroup_id_x 1
		.amdhsa_system_sgpr_workgroup_id_y 0
		.amdhsa_system_sgpr_workgroup_id_z 0
		.amdhsa_system_sgpr_workgroup_info 0
		.amdhsa_system_vgpr_workitem_id 0
		.amdhsa_next_free_vgpr 130
		.amdhsa_next_free_sgpr 71
		.amdhsa_reserve_vcc 1
		.amdhsa_reserve_flat_scratch 0
		.amdhsa_float_round_mode_32 0
		.amdhsa_float_round_mode_16_64 0
		.amdhsa_float_denorm_mode_32 3
		.amdhsa_float_denorm_mode_16_64 3
		.amdhsa_dx10_clamp 1
		.amdhsa_ieee_mode 1
		.amdhsa_fp16_overflow 0
		.amdhsa_exception_fp_ieee_invalid_op 0
		.amdhsa_exception_fp_denorm_src 0
		.amdhsa_exception_fp_ieee_div_zero 0
		.amdhsa_exception_fp_ieee_overflow 0
		.amdhsa_exception_fp_ieee_underflow 0
		.amdhsa_exception_fp_ieee_inexact 0
		.amdhsa_exception_int_div_zero 0
	.end_amdhsa_kernel
	.section	.text._ZN9rocsolver6v33100L18trti2_kernel_smallILi58EdPKPdEEv13rocblas_fill_17rocblas_diagonal_T1_iil,"axG",@progbits,_ZN9rocsolver6v33100L18trti2_kernel_smallILi58EdPKPdEEv13rocblas_fill_17rocblas_diagonal_T1_iil,comdat
.Lfunc_end121:
	.size	_ZN9rocsolver6v33100L18trti2_kernel_smallILi58EdPKPdEEv13rocblas_fill_17rocblas_diagonal_T1_iil, .Lfunc_end121-_ZN9rocsolver6v33100L18trti2_kernel_smallILi58EdPKPdEEv13rocblas_fill_17rocblas_diagonal_T1_iil
                                        ; -- End function
	.set _ZN9rocsolver6v33100L18trti2_kernel_smallILi58EdPKPdEEv13rocblas_fill_17rocblas_diagonal_T1_iil.num_vgpr, 130
	.set _ZN9rocsolver6v33100L18trti2_kernel_smallILi58EdPKPdEEv13rocblas_fill_17rocblas_diagonal_T1_iil.num_agpr, 0
	.set _ZN9rocsolver6v33100L18trti2_kernel_smallILi58EdPKPdEEv13rocblas_fill_17rocblas_diagonal_T1_iil.numbered_sgpr, 71
	.set _ZN9rocsolver6v33100L18trti2_kernel_smallILi58EdPKPdEEv13rocblas_fill_17rocblas_diagonal_T1_iil.num_named_barrier, 0
	.set _ZN9rocsolver6v33100L18trti2_kernel_smallILi58EdPKPdEEv13rocblas_fill_17rocblas_diagonal_T1_iil.private_seg_size, 480
	.set _ZN9rocsolver6v33100L18trti2_kernel_smallILi58EdPKPdEEv13rocblas_fill_17rocblas_diagonal_T1_iil.uses_vcc, 1
	.set _ZN9rocsolver6v33100L18trti2_kernel_smallILi58EdPKPdEEv13rocblas_fill_17rocblas_diagonal_T1_iil.uses_flat_scratch, 0
	.set _ZN9rocsolver6v33100L18trti2_kernel_smallILi58EdPKPdEEv13rocblas_fill_17rocblas_diagonal_T1_iil.has_dyn_sized_stack, 0
	.set _ZN9rocsolver6v33100L18trti2_kernel_smallILi58EdPKPdEEv13rocblas_fill_17rocblas_diagonal_T1_iil.has_recursion, 0
	.set _ZN9rocsolver6v33100L18trti2_kernel_smallILi58EdPKPdEEv13rocblas_fill_17rocblas_diagonal_T1_iil.has_indirect_call, 0
	.section	.AMDGPU.csdata,"",@progbits
; Kernel info:
; codeLenInByte = 34544
; TotalNumSgprs: 75
; NumVgprs: 130
; ScratchSize: 480
; MemoryBound: 0
; FloatMode: 240
; IeeeMode: 1
; LDSByteSize: 928 bytes/workgroup (compile time only)
; SGPRBlocks: 9
; VGPRBlocks: 32
; NumSGPRsForWavesPerEU: 75
; NumVGPRsForWavesPerEU: 130
; Occupancy: 1
; WaveLimiterHint : 1
; COMPUTE_PGM_RSRC2:SCRATCH_EN: 1
; COMPUTE_PGM_RSRC2:USER_SGPR: 6
; COMPUTE_PGM_RSRC2:TRAP_HANDLER: 0
; COMPUTE_PGM_RSRC2:TGID_X_EN: 1
; COMPUTE_PGM_RSRC2:TGID_Y_EN: 0
; COMPUTE_PGM_RSRC2:TGID_Z_EN: 0
; COMPUTE_PGM_RSRC2:TIDIG_COMP_CNT: 0
	.section	.text._ZN9rocsolver6v33100L18trti2_kernel_smallILi59EdPKPdEEv13rocblas_fill_17rocblas_diagonal_T1_iil,"axG",@progbits,_ZN9rocsolver6v33100L18trti2_kernel_smallILi59EdPKPdEEv13rocblas_fill_17rocblas_diagonal_T1_iil,comdat
	.globl	_ZN9rocsolver6v33100L18trti2_kernel_smallILi59EdPKPdEEv13rocblas_fill_17rocblas_diagonal_T1_iil ; -- Begin function _ZN9rocsolver6v33100L18trti2_kernel_smallILi59EdPKPdEEv13rocblas_fill_17rocblas_diagonal_T1_iil
	.p2align	8
	.type	_ZN9rocsolver6v33100L18trti2_kernel_smallILi59EdPKPdEEv13rocblas_fill_17rocblas_diagonal_T1_iil,@function
_ZN9rocsolver6v33100L18trti2_kernel_smallILi59EdPKPdEEv13rocblas_fill_17rocblas_diagonal_T1_iil: ; @_ZN9rocsolver6v33100L18trti2_kernel_smallILi59EdPKPdEEv13rocblas_fill_17rocblas_diagonal_T1_iil
; %bb.0:
	s_add_u32 s0, s0, s7
	s_addc_u32 s1, s1, 0
	v_cmp_gt_u32_e32 vcc, 59, v0
	s_and_saveexec_b64 s[8:9], vcc
	s_cbranch_execz .LBB122_1150
; %bb.1:
	s_load_dwordx2 s[12:13], s[4:5], 0x10
	s_load_dwordx4 s[8:11], s[4:5], 0x0
	s_ashr_i32 s7, s6, 31
	s_lshl_b64 s[6:7], s[6:7], 3
	v_lshlrev_b32_e32 v121, 3, v0
	s_waitcnt lgkmcnt(0)
	s_ashr_i32 s5, s12, 31
	s_add_u32 s6, s10, s6
	s_addc_u32 s7, s11, s7
	s_load_dwordx2 s[6:7], s[6:7], 0x0
	s_mov_b32 s4, s12
	s_lshl_b64 s[4:5], s[4:5], 3
	s_waitcnt lgkmcnt(0)
	s_add_u32 s4, s6, s4
	s_addc_u32 s5, s7, s5
	v_mov_b32_e32 v2, s5
	v_add_co_u32_e32 v1, vcc, s4, v121
	v_addc_co_u32_e32 v2, vcc, 0, v2, vcc
	flat_load_dwordx2 v[5:6], v[1:2]
	s_mov_b32 s6, s13
	s_ashr_i32 s7, s13, 31
	s_lshl_b64 s[6:7], s[6:7], 3
	v_mov_b32_e32 v4, s7
	v_add_co_u32_e32 v3, vcc, s6, v1
	v_addc_co_u32_e32 v4, vcc, v2, v4, vcc
	s_add_i32 s6, s13, s13
	v_add_u32_e32 v9, s6, v0
	v_ashrrev_i32_e32 v10, 31, v9
	v_mov_b32_e32 v11, s5
	v_add_u32_e32 v12, s13, v9
	v_ashrrev_i32_e32 v13, 31, v12
	v_mov_b32_e32 v14, s5
	v_mov_b32_e32 v15, s5
	;; [unrolled: 1-line block ×55, first 2 shown]
	s_cmpk_lg_i32 s9, 0x84
	s_cselect_b64 s[10:11], -1, 0
	s_cmpk_eq_i32 s9, 0x84
	s_waitcnt vmcnt(0) lgkmcnt(0)
	buffer_store_dword v6, off, s[0:3], 0 offset:4
	buffer_store_dword v5, off, s[0:3], 0
	flat_load_dwordx2 v[7:8], v[3:4]
	v_lshlrev_b64 v[5:6], 3, v[9:10]
	s_waitcnt vmcnt(0) lgkmcnt(0)
	buffer_store_dword v8, off, s[0:3], 0 offset:12
	buffer_store_dword v7, off, s[0:3], 0 offset:8
	v_add_co_u32_e32 v5, vcc, s4, v5
	v_addc_co_u32_e32 v6, vcc, v11, v6, vcc
	flat_load_dwordx2 v[10:11], v[5:6]
	v_lshlrev_b64 v[7:8], 3, v[12:13]
	s_waitcnt vmcnt(0) lgkmcnt(0)
	buffer_store_dword v11, off, s[0:3], 0 offset:20
	buffer_store_dword v10, off, s[0:3], 0 offset:16
	v_add_co_u32_e32 v7, vcc, s4, v7
	v_addc_co_u32_e32 v8, vcc, v14, v8, vcc
	flat_load_dwordx2 v[13:14], v[7:8]
	v_add_u32_e32 v11, s13, v12
	v_ashrrev_i32_e32 v12, 31, v11
	v_lshlrev_b64 v[9:10], 3, v[11:12]
	s_waitcnt vmcnt(0) lgkmcnt(0)
	buffer_store_dword v14, off, s[0:3], 0 offset:28
	buffer_store_dword v13, off, s[0:3], 0 offset:24
	v_add_co_u32_e32 v9, vcc, s4, v9
	v_addc_co_u32_e32 v10, vcc, v15, v10, vcc
	flat_load_dwordx2 v[13:14], v[9:10]
	v_add_u32_e32 v15, s13, v11
	v_ashrrev_i32_e32 v16, 31, v15
	v_lshlrev_b64 v[11:12], 3, v[15:16]
	v_add_u32_e32 v18, s13, v15
	v_add_co_u32_e32 v11, vcc, s4, v11
	v_addc_co_u32_e32 v12, vcc, v17, v12, vcc
	v_ashrrev_i32_e32 v19, 31, v18
	s_waitcnt vmcnt(0) lgkmcnt(0)
	buffer_store_dword v14, off, s[0:3], 0 offset:36
	buffer_store_dword v13, off, s[0:3], 0 offset:32
	flat_load_dwordx2 v[16:17], v[11:12]
	v_lshlrev_b64 v[13:14], 3, v[18:19]
	s_waitcnt vmcnt(0) lgkmcnt(0)
	buffer_store_dword v17, off, s[0:3], 0 offset:44
	buffer_store_dword v16, off, s[0:3], 0 offset:40
	v_add_co_u32_e32 v13, vcc, s4, v13
	v_addc_co_u32_e32 v14, vcc, v20, v14, vcc
	flat_load_dwordx2 v[19:20], v[13:14]
	v_add_u32_e32 v17, s13, v18
	v_ashrrev_i32_e32 v18, 31, v17
	v_lshlrev_b64 v[15:16], 3, v[17:18]
	s_waitcnt vmcnt(0) lgkmcnt(0)
	buffer_store_dword v20, off, s[0:3], 0 offset:52
	buffer_store_dword v19, off, s[0:3], 0 offset:48
	v_add_co_u32_e32 v15, vcc, s4, v15
	v_addc_co_u32_e32 v16, vcc, v21, v16, vcc
	flat_load_dwordx2 v[19:20], v[15:16]
	v_add_u32_e32 v21, s13, v17
	v_ashrrev_i32_e32 v22, 31, v21
	v_lshlrev_b64 v[17:18], 3, v[21:22]
	v_add_u32_e32 v24, s13, v21
	v_add_co_u32_e32 v17, vcc, s4, v17
	v_addc_co_u32_e32 v18, vcc, v23, v18, vcc
	v_ashrrev_i32_e32 v25, 31, v24
	s_waitcnt vmcnt(0) lgkmcnt(0)
	buffer_store_dword v20, off, s[0:3], 0 offset:60
	buffer_store_dword v19, off, s[0:3], 0 offset:56
	;; [unrolled: 27-line block ×7, first 2 shown]
	flat_load_dwordx2 v[52:53], v[47:48]
	v_lshlrev_b64 v[49:50], 3, v[54:55]
	s_waitcnt vmcnt(0) lgkmcnt(0)
	buffer_store_dword v53, off, s[0:3], 0 offset:188
	buffer_store_dword v52, off, s[0:3], 0 offset:184
	v_add_co_u32_e32 v49, vcc, s4, v49
	v_addc_co_u32_e32 v50, vcc, v56, v50, vcc
	flat_load_dwordx2 v[55:56], v[49:50]
	v_add_u32_e32 v53, s13, v54
	v_ashrrev_i32_e32 v54, 31, v53
	v_lshlrev_b64 v[51:52], 3, v[53:54]
	s_waitcnt vmcnt(0) lgkmcnt(0)
	buffer_store_dword v56, off, s[0:3], 0 offset:196
	buffer_store_dword v55, off, s[0:3], 0 offset:192
	v_add_co_u32_e32 v51, vcc, s4, v51
	v_addc_co_u32_e32 v52, vcc, v57, v52, vcc
	flat_load_dwordx2 v[55:56], v[51:52]
	v_add_u32_e32 v57, s13, v53
	v_ashrrev_i32_e32 v58, 31, v57
	v_lshlrev_b64 v[53:54], 3, v[57:58]
	v_add_u32_e32 v60, s13, v57
	v_add_co_u32_e32 v53, vcc, s4, v53
	v_addc_co_u32_e32 v54, vcc, v59, v54, vcc
	s_waitcnt vmcnt(0) lgkmcnt(0)
	buffer_store_dword v56, off, s[0:3], 0 offset:204
	buffer_store_dword v55, off, s[0:3], 0 offset:200
	flat_load_dwordx2 v[58:59], v[53:54]
	v_ashrrev_i32_e32 v61, 31, v60
	v_lshlrev_b64 v[55:56], 3, v[60:61]
	s_waitcnt vmcnt(0) lgkmcnt(0)
	buffer_store_dword v59, off, s[0:3], 0 offset:212
	buffer_store_dword v58, off, s[0:3], 0 offset:208
	v_add_co_u32_e32 v55, vcc, s4, v55
	v_addc_co_u32_e32 v56, vcc, v62, v56, vcc
	flat_load_dwordx2 v[61:62], v[55:56]
	v_add_u32_e32 v59, s13, v60
	v_ashrrev_i32_e32 v60, 31, v59
	v_lshlrev_b64 v[57:58], 3, v[59:60]
	s_waitcnt vmcnt(0) lgkmcnt(0)
	buffer_store_dword v62, off, s[0:3], 0 offset:220
	buffer_store_dword v61, off, s[0:3], 0 offset:216
	v_add_co_u32_e32 v57, vcc, s4, v57
	v_addc_co_u32_e32 v58, vcc, v63, v58, vcc
	flat_load_dwordx2 v[61:62], v[57:58]
	v_add_u32_e32 v63, s13, v59
	;; [unrolled: 9-line block ×31, first 2 shown]
	v_ashrrev_i32_e32 v118, 31, v117
	v_lshlrev_b64 v[117:118], 3, v[117:118]
	v_mov_b32_e32 v123, s5
	v_add_co_u32_e32 v117, vcc, s4, v117
	v_addc_co_u32_e32 v118, vcc, v123, v118, vcc
	s_waitcnt vmcnt(0) lgkmcnt(0)
	buffer_store_dword v120, off, s[0:3], 0 offset:460
	buffer_store_dword v119, off, s[0:3], 0 offset:456
	flat_load_dwordx2 v[122:123], v[117:118]
	v_mov_b32_e32 v119, 0
	v_mov_b32_e32 v120, 0xbff00000
	s_waitcnt vmcnt(0) lgkmcnt(0)
	buffer_store_dword v123, off, s[0:3], 0 offset:468
	buffer_store_dword v122, off, s[0:3], 0 offset:464
	s_cbranch_scc1 .LBB122_3
; %bb.2:
	v_mov_b32_e32 v119, 0
	v_lshl_add_u32 v130, v0, 3, v119
	buffer_load_dword v119, v130, s[0:3], 0 offen
	buffer_load_dword v120, v130, s[0:3], 0 offen offset:4
	s_waitcnt vmcnt(0)
	v_div_scale_f64 v[122:123], s[4:5], v[119:120], v[119:120], 1.0
	v_rcp_f64_e32 v[124:125], v[122:123]
	v_fma_f64 v[126:127], -v[122:123], v[124:125], 1.0
	v_fma_f64 v[124:125], v[124:125], v[126:127], v[124:125]
	v_div_scale_f64 v[126:127], vcc, 1.0, v[119:120], 1.0
	v_fma_f64 v[128:129], -v[122:123], v[124:125], 1.0
	v_fma_f64 v[124:125], v[124:125], v[128:129], v[124:125]
	v_mul_f64 v[128:129], v[126:127], v[124:125]
	v_fma_f64 v[122:123], -v[122:123], v[128:129], v[126:127]
	v_div_fmas_f64 v[122:123], v[122:123], v[124:125], v[128:129]
	v_div_fixup_f64 v[119:120], v[122:123], v[119:120], 1.0
	buffer_store_dword v119, v130, s[0:3], 0 offen
	buffer_store_dword v120, v130, s[0:3], 0 offen offset:4
	v_xor_b32_e32 v120, 0x80000000, v120
.LBB122_3:
	s_cmpk_eq_i32 s8, 0x79
	v_add_u32_e32 v122, 0x1e0, v121
	v_mov_b32_e32 v123, v121
	s_mov_b64 s[4:5], -1
	ds_write_b64 v121, v[119:120]
	s_cbranch_scc1 .LBB122_577
; %bb.4:
	buffer_load_dword v119, off, s[0:3], 0 offset:456
	buffer_load_dword v120, off, s[0:3], 0 offset:460
	s_movk_i32 s12, 0x48
	s_movk_i32 s13, 0x50
	;; [unrolled: 1-line block ×48, first 2 shown]
	v_cmp_eq_u32_e64 s[4:5], 58, v0
	s_waitcnt vmcnt(0)
	ds_write_b64 v122, v[119:120]
	s_waitcnt lgkmcnt(0)
	; wave barrier
	s_and_saveexec_b64 s[6:7], s[4:5]
	s_cbranch_execz .LBB122_10
; %bb.5:
	s_and_b64 vcc, exec, s[10:11]
	s_cbranch_vccz .LBB122_7
; %bb.6:
	buffer_load_dword v119, v123, s[0:3], 0 offen
	buffer_load_dword v120, v123, s[0:3], 0 offen offset:4
	ds_read_b64 v[124:125], v122
	s_waitcnt vmcnt(0) lgkmcnt(0)
	v_mul_f64 v[119:120], v[119:120], v[124:125]
	s_cbranch_execz .LBB122_8
	s_branch .LBB122_9
.LBB122_7:
                                        ; implicit-def: $vgpr119_vgpr120
.LBB122_8:
	ds_read_b64 v[119:120], v122
.LBB122_9:
	v_mov_b32_e32 v124, 0
	ds_read_b64 v[124:125], v124 offset:456
	s_waitcnt lgkmcnt(0)
	v_mul_f64 v[119:120], v[119:120], v[124:125]
	buffer_store_dword v120, off, s[0:3], 0 offset:460
	buffer_store_dword v119, off, s[0:3], 0 offset:456
.LBB122_10:
	s_or_b64 exec, exec, s[6:7]
	buffer_load_dword v119, off, s[0:3], 0 offset:448
	buffer_load_dword v120, off, s[0:3], 0 offset:452
	s_or_b32 s14, 0, 8
	s_mov_b32 s15, 16
	s_mov_b32 s16, 24
	;; [unrolled: 1-line block ×9, first 2 shown]
	v_cmp_lt_u32_e64 s[6:7], 56, v0
	s_waitcnt vmcnt(0)
	ds_write_b64 v122, v[119:120]
	s_waitcnt lgkmcnt(0)
	; wave barrier
	s_and_saveexec_b64 s[8:9], s[6:7]
	s_cbranch_execz .LBB122_16
; %bb.11:
	s_andn2_b64 vcc, exec, s[10:11]
	s_cbranch_vccnz .LBB122_13
; %bb.12:
	buffer_load_dword v119, v123, s[0:3], 0 offen
	buffer_load_dword v120, v123, s[0:3], 0 offen offset:4
	ds_read_b64 v[124:125], v122
	s_waitcnt vmcnt(0) lgkmcnt(0)
	v_mul_f64 v[119:120], v[119:120], v[124:125]
	s_cbranch_execz .LBB122_14
	s_branch .LBB122_15
.LBB122_13:
                                        ; implicit-def: $vgpr119_vgpr120
.LBB122_14:
	ds_read_b64 v[119:120], v122
.LBB122_15:
	buffer_load_dword v128, off, s[0:3], 0 offset:456
	buffer_load_dword v129, off, s[0:3], 0 offset:460
	v_mov_b32_e32 v124, 0
	ds_read2_b64 v[124:127], v124 offset0:56 offset1:117
	s_waitcnt vmcnt(0) lgkmcnt(0)
	v_fma_f64 v[126:127], v[128:129], v[126:127], v[119:120]
	v_cndmask_b32_e64 v120, v120, v127, s[4:5]
	v_cndmask_b32_e64 v119, v119, v126, s[4:5]
	v_mul_f64 v[119:120], v[119:120], v[124:125]
	buffer_store_dword v120, off, s[0:3], 0 offset:452
	buffer_store_dword v119, off, s[0:3], 0 offset:448
.LBB122_16:
	s_or_b64 exec, exec, s[8:9]
	buffer_load_dword v119, off, s[0:3], 0 offset:440
	buffer_load_dword v120, off, s[0:3], 0 offset:444
	v_cmp_lt_u32_e64 s[4:5], 55, v0
	s_waitcnt vmcnt(0)
	ds_write_b64 v122, v[119:120]
	s_waitcnt lgkmcnt(0)
	; wave barrier
	s_and_saveexec_b64 s[8:9], s[4:5]
	s_cbranch_execz .LBB122_26
; %bb.17:
	s_andn2_b64 vcc, exec, s[10:11]
	s_cbranch_vccnz .LBB122_19
; %bb.18:
	buffer_load_dword v119, v123, s[0:3], 0 offen
	buffer_load_dword v120, v123, s[0:3], 0 offen offset:4
	ds_read_b64 v[124:125], v122
	s_waitcnt vmcnt(0) lgkmcnt(0)
	v_mul_f64 v[119:120], v[119:120], v[124:125]
	s_cbranch_execz .LBB122_20
	s_branch .LBB122_21
.LBB122_19:
                                        ; implicit-def: $vgpr119_vgpr120
.LBB122_20:
	ds_read_b64 v[119:120], v122
.LBB122_21:
	s_and_saveexec_b64 s[12:13], s[6:7]
	s_cbranch_execz .LBB122_25
; %bb.22:
	v_subrev_u32_e32 v124, 56, v0
	s_movk_i32 s71, 0x3a0
	s_mov_b64 s[6:7], 0
.LBB122_23:                             ; =>This Inner Loop Header: Depth=1
	v_mov_b32_e32 v126, s70
	buffer_load_dword v125, v126, s[0:3], 0 offen
	s_nop 0
	buffer_load_dword v126, v126, s[0:3], 0 offen offset:4
	v_mov_b32_e32 v127, s71
	ds_read_b64 v[127:128], v127
	v_add_u32_e32 v124, -1, v124
	s_add_i32 s71, s71, 8
	s_add_i32 s70, s70, 8
	v_cmp_eq_u32_e32 vcc, 0, v124
	s_or_b64 s[6:7], vcc, s[6:7]
	s_waitcnt vmcnt(0) lgkmcnt(0)
	v_fma_f64 v[119:120], v[125:126], v[127:128], v[119:120]
	s_andn2_b64 exec, exec, s[6:7]
	s_cbranch_execnz .LBB122_23
; %bb.24:
	s_or_b64 exec, exec, s[6:7]
.LBB122_25:
	s_or_b64 exec, exec, s[12:13]
	v_mov_b32_e32 v124, 0
	ds_read_b64 v[124:125], v124 offset:440
	s_waitcnt lgkmcnt(0)
	v_mul_f64 v[119:120], v[119:120], v[124:125]
	buffer_store_dword v120, off, s[0:3], 0 offset:444
	buffer_store_dword v119, off, s[0:3], 0 offset:440
.LBB122_26:
	s_or_b64 exec, exec, s[8:9]
	buffer_load_dword v119, off, s[0:3], 0 offset:432
	buffer_load_dword v120, off, s[0:3], 0 offset:436
	v_cmp_lt_u32_e64 s[6:7], 54, v0
	s_waitcnt vmcnt(0)
	ds_write_b64 v122, v[119:120]
	s_waitcnt lgkmcnt(0)
	; wave barrier
	s_and_saveexec_b64 s[8:9], s[6:7]
	s_cbranch_execz .LBB122_36
; %bb.27:
	s_andn2_b64 vcc, exec, s[10:11]
	s_cbranch_vccnz .LBB122_29
; %bb.28:
	buffer_load_dword v119, v123, s[0:3], 0 offen
	buffer_load_dword v120, v123, s[0:3], 0 offen offset:4
	ds_read_b64 v[124:125], v122
	s_waitcnt vmcnt(0) lgkmcnt(0)
	v_mul_f64 v[119:120], v[119:120], v[124:125]
	s_cbranch_execz .LBB122_30
	s_branch .LBB122_31
.LBB122_29:
                                        ; implicit-def: $vgpr119_vgpr120
.LBB122_30:
	ds_read_b64 v[119:120], v122
.LBB122_31:
	s_and_saveexec_b64 s[12:13], s[4:5]
	s_cbranch_execz .LBB122_35
; %bb.32:
	v_subrev_u32_e32 v124, 55, v0
	s_movk_i32 s70, 0x398
	s_mov_b64 s[4:5], 0
.LBB122_33:                             ; =>This Inner Loop Header: Depth=1
	v_mov_b32_e32 v126, s69
	buffer_load_dword v125, v126, s[0:3], 0 offen
	s_nop 0
	buffer_load_dword v126, v126, s[0:3], 0 offen offset:4
	v_mov_b32_e32 v127, s70
	ds_read_b64 v[127:128], v127
	v_add_u32_e32 v124, -1, v124
	s_add_i32 s70, s70, 8
	s_add_i32 s69, s69, 8
	v_cmp_eq_u32_e32 vcc, 0, v124
	s_or_b64 s[4:5], vcc, s[4:5]
	s_waitcnt vmcnt(0) lgkmcnt(0)
	v_fma_f64 v[119:120], v[125:126], v[127:128], v[119:120]
	s_andn2_b64 exec, exec, s[4:5]
	s_cbranch_execnz .LBB122_33
; %bb.34:
	s_or_b64 exec, exec, s[4:5]
.LBB122_35:
	s_or_b64 exec, exec, s[12:13]
	v_mov_b32_e32 v124, 0
	ds_read_b64 v[124:125], v124 offset:432
	s_waitcnt lgkmcnt(0)
	v_mul_f64 v[119:120], v[119:120], v[124:125]
	buffer_store_dword v120, off, s[0:3], 0 offset:436
	buffer_store_dword v119, off, s[0:3], 0 offset:432
.LBB122_36:
	;; [unrolled: 59-line block ×8, first 2 shown]
	s_or_b64 exec, exec, s[8:9]
	buffer_load_dword v119, off, s[0:3], 0 offset:376
	buffer_load_dword v120, off, s[0:3], 0 offset:380
	v_cmp_lt_u32_e64 s[4:5], 47, v0
	s_waitcnt vmcnt(0)
	ds_write_b64 v122, v[119:120]
	s_waitcnt lgkmcnt(0)
	; wave barrier
	s_and_saveexec_b64 s[8:9], s[4:5]
	s_cbranch_execz .LBB122_106
; %bb.97:
	s_andn2_b64 vcc, exec, s[10:11]
	s_cbranch_vccnz .LBB122_99
; %bb.98:
	buffer_load_dword v119, v123, s[0:3], 0 offen
	buffer_load_dword v120, v123, s[0:3], 0 offen offset:4
	ds_read_b64 v[124:125], v122
	s_waitcnt vmcnt(0) lgkmcnt(0)
	v_mul_f64 v[119:120], v[119:120], v[124:125]
	s_cbranch_execz .LBB122_100
	s_branch .LBB122_101
.LBB122_99:
                                        ; implicit-def: $vgpr119_vgpr120
.LBB122_100:
	ds_read_b64 v[119:120], v122
.LBB122_101:
	s_and_saveexec_b64 s[12:13], s[6:7]
	s_cbranch_execz .LBB122_105
; %bb.102:
	v_subrev_u32_e32 v124, 48, v0
	s_movk_i32 s63, 0x360
	s_mov_b64 s[6:7], 0
.LBB122_103:                            ; =>This Inner Loop Header: Depth=1
	v_mov_b32_e32 v126, s62
	buffer_load_dword v125, v126, s[0:3], 0 offen
	s_nop 0
	buffer_load_dword v126, v126, s[0:3], 0 offen offset:4
	v_mov_b32_e32 v127, s63
	ds_read_b64 v[127:128], v127
	v_add_u32_e32 v124, -1, v124
	s_add_i32 s63, s63, 8
	s_add_i32 s62, s62, 8
	v_cmp_eq_u32_e32 vcc, 0, v124
	s_or_b64 s[6:7], vcc, s[6:7]
	s_waitcnt vmcnt(0) lgkmcnt(0)
	v_fma_f64 v[119:120], v[125:126], v[127:128], v[119:120]
	s_andn2_b64 exec, exec, s[6:7]
	s_cbranch_execnz .LBB122_103
; %bb.104:
	s_or_b64 exec, exec, s[6:7]
.LBB122_105:
	s_or_b64 exec, exec, s[12:13]
	v_mov_b32_e32 v124, 0
	ds_read_b64 v[124:125], v124 offset:376
	s_waitcnt lgkmcnt(0)
	v_mul_f64 v[119:120], v[119:120], v[124:125]
	buffer_store_dword v120, off, s[0:3], 0 offset:380
	buffer_store_dword v119, off, s[0:3], 0 offset:376
.LBB122_106:
	s_or_b64 exec, exec, s[8:9]
	buffer_load_dword v119, off, s[0:3], 0 offset:368
	buffer_load_dword v120, off, s[0:3], 0 offset:372
	v_cmp_lt_u32_e64 s[6:7], 46, v0
	s_waitcnt vmcnt(0)
	ds_write_b64 v122, v[119:120]
	s_waitcnt lgkmcnt(0)
	; wave barrier
	s_and_saveexec_b64 s[8:9], s[6:7]
	s_cbranch_execz .LBB122_116
; %bb.107:
	s_andn2_b64 vcc, exec, s[10:11]
	s_cbranch_vccnz .LBB122_109
; %bb.108:
	buffer_load_dword v119, v123, s[0:3], 0 offen
	buffer_load_dword v120, v123, s[0:3], 0 offen offset:4
	ds_read_b64 v[124:125], v122
	s_waitcnt vmcnt(0) lgkmcnt(0)
	v_mul_f64 v[119:120], v[119:120], v[124:125]
	s_cbranch_execz .LBB122_110
	s_branch .LBB122_111
.LBB122_109:
                                        ; implicit-def: $vgpr119_vgpr120
.LBB122_110:
	ds_read_b64 v[119:120], v122
.LBB122_111:
	s_and_saveexec_b64 s[12:13], s[4:5]
	s_cbranch_execz .LBB122_115
; %bb.112:
	v_subrev_u32_e32 v124, 47, v0
	s_movk_i32 s62, 0x358
	s_mov_b64 s[4:5], 0
.LBB122_113:                            ; =>This Inner Loop Header: Depth=1
	v_mov_b32_e32 v126, s61
	buffer_load_dword v125, v126, s[0:3], 0 offen
	s_nop 0
	buffer_load_dword v126, v126, s[0:3], 0 offen offset:4
	v_mov_b32_e32 v127, s62
	ds_read_b64 v[127:128], v127
	v_add_u32_e32 v124, -1, v124
	s_add_i32 s62, s62, 8
	s_add_i32 s61, s61, 8
	v_cmp_eq_u32_e32 vcc, 0, v124
	s_or_b64 s[4:5], vcc, s[4:5]
	s_waitcnt vmcnt(0) lgkmcnt(0)
	v_fma_f64 v[119:120], v[125:126], v[127:128], v[119:120]
	s_andn2_b64 exec, exec, s[4:5]
	s_cbranch_execnz .LBB122_113
; %bb.114:
	s_or_b64 exec, exec, s[4:5]
.LBB122_115:
	s_or_b64 exec, exec, s[12:13]
	v_mov_b32_e32 v124, 0
	ds_read_b64 v[124:125], v124 offset:368
	s_waitcnt lgkmcnt(0)
	v_mul_f64 v[119:120], v[119:120], v[124:125]
	buffer_store_dword v120, off, s[0:3], 0 offset:372
	buffer_store_dword v119, off, s[0:3], 0 offset:368
.LBB122_116:
	;; [unrolled: 59-line block ×12, first 2 shown]
	s_or_b64 exec, exec, s[8:9]
	buffer_load_dword v119, off, s[0:3], 0 offset:280
	buffer_load_dword v120, off, s[0:3], 0 offset:284
	v_cmp_lt_u32_e64 s[4:5], 35, v0
	s_waitcnt vmcnt(0)
	ds_write_b64 v122, v[119:120]
	s_waitcnt lgkmcnt(0)
	; wave barrier
	s_and_saveexec_b64 s[8:9], s[4:5]
	s_cbranch_execz .LBB122_226
; %bb.217:
	s_andn2_b64 vcc, exec, s[10:11]
	s_cbranch_vccnz .LBB122_219
; %bb.218:
	buffer_load_dword v119, v123, s[0:3], 0 offen
	buffer_load_dword v120, v123, s[0:3], 0 offen offset:4
	ds_read_b64 v[124:125], v122
	s_waitcnt vmcnt(0) lgkmcnt(0)
	v_mul_f64 v[119:120], v[119:120], v[124:125]
	s_cbranch_execz .LBB122_220
	s_branch .LBB122_221
.LBB122_219:
                                        ; implicit-def: $vgpr119_vgpr120
.LBB122_220:
	ds_read_b64 v[119:120], v122
.LBB122_221:
	s_and_saveexec_b64 s[12:13], s[6:7]
	s_cbranch_execz .LBB122_225
; %bb.222:
	v_subrev_u32_e32 v124, 36, v0
	s_movk_i32 s51, 0x300
	s_mov_b64 s[6:7], 0
.LBB122_223:                            ; =>This Inner Loop Header: Depth=1
	v_mov_b32_e32 v127, s50
	buffer_load_dword v125, v127, s[0:3], 0 offen
	buffer_load_dword v126, v127, s[0:3], 0 offen offset:4
	v_mov_b32_e32 v127, s51
	ds_read_b64 v[127:128], v127
	v_add_u32_e32 v124, -1, v124
	s_add_i32 s51, s51, 8
	s_add_i32 s50, s50, 8
	v_cmp_eq_u32_e32 vcc, 0, v124
	s_or_b64 s[6:7], vcc, s[6:7]
	s_waitcnt vmcnt(0) lgkmcnt(0)
	v_fma_f64 v[119:120], v[125:126], v[127:128], v[119:120]
	s_andn2_b64 exec, exec, s[6:7]
	s_cbranch_execnz .LBB122_223
; %bb.224:
	s_or_b64 exec, exec, s[6:7]
.LBB122_225:
	s_or_b64 exec, exec, s[12:13]
	v_mov_b32_e32 v124, 0
	ds_read_b64 v[124:125], v124 offset:280
	s_waitcnt lgkmcnt(0)
	v_mul_f64 v[119:120], v[119:120], v[124:125]
	buffer_store_dword v120, off, s[0:3], 0 offset:284
	buffer_store_dword v119, off, s[0:3], 0 offset:280
.LBB122_226:
	s_or_b64 exec, exec, s[8:9]
	buffer_load_dword v119, off, s[0:3], 0 offset:272
	buffer_load_dword v120, off, s[0:3], 0 offset:276
	v_cmp_lt_u32_e64 s[6:7], 34, v0
	s_waitcnt vmcnt(0)
	ds_write_b64 v122, v[119:120]
	s_waitcnt lgkmcnt(0)
	; wave barrier
	s_and_saveexec_b64 s[8:9], s[6:7]
	s_cbranch_execz .LBB122_236
; %bb.227:
	s_andn2_b64 vcc, exec, s[10:11]
	s_cbranch_vccnz .LBB122_229
; %bb.228:
	buffer_load_dword v119, v123, s[0:3], 0 offen
	buffer_load_dword v120, v123, s[0:3], 0 offen offset:4
	ds_read_b64 v[124:125], v122
	s_waitcnt vmcnt(0) lgkmcnt(0)
	v_mul_f64 v[119:120], v[119:120], v[124:125]
	s_cbranch_execz .LBB122_230
	s_branch .LBB122_231
.LBB122_229:
                                        ; implicit-def: $vgpr119_vgpr120
.LBB122_230:
	ds_read_b64 v[119:120], v122
.LBB122_231:
	s_and_saveexec_b64 s[12:13], s[4:5]
	s_cbranch_execz .LBB122_235
; %bb.232:
	v_subrev_u32_e32 v124, 35, v0
	s_movk_i32 s50, 0x2f8
	s_mov_b64 s[4:5], 0
.LBB122_233:                            ; =>This Inner Loop Header: Depth=1
	v_mov_b32_e32 v127, s49
	buffer_load_dword v125, v127, s[0:3], 0 offen
	buffer_load_dword v126, v127, s[0:3], 0 offen offset:4
	v_mov_b32_e32 v127, s50
	ds_read_b64 v[127:128], v127
	v_add_u32_e32 v124, -1, v124
	s_add_i32 s50, s50, 8
	s_add_i32 s49, s49, 8
	v_cmp_eq_u32_e32 vcc, 0, v124
	s_or_b64 s[4:5], vcc, s[4:5]
	s_waitcnt vmcnt(0) lgkmcnt(0)
	v_fma_f64 v[119:120], v[125:126], v[127:128], v[119:120]
	s_andn2_b64 exec, exec, s[4:5]
	s_cbranch_execnz .LBB122_233
; %bb.234:
	s_or_b64 exec, exec, s[4:5]
.LBB122_235:
	s_or_b64 exec, exec, s[12:13]
	v_mov_b32_e32 v124, 0
	ds_read_b64 v[124:125], v124 offset:272
	s_waitcnt lgkmcnt(0)
	v_mul_f64 v[119:120], v[119:120], v[124:125]
	buffer_store_dword v120, off, s[0:3], 0 offset:276
	buffer_store_dword v119, off, s[0:3], 0 offset:272
.LBB122_236:
	;; [unrolled: 58-line block ×20, first 2 shown]
	s_or_b64 exec, exec, s[8:9]
	buffer_load_dword v119, off, s[0:3], 0 offset:120
	buffer_load_dword v120, off, s[0:3], 0 offset:124
	v_cmp_lt_u32_e64 s[4:5], 15, v0
	s_waitcnt vmcnt(0)
	ds_write_b64 v122, v[119:120]
	s_waitcnt lgkmcnt(0)
	; wave barrier
	s_and_saveexec_b64 s[8:9], s[4:5]
	s_cbranch_execz .LBB122_426
; %bb.417:
	s_andn2_b64 vcc, exec, s[10:11]
	s_cbranch_vccnz .LBB122_419
; %bb.418:
	buffer_load_dword v119, v123, s[0:3], 0 offen
	buffer_load_dword v120, v123, s[0:3], 0 offen offset:4
	ds_read_b64 v[124:125], v122
	s_waitcnt vmcnt(0) lgkmcnt(0)
	v_mul_f64 v[119:120], v[119:120], v[124:125]
	s_cbranch_execz .LBB122_420
	s_branch .LBB122_421
.LBB122_419:
                                        ; implicit-def: $vgpr119_vgpr120
.LBB122_420:
	ds_read_b64 v[119:120], v122
.LBB122_421:
	s_and_saveexec_b64 s[12:13], s[6:7]
	s_cbranch_execz .LBB122_425
; %bb.422:
	v_add_u32_e32 v124, -16, v0
	s_movk_i32 s30, 0x260
	s_mov_b64 s[6:7], 0
.LBB122_423:                            ; =>This Inner Loop Header: Depth=1
	v_mov_b32_e32 v127, s29
	buffer_load_dword v125, v127, s[0:3], 0 offen
	buffer_load_dword v126, v127, s[0:3], 0 offen offset:4
	v_mov_b32_e32 v127, s30
	ds_read_b64 v[127:128], v127
	v_add_u32_e32 v124, -1, v124
	s_add_i32 s30, s30, 8
	s_add_i32 s29, s29, 8
	v_cmp_eq_u32_e32 vcc, 0, v124
	s_or_b64 s[6:7], vcc, s[6:7]
	s_waitcnt vmcnt(0) lgkmcnt(0)
	v_fma_f64 v[119:120], v[125:126], v[127:128], v[119:120]
	s_andn2_b64 exec, exec, s[6:7]
	s_cbranch_execnz .LBB122_423
; %bb.424:
	s_or_b64 exec, exec, s[6:7]
.LBB122_425:
	s_or_b64 exec, exec, s[12:13]
	v_mov_b32_e32 v124, 0
	ds_read_b64 v[124:125], v124 offset:120
	s_waitcnt lgkmcnt(0)
	v_mul_f64 v[119:120], v[119:120], v[124:125]
	buffer_store_dword v120, off, s[0:3], 0 offset:124
	buffer_store_dword v119, off, s[0:3], 0 offset:120
.LBB122_426:
	s_or_b64 exec, exec, s[8:9]
	buffer_load_dword v119, off, s[0:3], 0 offset:112
	buffer_load_dword v120, off, s[0:3], 0 offset:116
	v_cmp_lt_u32_e64 s[6:7], 14, v0
	s_waitcnt vmcnt(0)
	ds_write_b64 v122, v[119:120]
	s_waitcnt lgkmcnt(0)
	; wave barrier
	s_and_saveexec_b64 s[8:9], s[6:7]
	s_cbranch_execz .LBB122_436
; %bb.427:
	s_andn2_b64 vcc, exec, s[10:11]
	s_cbranch_vccnz .LBB122_429
; %bb.428:
	buffer_load_dword v119, v123, s[0:3], 0 offen
	buffer_load_dword v120, v123, s[0:3], 0 offen offset:4
	ds_read_b64 v[124:125], v122
	s_waitcnt vmcnt(0) lgkmcnt(0)
	v_mul_f64 v[119:120], v[119:120], v[124:125]
	s_cbranch_execz .LBB122_430
	s_branch .LBB122_431
.LBB122_429:
                                        ; implicit-def: $vgpr119_vgpr120
.LBB122_430:
	ds_read_b64 v[119:120], v122
.LBB122_431:
	s_and_saveexec_b64 s[12:13], s[4:5]
	s_cbranch_execz .LBB122_435
; %bb.432:
	v_add_u32_e32 v124, -15, v0
	s_movk_i32 s29, 0x258
	s_mov_b64 s[4:5], 0
.LBB122_433:                            ; =>This Inner Loop Header: Depth=1
	v_mov_b32_e32 v127, s28
	buffer_load_dword v125, v127, s[0:3], 0 offen
	buffer_load_dword v126, v127, s[0:3], 0 offen offset:4
	v_mov_b32_e32 v127, s29
	ds_read_b64 v[127:128], v127
	v_add_u32_e32 v124, -1, v124
	s_add_i32 s29, s29, 8
	s_add_i32 s28, s28, 8
	v_cmp_eq_u32_e32 vcc, 0, v124
	s_or_b64 s[4:5], vcc, s[4:5]
	s_waitcnt vmcnt(0) lgkmcnt(0)
	v_fma_f64 v[119:120], v[125:126], v[127:128], v[119:120]
	s_andn2_b64 exec, exec, s[4:5]
	s_cbranch_execnz .LBB122_433
; %bb.434:
	s_or_b64 exec, exec, s[4:5]
.LBB122_435:
	s_or_b64 exec, exec, s[12:13]
	v_mov_b32_e32 v124, 0
	ds_read_b64 v[124:125], v124 offset:112
	s_waitcnt lgkmcnt(0)
	v_mul_f64 v[119:120], v[119:120], v[124:125]
	buffer_store_dword v120, off, s[0:3], 0 offset:116
	buffer_store_dword v119, off, s[0:3], 0 offset:112
.LBB122_436:
	s_or_b64 exec, exec, s[8:9]
	buffer_load_dword v119, off, s[0:3], 0 offset:104
	buffer_load_dword v120, off, s[0:3], 0 offset:108
	v_cmp_lt_u32_e64 s[4:5], 13, v0
	s_waitcnt vmcnt(0)
	ds_write_b64 v122, v[119:120]
	s_waitcnt lgkmcnt(0)
	; wave barrier
	s_and_saveexec_b64 s[8:9], s[4:5]
	s_cbranch_execz .LBB122_446
; %bb.437:
	s_andn2_b64 vcc, exec, s[10:11]
	s_cbranch_vccnz .LBB122_439
; %bb.438:
	buffer_load_dword v119, v123, s[0:3], 0 offen
	buffer_load_dword v120, v123, s[0:3], 0 offen offset:4
	ds_read_b64 v[124:125], v122
	s_waitcnt vmcnt(0) lgkmcnt(0)
	v_mul_f64 v[119:120], v[119:120], v[124:125]
	s_cbranch_execz .LBB122_440
	s_branch .LBB122_441
.LBB122_439:
                                        ; implicit-def: $vgpr119_vgpr120
.LBB122_440:
	ds_read_b64 v[119:120], v122
.LBB122_441:
	s_and_saveexec_b64 s[12:13], s[6:7]
	s_cbranch_execz .LBB122_445
; %bb.442:
	v_add_u32_e32 v124, -14, v0
	s_movk_i32 s28, 0x250
	s_mov_b64 s[6:7], 0
.LBB122_443:                            ; =>This Inner Loop Header: Depth=1
	v_mov_b32_e32 v127, s27
	buffer_load_dword v125, v127, s[0:3], 0 offen
	buffer_load_dword v126, v127, s[0:3], 0 offen offset:4
	v_mov_b32_e32 v127, s28
	ds_read_b64 v[127:128], v127
	v_add_u32_e32 v124, -1, v124
	s_add_i32 s28, s28, 8
	s_add_i32 s27, s27, 8
	v_cmp_eq_u32_e32 vcc, 0, v124
	s_or_b64 s[6:7], vcc, s[6:7]
	s_waitcnt vmcnt(0) lgkmcnt(0)
	v_fma_f64 v[119:120], v[125:126], v[127:128], v[119:120]
	s_andn2_b64 exec, exec, s[6:7]
	s_cbranch_execnz .LBB122_443
; %bb.444:
	s_or_b64 exec, exec, s[6:7]
.LBB122_445:
	s_or_b64 exec, exec, s[12:13]
	v_mov_b32_e32 v124, 0
	ds_read_b64 v[124:125], v124 offset:104
	s_waitcnt lgkmcnt(0)
	v_mul_f64 v[119:120], v[119:120], v[124:125]
	buffer_store_dword v120, off, s[0:3], 0 offset:108
	buffer_store_dword v119, off, s[0:3], 0 offset:104
.LBB122_446:
	s_or_b64 exec, exec, s[8:9]
	buffer_load_dword v119, off, s[0:3], 0 offset:96
	buffer_load_dword v120, off, s[0:3], 0 offset:100
	v_cmp_lt_u32_e64 s[6:7], 12, v0
	s_waitcnt vmcnt(0)
	ds_write_b64 v122, v[119:120]
	s_waitcnt lgkmcnt(0)
	; wave barrier
	s_and_saveexec_b64 s[8:9], s[6:7]
	s_cbranch_execz .LBB122_456
; %bb.447:
	s_andn2_b64 vcc, exec, s[10:11]
	s_cbranch_vccnz .LBB122_449
; %bb.448:
	buffer_load_dword v119, v123, s[0:3], 0 offen
	buffer_load_dword v120, v123, s[0:3], 0 offen offset:4
	ds_read_b64 v[124:125], v122
	s_waitcnt vmcnt(0) lgkmcnt(0)
	v_mul_f64 v[119:120], v[119:120], v[124:125]
	s_cbranch_execz .LBB122_450
	s_branch .LBB122_451
.LBB122_449:
                                        ; implicit-def: $vgpr119_vgpr120
.LBB122_450:
	ds_read_b64 v[119:120], v122
.LBB122_451:
	s_and_saveexec_b64 s[12:13], s[4:5]
	s_cbranch_execz .LBB122_455
; %bb.452:
	v_add_u32_e32 v124, -13, v0
	s_movk_i32 s27, 0x248
	s_mov_b64 s[4:5], 0
.LBB122_453:                            ; =>This Inner Loop Header: Depth=1
	v_mov_b32_e32 v127, s26
	buffer_load_dword v125, v127, s[0:3], 0 offen
	buffer_load_dword v126, v127, s[0:3], 0 offen offset:4
	v_mov_b32_e32 v127, s27
	ds_read_b64 v[127:128], v127
	v_add_u32_e32 v124, -1, v124
	s_add_i32 s27, s27, 8
	s_add_i32 s26, s26, 8
	v_cmp_eq_u32_e32 vcc, 0, v124
	s_or_b64 s[4:5], vcc, s[4:5]
	s_waitcnt vmcnt(0) lgkmcnt(0)
	v_fma_f64 v[119:120], v[125:126], v[127:128], v[119:120]
	s_andn2_b64 exec, exec, s[4:5]
	s_cbranch_execnz .LBB122_453
; %bb.454:
	s_or_b64 exec, exec, s[4:5]
.LBB122_455:
	s_or_b64 exec, exec, s[12:13]
	v_mov_b32_e32 v124, 0
	ds_read_b64 v[124:125], v124 offset:96
	s_waitcnt lgkmcnt(0)
	v_mul_f64 v[119:120], v[119:120], v[124:125]
	buffer_store_dword v120, off, s[0:3], 0 offset:100
	buffer_store_dword v119, off, s[0:3], 0 offset:96
.LBB122_456:
	s_or_b64 exec, exec, s[8:9]
	buffer_load_dword v119, off, s[0:3], 0 offset:88
	buffer_load_dword v120, off, s[0:3], 0 offset:92
	v_cmp_lt_u32_e64 s[4:5], 11, v0
	s_waitcnt vmcnt(0)
	ds_write_b64 v122, v[119:120]
	s_waitcnt lgkmcnt(0)
	; wave barrier
	s_and_saveexec_b64 s[8:9], s[4:5]
	s_cbranch_execz .LBB122_466
; %bb.457:
	s_andn2_b64 vcc, exec, s[10:11]
	s_cbranch_vccnz .LBB122_459
; %bb.458:
	buffer_load_dword v119, v123, s[0:3], 0 offen
	buffer_load_dword v120, v123, s[0:3], 0 offen offset:4
	ds_read_b64 v[124:125], v122
	s_waitcnt vmcnt(0) lgkmcnt(0)
	v_mul_f64 v[119:120], v[119:120], v[124:125]
	s_cbranch_execz .LBB122_460
	s_branch .LBB122_461
.LBB122_459:
                                        ; implicit-def: $vgpr119_vgpr120
.LBB122_460:
	ds_read_b64 v[119:120], v122
.LBB122_461:
	s_and_saveexec_b64 s[12:13], s[6:7]
	s_cbranch_execz .LBB122_465
; %bb.462:
	v_add_u32_e32 v124, -12, v0
	s_movk_i32 s26, 0x240
	s_mov_b64 s[6:7], 0
.LBB122_463:                            ; =>This Inner Loop Header: Depth=1
	v_mov_b32_e32 v127, s25
	buffer_load_dword v125, v127, s[0:3], 0 offen
	buffer_load_dword v126, v127, s[0:3], 0 offen offset:4
	v_mov_b32_e32 v127, s26
	ds_read_b64 v[127:128], v127
	v_add_u32_e32 v124, -1, v124
	s_add_i32 s26, s26, 8
	s_add_i32 s25, s25, 8
	v_cmp_eq_u32_e32 vcc, 0, v124
	s_or_b64 s[6:7], vcc, s[6:7]
	s_waitcnt vmcnt(0) lgkmcnt(0)
	v_fma_f64 v[119:120], v[125:126], v[127:128], v[119:120]
	s_andn2_b64 exec, exec, s[6:7]
	s_cbranch_execnz .LBB122_463
; %bb.464:
	s_or_b64 exec, exec, s[6:7]
.LBB122_465:
	s_or_b64 exec, exec, s[12:13]
	v_mov_b32_e32 v124, 0
	ds_read_b64 v[124:125], v124 offset:88
	s_waitcnt lgkmcnt(0)
	v_mul_f64 v[119:120], v[119:120], v[124:125]
	buffer_store_dword v120, off, s[0:3], 0 offset:92
	buffer_store_dword v119, off, s[0:3], 0 offset:88
.LBB122_466:
	s_or_b64 exec, exec, s[8:9]
	buffer_load_dword v119, off, s[0:3], 0 offset:80
	buffer_load_dword v120, off, s[0:3], 0 offset:84
	v_cmp_lt_u32_e64 s[6:7], 10, v0
	s_waitcnt vmcnt(0)
	ds_write_b64 v122, v[119:120]
	s_waitcnt lgkmcnt(0)
	; wave barrier
	s_and_saveexec_b64 s[8:9], s[6:7]
	s_cbranch_execz .LBB122_476
; %bb.467:
	s_andn2_b64 vcc, exec, s[10:11]
	s_cbranch_vccnz .LBB122_469
; %bb.468:
	buffer_load_dword v119, v123, s[0:3], 0 offen
	buffer_load_dword v120, v123, s[0:3], 0 offen offset:4
	ds_read_b64 v[124:125], v122
	s_waitcnt vmcnt(0) lgkmcnt(0)
	v_mul_f64 v[119:120], v[119:120], v[124:125]
	s_cbranch_execz .LBB122_470
	s_branch .LBB122_471
.LBB122_469:
                                        ; implicit-def: $vgpr119_vgpr120
.LBB122_470:
	ds_read_b64 v[119:120], v122
.LBB122_471:
	s_and_saveexec_b64 s[12:13], s[4:5]
	s_cbranch_execz .LBB122_475
; %bb.472:
	v_add_u32_e32 v124, -11, v0
	s_movk_i32 s25, 0x238
	s_mov_b64 s[4:5], 0
.LBB122_473:                            ; =>This Inner Loop Header: Depth=1
	v_mov_b32_e32 v127, s24
	buffer_load_dword v125, v127, s[0:3], 0 offen
	buffer_load_dword v126, v127, s[0:3], 0 offen offset:4
	v_mov_b32_e32 v127, s25
	ds_read_b64 v[127:128], v127
	v_add_u32_e32 v124, -1, v124
	s_add_i32 s25, s25, 8
	s_add_i32 s24, s24, 8
	v_cmp_eq_u32_e32 vcc, 0, v124
	s_or_b64 s[4:5], vcc, s[4:5]
	s_waitcnt vmcnt(0) lgkmcnt(0)
	v_fma_f64 v[119:120], v[125:126], v[127:128], v[119:120]
	s_andn2_b64 exec, exec, s[4:5]
	s_cbranch_execnz .LBB122_473
; %bb.474:
	s_or_b64 exec, exec, s[4:5]
.LBB122_475:
	s_or_b64 exec, exec, s[12:13]
	v_mov_b32_e32 v124, 0
	ds_read_b64 v[124:125], v124 offset:80
	s_waitcnt lgkmcnt(0)
	v_mul_f64 v[119:120], v[119:120], v[124:125]
	buffer_store_dword v120, off, s[0:3], 0 offset:84
	buffer_store_dword v119, off, s[0:3], 0 offset:80
.LBB122_476:
	s_or_b64 exec, exec, s[8:9]
	buffer_load_dword v119, off, s[0:3], 0 offset:72
	buffer_load_dword v120, off, s[0:3], 0 offset:76
	v_cmp_lt_u32_e64 s[4:5], 9, v0
	s_waitcnt vmcnt(0)
	ds_write_b64 v122, v[119:120]
	s_waitcnt lgkmcnt(0)
	; wave barrier
	s_and_saveexec_b64 s[8:9], s[4:5]
	s_cbranch_execz .LBB122_486
; %bb.477:
	s_andn2_b64 vcc, exec, s[10:11]
	s_cbranch_vccnz .LBB122_479
; %bb.478:
	buffer_load_dword v119, v123, s[0:3], 0 offen
	buffer_load_dword v120, v123, s[0:3], 0 offen offset:4
	ds_read_b64 v[124:125], v122
	s_waitcnt vmcnt(0) lgkmcnt(0)
	v_mul_f64 v[119:120], v[119:120], v[124:125]
	s_cbranch_execz .LBB122_480
	s_branch .LBB122_481
.LBB122_479:
                                        ; implicit-def: $vgpr119_vgpr120
.LBB122_480:
	ds_read_b64 v[119:120], v122
.LBB122_481:
	s_and_saveexec_b64 s[12:13], s[6:7]
	s_cbranch_execz .LBB122_485
; %bb.482:
	v_add_u32_e32 v124, -10, v0
	s_movk_i32 s24, 0x230
	s_mov_b64 s[6:7], 0
.LBB122_483:                            ; =>This Inner Loop Header: Depth=1
	v_mov_b32_e32 v127, s23
	buffer_load_dword v125, v127, s[0:3], 0 offen
	buffer_load_dword v126, v127, s[0:3], 0 offen offset:4
	v_mov_b32_e32 v127, s24
	ds_read_b64 v[127:128], v127
	v_add_u32_e32 v124, -1, v124
	s_add_i32 s24, s24, 8
	s_add_i32 s23, s23, 8
	v_cmp_eq_u32_e32 vcc, 0, v124
	s_or_b64 s[6:7], vcc, s[6:7]
	s_waitcnt vmcnt(0) lgkmcnt(0)
	v_fma_f64 v[119:120], v[125:126], v[127:128], v[119:120]
	s_andn2_b64 exec, exec, s[6:7]
	s_cbranch_execnz .LBB122_483
; %bb.484:
	s_or_b64 exec, exec, s[6:7]
.LBB122_485:
	s_or_b64 exec, exec, s[12:13]
	v_mov_b32_e32 v124, 0
	ds_read_b64 v[124:125], v124 offset:72
	s_waitcnt lgkmcnt(0)
	v_mul_f64 v[119:120], v[119:120], v[124:125]
	buffer_store_dword v120, off, s[0:3], 0 offset:76
	buffer_store_dword v119, off, s[0:3], 0 offset:72
.LBB122_486:
	s_or_b64 exec, exec, s[8:9]
	buffer_load_dword v119, off, s[0:3], 0 offset:64
	buffer_load_dword v120, off, s[0:3], 0 offset:68
	v_cmp_lt_u32_e64 s[6:7], 8, v0
	s_waitcnt vmcnt(0)
	ds_write_b64 v122, v[119:120]
	s_waitcnt lgkmcnt(0)
	; wave barrier
	s_and_saveexec_b64 s[8:9], s[6:7]
	s_cbranch_execz .LBB122_496
; %bb.487:
	s_andn2_b64 vcc, exec, s[10:11]
	s_cbranch_vccnz .LBB122_489
; %bb.488:
	buffer_load_dword v119, v123, s[0:3], 0 offen
	buffer_load_dword v120, v123, s[0:3], 0 offen offset:4
	ds_read_b64 v[124:125], v122
	s_waitcnt vmcnt(0) lgkmcnt(0)
	v_mul_f64 v[119:120], v[119:120], v[124:125]
	s_cbranch_execz .LBB122_490
	s_branch .LBB122_491
.LBB122_489:
                                        ; implicit-def: $vgpr119_vgpr120
.LBB122_490:
	ds_read_b64 v[119:120], v122
.LBB122_491:
	s_and_saveexec_b64 s[12:13], s[4:5]
	s_cbranch_execz .LBB122_495
; %bb.492:
	v_add_u32_e32 v124, -9, v0
	s_movk_i32 s23, 0x228
	s_mov_b64 s[4:5], 0
.LBB122_493:                            ; =>This Inner Loop Header: Depth=1
	v_mov_b32_e32 v127, s22
	buffer_load_dword v125, v127, s[0:3], 0 offen
	buffer_load_dword v126, v127, s[0:3], 0 offen offset:4
	v_mov_b32_e32 v127, s23
	ds_read_b64 v[127:128], v127
	v_add_u32_e32 v124, -1, v124
	s_add_i32 s23, s23, 8
	s_add_i32 s22, s22, 8
	v_cmp_eq_u32_e32 vcc, 0, v124
	s_or_b64 s[4:5], vcc, s[4:5]
	s_waitcnt vmcnt(0) lgkmcnt(0)
	v_fma_f64 v[119:120], v[125:126], v[127:128], v[119:120]
	s_andn2_b64 exec, exec, s[4:5]
	s_cbranch_execnz .LBB122_493
; %bb.494:
	s_or_b64 exec, exec, s[4:5]
.LBB122_495:
	s_or_b64 exec, exec, s[12:13]
	v_mov_b32_e32 v124, 0
	ds_read_b64 v[124:125], v124 offset:64
	s_waitcnt lgkmcnt(0)
	v_mul_f64 v[119:120], v[119:120], v[124:125]
	buffer_store_dword v120, off, s[0:3], 0 offset:68
	buffer_store_dword v119, off, s[0:3], 0 offset:64
.LBB122_496:
	s_or_b64 exec, exec, s[8:9]
	buffer_load_dword v119, off, s[0:3], 0 offset:56
	buffer_load_dword v120, off, s[0:3], 0 offset:60
	v_cmp_lt_u32_e64 s[4:5], 7, v0
	s_waitcnt vmcnt(0)
	ds_write_b64 v122, v[119:120]
	s_waitcnt lgkmcnt(0)
	; wave barrier
	s_and_saveexec_b64 s[8:9], s[4:5]
	s_cbranch_execz .LBB122_506
; %bb.497:
	s_andn2_b64 vcc, exec, s[10:11]
	s_cbranch_vccnz .LBB122_499
; %bb.498:
	buffer_load_dword v119, v123, s[0:3], 0 offen
	buffer_load_dword v120, v123, s[0:3], 0 offen offset:4
	ds_read_b64 v[124:125], v122
	s_waitcnt vmcnt(0) lgkmcnt(0)
	v_mul_f64 v[119:120], v[119:120], v[124:125]
	s_cbranch_execz .LBB122_500
	s_branch .LBB122_501
.LBB122_499:
                                        ; implicit-def: $vgpr119_vgpr120
.LBB122_500:
	ds_read_b64 v[119:120], v122
.LBB122_501:
	s_and_saveexec_b64 s[12:13], s[6:7]
	s_cbranch_execz .LBB122_505
; %bb.502:
	v_add_u32_e32 v124, -8, v0
	s_movk_i32 s22, 0x220
	s_mov_b64 s[6:7], 0
.LBB122_503:                            ; =>This Inner Loop Header: Depth=1
	v_mov_b32_e32 v127, s21
	buffer_load_dword v125, v127, s[0:3], 0 offen
	buffer_load_dword v126, v127, s[0:3], 0 offen offset:4
	v_mov_b32_e32 v127, s22
	ds_read_b64 v[127:128], v127
	v_add_u32_e32 v124, -1, v124
	s_add_i32 s22, s22, 8
	s_add_i32 s21, s21, 8
	v_cmp_eq_u32_e32 vcc, 0, v124
	s_or_b64 s[6:7], vcc, s[6:7]
	s_waitcnt vmcnt(0) lgkmcnt(0)
	v_fma_f64 v[119:120], v[125:126], v[127:128], v[119:120]
	s_andn2_b64 exec, exec, s[6:7]
	s_cbranch_execnz .LBB122_503
; %bb.504:
	s_or_b64 exec, exec, s[6:7]
.LBB122_505:
	s_or_b64 exec, exec, s[12:13]
	v_mov_b32_e32 v124, 0
	ds_read_b64 v[124:125], v124 offset:56
	s_waitcnt lgkmcnt(0)
	v_mul_f64 v[119:120], v[119:120], v[124:125]
	buffer_store_dword v120, off, s[0:3], 0 offset:60
	buffer_store_dword v119, off, s[0:3], 0 offset:56
.LBB122_506:
	s_or_b64 exec, exec, s[8:9]
	buffer_load_dword v119, off, s[0:3], 0 offset:48
	buffer_load_dword v120, off, s[0:3], 0 offset:52
	v_cmp_lt_u32_e64 s[6:7], 6, v0
	s_waitcnt vmcnt(0)
	ds_write_b64 v122, v[119:120]
	s_waitcnt lgkmcnt(0)
	; wave barrier
	s_and_saveexec_b64 s[8:9], s[6:7]
	s_cbranch_execz .LBB122_516
; %bb.507:
	s_andn2_b64 vcc, exec, s[10:11]
	s_cbranch_vccnz .LBB122_509
; %bb.508:
	buffer_load_dword v119, v123, s[0:3], 0 offen
	buffer_load_dword v120, v123, s[0:3], 0 offen offset:4
	ds_read_b64 v[124:125], v122
	s_waitcnt vmcnt(0) lgkmcnt(0)
	v_mul_f64 v[119:120], v[119:120], v[124:125]
	s_cbranch_execz .LBB122_510
	s_branch .LBB122_511
.LBB122_509:
                                        ; implicit-def: $vgpr119_vgpr120
.LBB122_510:
	ds_read_b64 v[119:120], v122
.LBB122_511:
	s_and_saveexec_b64 s[12:13], s[4:5]
	s_cbranch_execz .LBB122_515
; %bb.512:
	v_add_u32_e32 v124, -7, v0
	s_movk_i32 s21, 0x218
	s_mov_b64 s[4:5], 0
.LBB122_513:                            ; =>This Inner Loop Header: Depth=1
	v_mov_b32_e32 v127, s20
	buffer_load_dword v125, v127, s[0:3], 0 offen
	buffer_load_dword v126, v127, s[0:3], 0 offen offset:4
	v_mov_b32_e32 v127, s21
	ds_read_b64 v[127:128], v127
	v_add_u32_e32 v124, -1, v124
	s_add_i32 s21, s21, 8
	s_add_i32 s20, s20, 8
	v_cmp_eq_u32_e32 vcc, 0, v124
	s_or_b64 s[4:5], vcc, s[4:5]
	s_waitcnt vmcnt(0) lgkmcnt(0)
	v_fma_f64 v[119:120], v[125:126], v[127:128], v[119:120]
	s_andn2_b64 exec, exec, s[4:5]
	s_cbranch_execnz .LBB122_513
; %bb.514:
	s_or_b64 exec, exec, s[4:5]
.LBB122_515:
	s_or_b64 exec, exec, s[12:13]
	v_mov_b32_e32 v124, 0
	ds_read_b64 v[124:125], v124 offset:48
	s_waitcnt lgkmcnt(0)
	v_mul_f64 v[119:120], v[119:120], v[124:125]
	buffer_store_dword v120, off, s[0:3], 0 offset:52
	buffer_store_dword v119, off, s[0:3], 0 offset:48
.LBB122_516:
	s_or_b64 exec, exec, s[8:9]
	buffer_load_dword v119, off, s[0:3], 0 offset:40
	buffer_load_dword v120, off, s[0:3], 0 offset:44
	v_cmp_lt_u32_e64 s[4:5], 5, v0
	s_waitcnt vmcnt(0)
	ds_write_b64 v122, v[119:120]
	s_waitcnt lgkmcnt(0)
	; wave barrier
	s_and_saveexec_b64 s[8:9], s[4:5]
	s_cbranch_execz .LBB122_526
; %bb.517:
	s_andn2_b64 vcc, exec, s[10:11]
	s_cbranch_vccnz .LBB122_519
; %bb.518:
	buffer_load_dword v119, v123, s[0:3], 0 offen
	buffer_load_dword v120, v123, s[0:3], 0 offen offset:4
	ds_read_b64 v[124:125], v122
	s_waitcnt vmcnt(0) lgkmcnt(0)
	v_mul_f64 v[119:120], v[119:120], v[124:125]
	s_cbranch_execz .LBB122_520
	s_branch .LBB122_521
.LBB122_519:
                                        ; implicit-def: $vgpr119_vgpr120
.LBB122_520:
	ds_read_b64 v[119:120], v122
.LBB122_521:
	s_and_saveexec_b64 s[12:13], s[6:7]
	s_cbranch_execz .LBB122_525
; %bb.522:
	v_add_u32_e32 v124, -6, v0
	s_movk_i32 s20, 0x210
	s_mov_b64 s[6:7], 0
.LBB122_523:                            ; =>This Inner Loop Header: Depth=1
	v_mov_b32_e32 v127, s19
	buffer_load_dword v125, v127, s[0:3], 0 offen
	buffer_load_dword v126, v127, s[0:3], 0 offen offset:4
	v_mov_b32_e32 v127, s20
	ds_read_b64 v[127:128], v127
	v_add_u32_e32 v124, -1, v124
	s_add_i32 s20, s20, 8
	s_add_i32 s19, s19, 8
	v_cmp_eq_u32_e32 vcc, 0, v124
	s_or_b64 s[6:7], vcc, s[6:7]
	s_waitcnt vmcnt(0) lgkmcnt(0)
	v_fma_f64 v[119:120], v[125:126], v[127:128], v[119:120]
	s_andn2_b64 exec, exec, s[6:7]
	s_cbranch_execnz .LBB122_523
; %bb.524:
	s_or_b64 exec, exec, s[6:7]
.LBB122_525:
	s_or_b64 exec, exec, s[12:13]
	v_mov_b32_e32 v124, 0
	ds_read_b64 v[124:125], v124 offset:40
	s_waitcnt lgkmcnt(0)
	v_mul_f64 v[119:120], v[119:120], v[124:125]
	buffer_store_dword v120, off, s[0:3], 0 offset:44
	buffer_store_dword v119, off, s[0:3], 0 offset:40
.LBB122_526:
	s_or_b64 exec, exec, s[8:9]
	buffer_load_dword v119, off, s[0:3], 0 offset:32
	buffer_load_dword v120, off, s[0:3], 0 offset:36
	v_cmp_lt_u32_e64 s[6:7], 4, v0
	s_waitcnt vmcnt(0)
	ds_write_b64 v122, v[119:120]
	s_waitcnt lgkmcnt(0)
	; wave barrier
	s_and_saveexec_b64 s[8:9], s[6:7]
	s_cbranch_execz .LBB122_536
; %bb.527:
	s_andn2_b64 vcc, exec, s[10:11]
	s_cbranch_vccnz .LBB122_529
; %bb.528:
	buffer_load_dword v119, v123, s[0:3], 0 offen
	buffer_load_dword v120, v123, s[0:3], 0 offen offset:4
	ds_read_b64 v[124:125], v122
	s_waitcnt vmcnt(0) lgkmcnt(0)
	v_mul_f64 v[119:120], v[119:120], v[124:125]
	s_cbranch_execz .LBB122_530
	s_branch .LBB122_531
.LBB122_529:
                                        ; implicit-def: $vgpr119_vgpr120
.LBB122_530:
	ds_read_b64 v[119:120], v122
.LBB122_531:
	s_and_saveexec_b64 s[12:13], s[4:5]
	s_cbranch_execz .LBB122_535
; %bb.532:
	v_add_u32_e32 v124, -5, v0
	s_movk_i32 s19, 0x208
	s_mov_b64 s[4:5], 0
.LBB122_533:                            ; =>This Inner Loop Header: Depth=1
	v_mov_b32_e32 v127, s18
	buffer_load_dword v125, v127, s[0:3], 0 offen
	buffer_load_dword v126, v127, s[0:3], 0 offen offset:4
	v_mov_b32_e32 v127, s19
	ds_read_b64 v[127:128], v127
	v_add_u32_e32 v124, -1, v124
	s_add_i32 s19, s19, 8
	s_add_i32 s18, s18, 8
	v_cmp_eq_u32_e32 vcc, 0, v124
	s_or_b64 s[4:5], vcc, s[4:5]
	s_waitcnt vmcnt(0) lgkmcnt(0)
	v_fma_f64 v[119:120], v[125:126], v[127:128], v[119:120]
	s_andn2_b64 exec, exec, s[4:5]
	s_cbranch_execnz .LBB122_533
; %bb.534:
	s_or_b64 exec, exec, s[4:5]
.LBB122_535:
	s_or_b64 exec, exec, s[12:13]
	v_mov_b32_e32 v124, 0
	ds_read_b64 v[124:125], v124 offset:32
	s_waitcnt lgkmcnt(0)
	v_mul_f64 v[119:120], v[119:120], v[124:125]
	buffer_store_dword v120, off, s[0:3], 0 offset:36
	buffer_store_dword v119, off, s[0:3], 0 offset:32
.LBB122_536:
	s_or_b64 exec, exec, s[8:9]
	buffer_load_dword v119, off, s[0:3], 0 offset:24
	buffer_load_dword v120, off, s[0:3], 0 offset:28
	v_cmp_lt_u32_e64 s[4:5], 3, v0
	s_waitcnt vmcnt(0)
	ds_write_b64 v122, v[119:120]
	s_waitcnt lgkmcnt(0)
	; wave barrier
	s_and_saveexec_b64 s[8:9], s[4:5]
	s_cbranch_execz .LBB122_546
; %bb.537:
	s_andn2_b64 vcc, exec, s[10:11]
	s_cbranch_vccnz .LBB122_539
; %bb.538:
	buffer_load_dword v119, v123, s[0:3], 0 offen
	buffer_load_dword v120, v123, s[0:3], 0 offen offset:4
	ds_read_b64 v[124:125], v122
	s_waitcnt vmcnt(0) lgkmcnt(0)
	v_mul_f64 v[119:120], v[119:120], v[124:125]
	s_cbranch_execz .LBB122_540
	s_branch .LBB122_541
.LBB122_539:
                                        ; implicit-def: $vgpr119_vgpr120
.LBB122_540:
	ds_read_b64 v[119:120], v122
.LBB122_541:
	s_and_saveexec_b64 s[12:13], s[6:7]
	s_cbranch_execz .LBB122_545
; %bb.542:
	v_add_u32_e32 v124, -4, v0
	s_movk_i32 s18, 0x200
	s_mov_b64 s[6:7], 0
.LBB122_543:                            ; =>This Inner Loop Header: Depth=1
	v_mov_b32_e32 v127, s17
	buffer_load_dword v125, v127, s[0:3], 0 offen
	buffer_load_dword v126, v127, s[0:3], 0 offen offset:4
	v_mov_b32_e32 v127, s18
	ds_read_b64 v[127:128], v127
	v_add_u32_e32 v124, -1, v124
	s_add_i32 s18, s18, 8
	s_add_i32 s17, s17, 8
	v_cmp_eq_u32_e32 vcc, 0, v124
	s_or_b64 s[6:7], vcc, s[6:7]
	s_waitcnt vmcnt(0) lgkmcnt(0)
	v_fma_f64 v[119:120], v[125:126], v[127:128], v[119:120]
	s_andn2_b64 exec, exec, s[6:7]
	s_cbranch_execnz .LBB122_543
; %bb.544:
	s_or_b64 exec, exec, s[6:7]
.LBB122_545:
	s_or_b64 exec, exec, s[12:13]
	v_mov_b32_e32 v124, 0
	ds_read_b64 v[124:125], v124 offset:24
	s_waitcnt lgkmcnt(0)
	v_mul_f64 v[119:120], v[119:120], v[124:125]
	buffer_store_dword v120, off, s[0:3], 0 offset:28
	buffer_store_dword v119, off, s[0:3], 0 offset:24
.LBB122_546:
	s_or_b64 exec, exec, s[8:9]
	buffer_load_dword v119, off, s[0:3], 0 offset:16
	buffer_load_dword v120, off, s[0:3], 0 offset:20
	v_cmp_lt_u32_e64 s[6:7], 2, v0
	s_waitcnt vmcnt(0)
	ds_write_b64 v122, v[119:120]
	s_waitcnt lgkmcnt(0)
	; wave barrier
	s_and_saveexec_b64 s[8:9], s[6:7]
	s_cbranch_execz .LBB122_556
; %bb.547:
	s_andn2_b64 vcc, exec, s[10:11]
	s_cbranch_vccnz .LBB122_549
; %bb.548:
	buffer_load_dword v119, v123, s[0:3], 0 offen
	buffer_load_dword v120, v123, s[0:3], 0 offen offset:4
	ds_read_b64 v[124:125], v122
	s_waitcnt vmcnt(0) lgkmcnt(0)
	v_mul_f64 v[119:120], v[119:120], v[124:125]
	s_cbranch_execz .LBB122_550
	s_branch .LBB122_551
.LBB122_549:
                                        ; implicit-def: $vgpr119_vgpr120
.LBB122_550:
	ds_read_b64 v[119:120], v122
.LBB122_551:
	s_and_saveexec_b64 s[12:13], s[4:5]
	s_cbranch_execz .LBB122_555
; %bb.552:
	v_add_u32_e32 v124, -3, v0
	s_movk_i32 s17, 0x1f8
	s_mov_b64 s[4:5], 0
.LBB122_553:                            ; =>This Inner Loop Header: Depth=1
	v_mov_b32_e32 v127, s16
	buffer_load_dword v125, v127, s[0:3], 0 offen
	buffer_load_dword v126, v127, s[0:3], 0 offen offset:4
	v_mov_b32_e32 v127, s17
	ds_read_b64 v[127:128], v127
	v_add_u32_e32 v124, -1, v124
	s_add_i32 s17, s17, 8
	s_add_i32 s16, s16, 8
	v_cmp_eq_u32_e32 vcc, 0, v124
	s_or_b64 s[4:5], vcc, s[4:5]
	s_waitcnt vmcnt(0) lgkmcnt(0)
	v_fma_f64 v[119:120], v[125:126], v[127:128], v[119:120]
	s_andn2_b64 exec, exec, s[4:5]
	s_cbranch_execnz .LBB122_553
; %bb.554:
	s_or_b64 exec, exec, s[4:5]
.LBB122_555:
	s_or_b64 exec, exec, s[12:13]
	v_mov_b32_e32 v124, 0
	ds_read_b64 v[124:125], v124 offset:16
	s_waitcnt lgkmcnt(0)
	v_mul_f64 v[119:120], v[119:120], v[124:125]
	buffer_store_dword v120, off, s[0:3], 0 offset:20
	buffer_store_dword v119, off, s[0:3], 0 offset:16
.LBB122_556:
	s_or_b64 exec, exec, s[8:9]
	buffer_load_dword v119, off, s[0:3], 0 offset:8
	buffer_load_dword v120, off, s[0:3], 0 offset:12
	v_cmp_lt_u32_e64 s[4:5], 1, v0
	s_waitcnt vmcnt(0)
	ds_write_b64 v122, v[119:120]
	s_waitcnt lgkmcnt(0)
	; wave barrier
	s_and_saveexec_b64 s[8:9], s[4:5]
	s_cbranch_execz .LBB122_566
; %bb.557:
	s_andn2_b64 vcc, exec, s[10:11]
	s_cbranch_vccnz .LBB122_559
; %bb.558:
	buffer_load_dword v119, v123, s[0:3], 0 offen
	buffer_load_dword v120, v123, s[0:3], 0 offen offset:4
	ds_read_b64 v[124:125], v122
	s_waitcnt vmcnt(0) lgkmcnt(0)
	v_mul_f64 v[119:120], v[119:120], v[124:125]
	s_cbranch_execz .LBB122_560
	s_branch .LBB122_561
.LBB122_559:
                                        ; implicit-def: $vgpr119_vgpr120
.LBB122_560:
	ds_read_b64 v[119:120], v122
.LBB122_561:
	s_and_saveexec_b64 s[12:13], s[6:7]
	s_cbranch_execz .LBB122_565
; %bb.562:
	v_add_u32_e32 v124, -2, v0
	s_movk_i32 s16, 0x1f0
	s_mov_b64 s[6:7], 0
.LBB122_563:                            ; =>This Inner Loop Header: Depth=1
	v_mov_b32_e32 v127, s15
	buffer_load_dword v125, v127, s[0:3], 0 offen
	buffer_load_dword v126, v127, s[0:3], 0 offen offset:4
	v_mov_b32_e32 v127, s16
	ds_read_b64 v[127:128], v127
	v_add_u32_e32 v124, -1, v124
	s_add_i32 s16, s16, 8
	s_add_i32 s15, s15, 8
	v_cmp_eq_u32_e32 vcc, 0, v124
	s_or_b64 s[6:7], vcc, s[6:7]
	s_waitcnt vmcnt(0) lgkmcnt(0)
	v_fma_f64 v[119:120], v[125:126], v[127:128], v[119:120]
	s_andn2_b64 exec, exec, s[6:7]
	s_cbranch_execnz .LBB122_563
; %bb.564:
	s_or_b64 exec, exec, s[6:7]
.LBB122_565:
	s_or_b64 exec, exec, s[12:13]
	v_mov_b32_e32 v124, 0
	ds_read_b64 v[124:125], v124 offset:8
	s_waitcnt lgkmcnt(0)
	v_mul_f64 v[119:120], v[119:120], v[124:125]
	buffer_store_dword v120, off, s[0:3], 0 offset:12
	buffer_store_dword v119, off, s[0:3], 0 offset:8
.LBB122_566:
	s_or_b64 exec, exec, s[8:9]
	buffer_load_dword v119, off, s[0:3], 0
	buffer_load_dword v120, off, s[0:3], 0 offset:4
	v_cmp_ne_u32_e32 vcc, 0, v0
	s_waitcnt vmcnt(0)
	ds_write_b64 v122, v[119:120]
	s_waitcnt lgkmcnt(0)
	; wave barrier
	s_and_saveexec_b64 s[6:7], vcc
	s_cbranch_execz .LBB122_576
; %bb.567:
	s_andn2_b64 vcc, exec, s[10:11]
	s_cbranch_vccnz .LBB122_569
; %bb.568:
	buffer_load_dword v119, v123, s[0:3], 0 offen
	buffer_load_dword v120, v123, s[0:3], 0 offen offset:4
	ds_read_b64 v[124:125], v122
	s_waitcnt vmcnt(0) lgkmcnt(0)
	v_mul_f64 v[119:120], v[119:120], v[124:125]
	s_cbranch_execz .LBB122_570
	s_branch .LBB122_571
.LBB122_569:
                                        ; implicit-def: $vgpr119_vgpr120
.LBB122_570:
	ds_read_b64 v[119:120], v122
.LBB122_571:
	s_and_saveexec_b64 s[8:9], s[4:5]
	s_cbranch_execz .LBB122_575
; %bb.572:
	v_add_u32_e32 v124, -1, v0
	s_movk_i32 s12, 0x1e8
	s_mov_b64 s[4:5], 0
.LBB122_573:                            ; =>This Inner Loop Header: Depth=1
	v_mov_b32_e32 v127, s14
	buffer_load_dword v125, v127, s[0:3], 0 offen
	buffer_load_dword v126, v127, s[0:3], 0 offen offset:4
	v_mov_b32_e32 v127, s12
	ds_read_b64 v[127:128], v127
	v_add_u32_e32 v124, -1, v124
	s_add_i32 s12, s12, 8
	s_add_i32 s14, s14, 8
	v_cmp_eq_u32_e32 vcc, 0, v124
	s_or_b64 s[4:5], vcc, s[4:5]
	s_waitcnt vmcnt(0) lgkmcnt(0)
	v_fma_f64 v[119:120], v[125:126], v[127:128], v[119:120]
	s_andn2_b64 exec, exec, s[4:5]
	s_cbranch_execnz .LBB122_573
; %bb.574:
	s_or_b64 exec, exec, s[4:5]
.LBB122_575:
	s_or_b64 exec, exec, s[8:9]
	v_mov_b32_e32 v124, 0
	ds_read_b64 v[124:125], v124
	s_waitcnt lgkmcnt(0)
	v_mul_f64 v[119:120], v[119:120], v[124:125]
	buffer_store_dword v120, off, s[0:3], 0 offset:4
	buffer_store_dword v119, off, s[0:3], 0
.LBB122_576:
	s_or_b64 exec, exec, s[6:7]
	s_mov_b64 s[4:5], 0
.LBB122_577:
	s_and_b64 vcc, exec, s[4:5]
	s_cbranch_vccz .LBB122_1149
; %bb.578:
	buffer_load_dword v119, off, s[0:3], 0 offset:8
	buffer_load_dword v120, off, s[0:3], 0 offset:12
	v_cmp_eq_u32_e64 s[6:7], 0, v0
	s_waitcnt vmcnt(0)
	ds_write_b64 v122, v[119:120]
	s_waitcnt lgkmcnt(0)
	; wave barrier
	s_and_saveexec_b64 s[4:5], s[6:7]
	s_cbranch_execz .LBB122_584
; %bb.579:
	s_and_b64 vcc, exec, s[10:11]
	s_cbranch_vccz .LBB122_581
; %bb.580:
	buffer_load_dword v119, v123, s[0:3], 0 offen
	buffer_load_dword v120, v123, s[0:3], 0 offen offset:4
	ds_read_b64 v[124:125], v122
	s_waitcnt vmcnt(0) lgkmcnt(0)
	v_mul_f64 v[119:120], v[119:120], v[124:125]
	s_cbranch_execz .LBB122_582
	s_branch .LBB122_583
.LBB122_581:
                                        ; implicit-def: $vgpr119_vgpr120
.LBB122_582:
	ds_read_b64 v[119:120], v122
.LBB122_583:
	v_mov_b32_e32 v124, 0
	ds_read_b64 v[124:125], v124 offset:8
	s_waitcnt lgkmcnt(0)
	v_mul_f64 v[119:120], v[119:120], v[124:125]
	buffer_store_dword v120, off, s[0:3], 0 offset:12
	buffer_store_dword v119, off, s[0:3], 0 offset:8
.LBB122_584:
	s_or_b64 exec, exec, s[4:5]
	buffer_load_dword v119, off, s[0:3], 0 offset:16
	buffer_load_dword v120, off, s[0:3], 0 offset:20
	v_cndmask_b32_e64 v124, 0, 1, s[10:11]
	v_cmp_gt_u32_e32 vcc, 2, v0
	v_cmp_ne_u32_e64 s[4:5], 1, v124
	s_waitcnt vmcnt(0)
	ds_write_b64 v122, v[119:120]
	s_waitcnt lgkmcnt(0)
	; wave barrier
	s_and_saveexec_b64 s[8:9], vcc
	s_cbranch_execz .LBB122_590
; %bb.585:
	s_and_b64 vcc, exec, s[4:5]
	s_cbranch_vccnz .LBB122_587
; %bb.586:
	buffer_load_dword v119, v123, s[0:3], 0 offen
	buffer_load_dword v120, v123, s[0:3], 0 offen offset:4
	ds_read_b64 v[124:125], v122
	s_waitcnt vmcnt(0) lgkmcnt(0)
	v_mul_f64 v[119:120], v[119:120], v[124:125]
	s_cbranch_execz .LBB122_588
	s_branch .LBB122_589
.LBB122_587:
                                        ; implicit-def: $vgpr119_vgpr120
.LBB122_588:
	ds_read_b64 v[119:120], v122
.LBB122_589:
	buffer_load_dword v128, off, s[0:3], 0 offset:8
	buffer_load_dword v129, off, s[0:3], 0 offset:12
	v_mov_b32_e32 v124, 0
	ds_read2_b64 v[124:127], v124 offset0:2 offset1:61
	s_waitcnt vmcnt(0) lgkmcnt(0)
	v_fma_f64 v[126:127], v[128:129], v[126:127], v[119:120]
	v_cndmask_b32_e64 v120, v120, v127, s[6:7]
	v_cndmask_b32_e64 v119, v119, v126, s[6:7]
	v_mul_f64 v[119:120], v[119:120], v[124:125]
	buffer_store_dword v120, off, s[0:3], 0 offset:20
	buffer_store_dword v119, off, s[0:3], 0 offset:16
.LBB122_590:
	s_or_b64 exec, exec, s[8:9]
	buffer_load_dword v119, off, s[0:3], 0 offset:24
	buffer_load_dword v120, off, s[0:3], 0 offset:28
	v_cmp_gt_u32_e32 vcc, 3, v0
	s_waitcnt vmcnt(0)
	ds_write_b64 v122, v[119:120]
	s_waitcnt lgkmcnt(0)
	; wave barrier
	s_and_saveexec_b64 s[8:9], vcc
	s_cbranch_execz .LBB122_598
; %bb.591:
	s_and_b64 vcc, exec, s[4:5]
	s_cbranch_vccnz .LBB122_593
; %bb.592:
	buffer_load_dword v119, v123, s[0:3], 0 offen
	buffer_load_dword v120, v123, s[0:3], 0 offen offset:4
	ds_read_b64 v[124:125], v122
	s_waitcnt vmcnt(0) lgkmcnt(0)
	v_mul_f64 v[119:120], v[119:120], v[124:125]
	s_cbranch_execz .LBB122_594
	s_branch .LBB122_595
.LBB122_593:
                                        ; implicit-def: $vgpr119_vgpr120
.LBB122_594:
	ds_read_b64 v[119:120], v122
.LBB122_595:
	v_cmp_ne_u32_e32 vcc, 2, v0
	s_and_saveexec_b64 s[10:11], vcc
	s_cbranch_execz .LBB122_597
; %bb.596:
	buffer_load_dword v124, v123, s[0:3], 0 offen offset:8
	buffer_load_dword v125, v123, s[0:3], 0 offen offset:12
	buffer_load_dword v126, off, s[0:3], 0 offset:16
	buffer_load_dword v127, off, s[0:3], 0 offset:20
	ds_read_b64 v[128:129], v122 offset:8
	v_mov_b32_e32 v130, 0
	ds_read_b64 v[130:131], v130 offset:496
	s_waitcnt vmcnt(2) lgkmcnt(1)
	v_fma_f64 v[119:120], v[124:125], v[128:129], v[119:120]
	s_waitcnt vmcnt(0) lgkmcnt(0)
	v_fma_f64 v[124:125], v[126:127], v[130:131], v[119:120]
	v_cndmask_b32_e64 v120, v120, v125, s[6:7]
	v_cndmask_b32_e64 v119, v119, v124, s[6:7]
.LBB122_597:
	s_or_b64 exec, exec, s[10:11]
	v_mov_b32_e32 v124, 0
	ds_read_b64 v[124:125], v124 offset:24
	s_waitcnt lgkmcnt(0)
	v_mul_f64 v[119:120], v[119:120], v[124:125]
	buffer_store_dword v120, off, s[0:3], 0 offset:28
	buffer_store_dword v119, off, s[0:3], 0 offset:24
.LBB122_598:
	s_or_b64 exec, exec, s[8:9]
	buffer_load_dword v119, off, s[0:3], 0 offset:32
	buffer_load_dword v120, off, s[0:3], 0 offset:36
	v_cmp_gt_u32_e32 vcc, 4, v0
	s_waitcnt vmcnt(0)
	ds_write_b64 v122, v[119:120]
	s_waitcnt lgkmcnt(0)
	; wave barrier
	s_and_saveexec_b64 s[6:7], vcc
	s_cbranch_execz .LBB122_608
; %bb.599:
	s_and_b64 vcc, exec, s[4:5]
	s_cbranch_vccnz .LBB122_601
; %bb.600:
	buffer_load_dword v119, v123, s[0:3], 0 offen
	buffer_load_dword v120, v123, s[0:3], 0 offen offset:4
	ds_read_b64 v[124:125], v122
	s_waitcnt vmcnt(0) lgkmcnt(0)
	v_mul_f64 v[119:120], v[119:120], v[124:125]
	s_cbranch_execz .LBB122_602
	s_branch .LBB122_603
.LBB122_601:
                                        ; implicit-def: $vgpr119_vgpr120
.LBB122_602:
	ds_read_b64 v[119:120], v122
.LBB122_603:
	v_cmp_ne_u32_e32 vcc, 3, v0
	s_and_saveexec_b64 s[8:9], vcc
	s_cbranch_execz .LBB122_607
; %bb.604:
	s_mov_b32 s10, 0
	v_add_u32_e32 v124, 0x1e8, v121
	v_add3_u32 v125, v121, s10, 8
	s_mov_b64 s[10:11], 0
	v_mov_b32_e32 v126, v0
.LBB122_605:                            ; =>This Inner Loop Header: Depth=1
	buffer_load_dword v127, v125, s[0:3], 0 offen
	buffer_load_dword v128, v125, s[0:3], 0 offen offset:4
	ds_read_b64 v[129:130], v124
	v_add_u32_e32 v126, 1, v126
	v_cmp_lt_u32_e32 vcc, 2, v126
	v_add_u32_e32 v124, 8, v124
	s_or_b64 s[10:11], vcc, s[10:11]
	v_add_u32_e32 v125, 8, v125
	s_waitcnt vmcnt(0) lgkmcnt(0)
	v_fma_f64 v[119:120], v[127:128], v[129:130], v[119:120]
	s_andn2_b64 exec, exec, s[10:11]
	s_cbranch_execnz .LBB122_605
; %bb.606:
	s_or_b64 exec, exec, s[10:11]
.LBB122_607:
	s_or_b64 exec, exec, s[8:9]
	v_mov_b32_e32 v124, 0
	ds_read_b64 v[124:125], v124 offset:32
	s_waitcnt lgkmcnt(0)
	v_mul_f64 v[119:120], v[119:120], v[124:125]
	buffer_store_dword v120, off, s[0:3], 0 offset:36
	buffer_store_dword v119, off, s[0:3], 0 offset:32
.LBB122_608:
	s_or_b64 exec, exec, s[6:7]
	buffer_load_dword v119, off, s[0:3], 0 offset:40
	buffer_load_dword v120, off, s[0:3], 0 offset:44
	v_cmp_gt_u32_e32 vcc, 5, v0
	s_waitcnt vmcnt(0)
	ds_write_b64 v122, v[119:120]
	s_waitcnt lgkmcnt(0)
	; wave barrier
	s_and_saveexec_b64 s[6:7], vcc
	s_cbranch_execz .LBB122_618
; %bb.609:
	s_and_b64 vcc, exec, s[4:5]
	s_cbranch_vccnz .LBB122_611
; %bb.610:
	buffer_load_dword v119, v123, s[0:3], 0 offen
	buffer_load_dword v120, v123, s[0:3], 0 offen offset:4
	ds_read_b64 v[124:125], v122
	s_waitcnt vmcnt(0) lgkmcnt(0)
	v_mul_f64 v[119:120], v[119:120], v[124:125]
	s_cbranch_execz .LBB122_612
	s_branch .LBB122_613
.LBB122_611:
                                        ; implicit-def: $vgpr119_vgpr120
.LBB122_612:
	ds_read_b64 v[119:120], v122
.LBB122_613:
	v_cmp_ne_u32_e32 vcc, 4, v0
	s_and_saveexec_b64 s[8:9], vcc
	s_cbranch_execz .LBB122_617
; %bb.614:
	s_mov_b32 s10, 0
	v_add_u32_e32 v124, 0x1e8, v121
	v_add3_u32 v125, v121, s10, 8
	s_mov_b64 s[10:11], 0
	v_mov_b32_e32 v126, v0
.LBB122_615:                            ; =>This Inner Loop Header: Depth=1
	buffer_load_dword v127, v125, s[0:3], 0 offen
	buffer_load_dword v128, v125, s[0:3], 0 offen offset:4
	ds_read_b64 v[129:130], v124
	v_add_u32_e32 v126, 1, v126
	v_cmp_lt_u32_e32 vcc, 3, v126
	v_add_u32_e32 v124, 8, v124
	s_or_b64 s[10:11], vcc, s[10:11]
	v_add_u32_e32 v125, 8, v125
	s_waitcnt vmcnt(0) lgkmcnt(0)
	v_fma_f64 v[119:120], v[127:128], v[129:130], v[119:120]
	s_andn2_b64 exec, exec, s[10:11]
	s_cbranch_execnz .LBB122_615
; %bb.616:
	s_or_b64 exec, exec, s[10:11]
.LBB122_617:
	s_or_b64 exec, exec, s[8:9]
	v_mov_b32_e32 v124, 0
	ds_read_b64 v[124:125], v124 offset:40
	s_waitcnt lgkmcnt(0)
	v_mul_f64 v[119:120], v[119:120], v[124:125]
	buffer_store_dword v120, off, s[0:3], 0 offset:44
	buffer_store_dword v119, off, s[0:3], 0 offset:40
.LBB122_618:
	;; [unrolled: 59-line block ×40, first 2 shown]
	s_or_b64 exec, exec, s[6:7]
	buffer_load_dword v119, off, s[0:3], 0 offset:352
	buffer_load_dword v120, off, s[0:3], 0 offset:356
	v_cmp_gt_u32_e32 vcc, 44, v0
	s_waitcnt vmcnt(0)
	ds_write_b64 v122, v[119:120]
	s_waitcnt lgkmcnt(0)
	; wave barrier
	s_and_saveexec_b64 s[6:7], vcc
	s_cbranch_execz .LBB122_1008
; %bb.999:
	s_and_b64 vcc, exec, s[4:5]
	s_cbranch_vccnz .LBB122_1001
; %bb.1000:
	buffer_load_dword v119, v123, s[0:3], 0 offen
	buffer_load_dword v120, v123, s[0:3], 0 offen offset:4
	ds_read_b64 v[124:125], v122
	s_waitcnt vmcnt(0) lgkmcnt(0)
	v_mul_f64 v[119:120], v[119:120], v[124:125]
	s_cbranch_execz .LBB122_1002
	s_branch .LBB122_1003
.LBB122_1001:
                                        ; implicit-def: $vgpr119_vgpr120
.LBB122_1002:
	ds_read_b64 v[119:120], v122
.LBB122_1003:
	v_cmp_ne_u32_e32 vcc, 43, v0
	s_and_saveexec_b64 s[8:9], vcc
	s_cbranch_execz .LBB122_1007
; %bb.1004:
	s_mov_b32 s10, 0
	v_add_u32_e32 v124, 0x1e8, v121
	v_add3_u32 v125, v121, s10, 8
	s_mov_b64 s[10:11], 0
	v_mov_b32_e32 v126, v0
.LBB122_1005:                           ; =>This Inner Loop Header: Depth=1
	buffer_load_dword v127, v125, s[0:3], 0 offen
	buffer_load_dword v128, v125, s[0:3], 0 offen offset:4
	ds_read_b64 v[129:130], v124
	v_add_u32_e32 v126, 1, v126
	v_cmp_lt_u32_e32 vcc, 42, v126
	v_add_u32_e32 v124, 8, v124
	s_or_b64 s[10:11], vcc, s[10:11]
	v_add_u32_e32 v125, 8, v125
	s_waitcnt vmcnt(0) lgkmcnt(0)
	v_fma_f64 v[119:120], v[127:128], v[129:130], v[119:120]
	s_andn2_b64 exec, exec, s[10:11]
	s_cbranch_execnz .LBB122_1005
; %bb.1006:
	s_or_b64 exec, exec, s[10:11]
.LBB122_1007:
	s_or_b64 exec, exec, s[8:9]
	v_mov_b32_e32 v124, 0
	ds_read_b64 v[124:125], v124 offset:352
	s_waitcnt lgkmcnt(0)
	v_mul_f64 v[119:120], v[119:120], v[124:125]
	buffer_store_dword v120, off, s[0:3], 0 offset:356
	buffer_store_dword v119, off, s[0:3], 0 offset:352
.LBB122_1008:
	s_or_b64 exec, exec, s[6:7]
	buffer_load_dword v119, off, s[0:3], 0 offset:360
	buffer_load_dword v120, off, s[0:3], 0 offset:364
	v_cmp_gt_u32_e32 vcc, 45, v0
	s_waitcnt vmcnt(0)
	ds_write_b64 v122, v[119:120]
	s_waitcnt lgkmcnt(0)
	; wave barrier
	s_and_saveexec_b64 s[6:7], vcc
	s_cbranch_execz .LBB122_1018
; %bb.1009:
	s_and_b64 vcc, exec, s[4:5]
	s_cbranch_vccnz .LBB122_1011
; %bb.1010:
	buffer_load_dword v119, v123, s[0:3], 0 offen
	buffer_load_dword v120, v123, s[0:3], 0 offen offset:4
	ds_read_b64 v[124:125], v122
	s_waitcnt vmcnt(0) lgkmcnt(0)
	v_mul_f64 v[119:120], v[119:120], v[124:125]
	s_cbranch_execz .LBB122_1012
	s_branch .LBB122_1013
.LBB122_1011:
                                        ; implicit-def: $vgpr119_vgpr120
.LBB122_1012:
	ds_read_b64 v[119:120], v122
.LBB122_1013:
	v_cmp_ne_u32_e32 vcc, 44, v0
	s_and_saveexec_b64 s[8:9], vcc
	s_cbranch_execz .LBB122_1017
; %bb.1014:
	s_mov_b32 s10, 0
	v_add_u32_e32 v124, 0x1e8, v121
	v_add3_u32 v125, v121, s10, 8
	s_mov_b64 s[10:11], 0
	v_mov_b32_e32 v126, v0
.LBB122_1015:                           ; =>This Inner Loop Header: Depth=1
	buffer_load_dword v127, v125, s[0:3], 0 offen
	buffer_load_dword v128, v125, s[0:3], 0 offen offset:4
	ds_read_b64 v[129:130], v124
	v_add_u32_e32 v126, 1, v126
	v_cmp_lt_u32_e32 vcc, 43, v126
	v_add_u32_e32 v124, 8, v124
	s_or_b64 s[10:11], vcc, s[10:11]
	v_add_u32_e32 v125, 8, v125
	s_waitcnt vmcnt(0) lgkmcnt(0)
	v_fma_f64 v[119:120], v[127:128], v[129:130], v[119:120]
	s_andn2_b64 exec, exec, s[10:11]
	s_cbranch_execnz .LBB122_1015
; %bb.1016:
	s_or_b64 exec, exec, s[10:11]
.LBB122_1017:
	s_or_b64 exec, exec, s[8:9]
	v_mov_b32_e32 v124, 0
	ds_read_b64 v[124:125], v124 offset:360
	s_waitcnt lgkmcnt(0)
	v_mul_f64 v[119:120], v[119:120], v[124:125]
	buffer_store_dword v120, off, s[0:3], 0 offset:364
	buffer_store_dword v119, off, s[0:3], 0 offset:360
.LBB122_1018:
	;; [unrolled: 59-line block ×13, first 2 shown]
	s_or_b64 exec, exec, s[6:7]
	buffer_load_dword v119, off, s[0:3], 0 offset:456
	buffer_load_dword v120, off, s[0:3], 0 offset:460
	v_cmp_gt_u32_e64 s[6:7], 57, v0
	s_waitcnt vmcnt(0)
	ds_write_b64 v122, v[119:120]
	s_waitcnt lgkmcnt(0)
	; wave barrier
	s_and_saveexec_b64 s[8:9], s[6:7]
	s_cbranch_execz .LBB122_1138
; %bb.1129:
	s_and_b64 vcc, exec, s[4:5]
	s_cbranch_vccnz .LBB122_1131
; %bb.1130:
	buffer_load_dword v119, v123, s[0:3], 0 offen
	buffer_load_dword v120, v123, s[0:3], 0 offen offset:4
	ds_read_b64 v[124:125], v122
	s_waitcnt vmcnt(0) lgkmcnt(0)
	v_mul_f64 v[119:120], v[119:120], v[124:125]
	s_cbranch_execz .LBB122_1132
	s_branch .LBB122_1133
.LBB122_1131:
                                        ; implicit-def: $vgpr119_vgpr120
.LBB122_1132:
	ds_read_b64 v[119:120], v122
.LBB122_1133:
	v_cmp_ne_u32_e32 vcc, 56, v0
	s_and_saveexec_b64 s[10:11], vcc
	s_cbranch_execz .LBB122_1137
; %bb.1134:
	s_mov_b32 s12, 0
	v_add_u32_e32 v124, 0x1e8, v121
	v_add3_u32 v125, v121, s12, 8
	s_mov_b64 s[12:13], 0
	v_mov_b32_e32 v126, v0
.LBB122_1135:                           ; =>This Inner Loop Header: Depth=1
	buffer_load_dword v127, v125, s[0:3], 0 offen
	buffer_load_dword v128, v125, s[0:3], 0 offen offset:4
	ds_read_b64 v[129:130], v124
	v_add_u32_e32 v126, 1, v126
	v_cmp_lt_u32_e32 vcc, 55, v126
	v_add_u32_e32 v124, 8, v124
	s_or_b64 s[12:13], vcc, s[12:13]
	v_add_u32_e32 v125, 8, v125
	s_waitcnt vmcnt(0) lgkmcnt(0)
	v_fma_f64 v[119:120], v[127:128], v[129:130], v[119:120]
	s_andn2_b64 exec, exec, s[12:13]
	s_cbranch_execnz .LBB122_1135
; %bb.1136:
	s_or_b64 exec, exec, s[12:13]
.LBB122_1137:
	s_or_b64 exec, exec, s[10:11]
	v_mov_b32_e32 v124, 0
	ds_read_b64 v[124:125], v124 offset:456
	s_waitcnt lgkmcnt(0)
	v_mul_f64 v[119:120], v[119:120], v[124:125]
	buffer_store_dword v120, off, s[0:3], 0 offset:460
	buffer_store_dword v119, off, s[0:3], 0 offset:456
.LBB122_1138:
	s_or_b64 exec, exec, s[8:9]
	buffer_load_dword v119, off, s[0:3], 0 offset:464
	buffer_load_dword v120, off, s[0:3], 0 offset:468
	v_cmp_ne_u32_e32 vcc, 58, v0
	s_waitcnt vmcnt(0)
	ds_write_b64 v122, v[119:120]
	s_waitcnt lgkmcnt(0)
	; wave barrier
	s_and_saveexec_b64 s[8:9], vcc
	s_cbranch_execz .LBB122_1148
; %bb.1139:
	s_and_b64 vcc, exec, s[4:5]
	s_cbranch_vccnz .LBB122_1141
; %bb.1140:
	buffer_load_dword v119, v123, s[0:3], 0 offen
	buffer_load_dword v120, v123, s[0:3], 0 offen offset:4
	ds_read_b64 v[123:124], v122
	s_waitcnt vmcnt(0) lgkmcnt(0)
	v_mul_f64 v[119:120], v[119:120], v[123:124]
	s_cbranch_execz .LBB122_1142
	s_branch .LBB122_1143
.LBB122_1141:
                                        ; implicit-def: $vgpr119_vgpr120
.LBB122_1142:
	ds_read_b64 v[119:120], v122
.LBB122_1143:
	s_and_saveexec_b64 s[4:5], s[6:7]
	s_cbranch_execz .LBB122_1147
; %bb.1144:
	s_mov_b32 s6, 0
	v_add_u32_e32 v122, 0x1e8, v121
	v_add3_u32 v121, v121, s6, 8
	s_mov_b64 s[6:7], 0
.LBB122_1145:                           ; =>This Inner Loop Header: Depth=1
	buffer_load_dword v123, v121, s[0:3], 0 offen
	buffer_load_dword v124, v121, s[0:3], 0 offen offset:4
	ds_read_b64 v[125:126], v122
	v_add_u32_e32 v0, 1, v0
	v_cmp_lt_u32_e32 vcc, 56, v0
	v_add_u32_e32 v122, 8, v122
	s_or_b64 s[6:7], vcc, s[6:7]
	v_add_u32_e32 v121, 8, v121
	s_waitcnt vmcnt(0) lgkmcnt(0)
	v_fma_f64 v[119:120], v[123:124], v[125:126], v[119:120]
	s_andn2_b64 exec, exec, s[6:7]
	s_cbranch_execnz .LBB122_1145
; %bb.1146:
	s_or_b64 exec, exec, s[6:7]
.LBB122_1147:
	s_or_b64 exec, exec, s[4:5]
	v_mov_b32_e32 v0, 0
	ds_read_b64 v[121:122], v0 offset:464
	s_waitcnt lgkmcnt(0)
	v_mul_f64 v[119:120], v[119:120], v[121:122]
	buffer_store_dword v120, off, s[0:3], 0 offset:468
	buffer_store_dword v119, off, s[0:3], 0 offset:464
.LBB122_1148:
	s_or_b64 exec, exec, s[8:9]
.LBB122_1149:
	buffer_load_dword v119, off, s[0:3], 0
	buffer_load_dword v120, off, s[0:3], 0 offset:4
	s_waitcnt vmcnt(0)
	flat_store_dwordx2 v[1:2], v[119:120]
	buffer_load_dword v0, off, s[0:3], 0 offset:8
	s_nop 0
	buffer_load_dword v1, off, s[0:3], 0 offset:12
	s_waitcnt vmcnt(0)
	flat_store_dwordx2 v[3:4], v[0:1]
	buffer_load_dword v0, off, s[0:3], 0 offset:16
	s_nop 0
	;; [unrolled: 5-line block ×58, first 2 shown]
	buffer_load_dword v1, off, s[0:3], 0 offset:468
	s_waitcnt vmcnt(0)
	flat_store_dwordx2 v[117:118], v[0:1]
.LBB122_1150:
	s_endpgm
	.section	.rodata,"a",@progbits
	.p2align	6, 0x0
	.amdhsa_kernel _ZN9rocsolver6v33100L18trti2_kernel_smallILi59EdPKPdEEv13rocblas_fill_17rocblas_diagonal_T1_iil
		.amdhsa_group_segment_fixed_size 952
		.amdhsa_private_segment_fixed_size 480
		.amdhsa_kernarg_size 32
		.amdhsa_user_sgpr_count 6
		.amdhsa_user_sgpr_private_segment_buffer 1
		.amdhsa_user_sgpr_dispatch_ptr 0
		.amdhsa_user_sgpr_queue_ptr 0
		.amdhsa_user_sgpr_kernarg_segment_ptr 1
		.amdhsa_user_sgpr_dispatch_id 0
		.amdhsa_user_sgpr_flat_scratch_init 0
		.amdhsa_user_sgpr_private_segment_size 0
		.amdhsa_uses_dynamic_stack 0
		.amdhsa_system_sgpr_private_segment_wavefront_offset 1
		.amdhsa_system_sgpr_workgroup_id_x 1
		.amdhsa_system_sgpr_workgroup_id_y 0
		.amdhsa_system_sgpr_workgroup_id_z 0
		.amdhsa_system_sgpr_workgroup_info 0
		.amdhsa_system_vgpr_workitem_id 0
		.amdhsa_next_free_vgpr 132
		.amdhsa_next_free_sgpr 72
		.amdhsa_reserve_vcc 1
		.amdhsa_reserve_flat_scratch 0
		.amdhsa_float_round_mode_32 0
		.amdhsa_float_round_mode_16_64 0
		.amdhsa_float_denorm_mode_32 3
		.amdhsa_float_denorm_mode_16_64 3
		.amdhsa_dx10_clamp 1
		.amdhsa_ieee_mode 1
		.amdhsa_fp16_overflow 0
		.amdhsa_exception_fp_ieee_invalid_op 0
		.amdhsa_exception_fp_denorm_src 0
		.amdhsa_exception_fp_ieee_div_zero 0
		.amdhsa_exception_fp_ieee_overflow 0
		.amdhsa_exception_fp_ieee_underflow 0
		.amdhsa_exception_fp_ieee_inexact 0
		.amdhsa_exception_int_div_zero 0
	.end_amdhsa_kernel
	.section	.text._ZN9rocsolver6v33100L18trti2_kernel_smallILi59EdPKPdEEv13rocblas_fill_17rocblas_diagonal_T1_iil,"axG",@progbits,_ZN9rocsolver6v33100L18trti2_kernel_smallILi59EdPKPdEEv13rocblas_fill_17rocblas_diagonal_T1_iil,comdat
.Lfunc_end122:
	.size	_ZN9rocsolver6v33100L18trti2_kernel_smallILi59EdPKPdEEv13rocblas_fill_17rocblas_diagonal_T1_iil, .Lfunc_end122-_ZN9rocsolver6v33100L18trti2_kernel_smallILi59EdPKPdEEv13rocblas_fill_17rocblas_diagonal_T1_iil
                                        ; -- End function
	.set _ZN9rocsolver6v33100L18trti2_kernel_smallILi59EdPKPdEEv13rocblas_fill_17rocblas_diagonal_T1_iil.num_vgpr, 132
	.set _ZN9rocsolver6v33100L18trti2_kernel_smallILi59EdPKPdEEv13rocblas_fill_17rocblas_diagonal_T1_iil.num_agpr, 0
	.set _ZN9rocsolver6v33100L18trti2_kernel_smallILi59EdPKPdEEv13rocblas_fill_17rocblas_diagonal_T1_iil.numbered_sgpr, 72
	.set _ZN9rocsolver6v33100L18trti2_kernel_smallILi59EdPKPdEEv13rocblas_fill_17rocblas_diagonal_T1_iil.num_named_barrier, 0
	.set _ZN9rocsolver6v33100L18trti2_kernel_smallILi59EdPKPdEEv13rocblas_fill_17rocblas_diagonal_T1_iil.private_seg_size, 480
	.set _ZN9rocsolver6v33100L18trti2_kernel_smallILi59EdPKPdEEv13rocblas_fill_17rocblas_diagonal_T1_iil.uses_vcc, 1
	.set _ZN9rocsolver6v33100L18trti2_kernel_smallILi59EdPKPdEEv13rocblas_fill_17rocblas_diagonal_T1_iil.uses_flat_scratch, 0
	.set _ZN9rocsolver6v33100L18trti2_kernel_smallILi59EdPKPdEEv13rocblas_fill_17rocblas_diagonal_T1_iil.has_dyn_sized_stack, 0
	.set _ZN9rocsolver6v33100L18trti2_kernel_smallILi59EdPKPdEEv13rocblas_fill_17rocblas_diagonal_T1_iil.has_recursion, 0
	.set _ZN9rocsolver6v33100L18trti2_kernel_smallILi59EdPKPdEEv13rocblas_fill_17rocblas_diagonal_T1_iil.has_indirect_call, 0
	.section	.AMDGPU.csdata,"",@progbits
; Kernel info:
; codeLenInByte = 35152
; TotalNumSgprs: 76
; NumVgprs: 132
; ScratchSize: 480
; MemoryBound: 0
; FloatMode: 240
; IeeeMode: 1
; LDSByteSize: 952 bytes/workgroup (compile time only)
; SGPRBlocks: 9
; VGPRBlocks: 32
; NumSGPRsForWavesPerEU: 76
; NumVGPRsForWavesPerEU: 132
; Occupancy: 1
; WaveLimiterHint : 1
; COMPUTE_PGM_RSRC2:SCRATCH_EN: 1
; COMPUTE_PGM_RSRC2:USER_SGPR: 6
; COMPUTE_PGM_RSRC2:TRAP_HANDLER: 0
; COMPUTE_PGM_RSRC2:TGID_X_EN: 1
; COMPUTE_PGM_RSRC2:TGID_Y_EN: 0
; COMPUTE_PGM_RSRC2:TGID_Z_EN: 0
; COMPUTE_PGM_RSRC2:TIDIG_COMP_CNT: 0
	.section	.text._ZN9rocsolver6v33100L18trti2_kernel_smallILi60EdPKPdEEv13rocblas_fill_17rocblas_diagonal_T1_iil,"axG",@progbits,_ZN9rocsolver6v33100L18trti2_kernel_smallILi60EdPKPdEEv13rocblas_fill_17rocblas_diagonal_T1_iil,comdat
	.globl	_ZN9rocsolver6v33100L18trti2_kernel_smallILi60EdPKPdEEv13rocblas_fill_17rocblas_diagonal_T1_iil ; -- Begin function _ZN9rocsolver6v33100L18trti2_kernel_smallILi60EdPKPdEEv13rocblas_fill_17rocblas_diagonal_T1_iil
	.p2align	8
	.type	_ZN9rocsolver6v33100L18trti2_kernel_smallILi60EdPKPdEEv13rocblas_fill_17rocblas_diagonal_T1_iil,@function
_ZN9rocsolver6v33100L18trti2_kernel_smallILi60EdPKPdEEv13rocblas_fill_17rocblas_diagonal_T1_iil: ; @_ZN9rocsolver6v33100L18trti2_kernel_smallILi60EdPKPdEEv13rocblas_fill_17rocblas_diagonal_T1_iil
; %bb.0:
	s_add_u32 s0, s0, s7
	s_addc_u32 s1, s1, 0
	v_cmp_gt_u32_e32 vcc, 60, v0
	s_and_saveexec_b64 s[8:9], vcc
	s_cbranch_execz .LBB123_1170
; %bb.1:
	s_load_dwordx2 s[12:13], s[4:5], 0x10
	s_load_dwordx4 s[8:11], s[4:5], 0x0
	s_ashr_i32 s7, s6, 31
	s_lshl_b64 s[6:7], s[6:7], 3
	v_lshlrev_b32_e32 v123, 3, v0
	s_waitcnt lgkmcnt(0)
	s_ashr_i32 s5, s12, 31
	s_add_u32 s6, s10, s6
	s_addc_u32 s7, s11, s7
	s_load_dwordx2 s[6:7], s[6:7], 0x0
	s_mov_b32 s4, s12
	s_lshl_b64 s[4:5], s[4:5], 3
	s_waitcnt lgkmcnt(0)
	s_add_u32 s4, s6, s4
	s_addc_u32 s5, s7, s5
	v_mov_b32_e32 v2, s5
	v_add_co_u32_e32 v1, vcc, s4, v123
	v_addc_co_u32_e32 v2, vcc, 0, v2, vcc
	flat_load_dwordx2 v[5:6], v[1:2]
	s_mov_b32 s6, s13
	s_ashr_i32 s7, s13, 31
	s_lshl_b64 s[6:7], s[6:7], 3
	v_mov_b32_e32 v4, s7
	v_add_co_u32_e32 v3, vcc, s6, v1
	v_addc_co_u32_e32 v4, vcc, v2, v4, vcc
	s_add_i32 s6, s13, s13
	v_add_u32_e32 v9, s6, v0
	v_ashrrev_i32_e32 v10, 31, v9
	v_mov_b32_e32 v11, s5
	v_add_u32_e32 v12, s13, v9
	v_ashrrev_i32_e32 v13, 31, v12
	v_mov_b32_e32 v14, s5
	v_mov_b32_e32 v15, s5
	;; [unrolled: 1-line block ×56, first 2 shown]
	s_cmpk_lg_i32 s9, 0x84
	s_cselect_b64 s[10:11], -1, 0
	s_cmpk_eq_i32 s9, 0x84
	s_waitcnt vmcnt(0) lgkmcnt(0)
	buffer_store_dword v6, off, s[0:3], 0 offset:4
	buffer_store_dword v5, off, s[0:3], 0
	flat_load_dwordx2 v[7:8], v[3:4]
	v_lshlrev_b64 v[5:6], 3, v[9:10]
	s_waitcnt vmcnt(0) lgkmcnt(0)
	buffer_store_dword v8, off, s[0:3], 0 offset:12
	buffer_store_dword v7, off, s[0:3], 0 offset:8
	v_add_co_u32_e32 v5, vcc, s4, v5
	v_addc_co_u32_e32 v6, vcc, v11, v6, vcc
	flat_load_dwordx2 v[10:11], v[5:6]
	v_lshlrev_b64 v[7:8], 3, v[12:13]
	s_waitcnt vmcnt(0) lgkmcnt(0)
	buffer_store_dword v11, off, s[0:3], 0 offset:20
	buffer_store_dword v10, off, s[0:3], 0 offset:16
	v_add_co_u32_e32 v7, vcc, s4, v7
	v_addc_co_u32_e32 v8, vcc, v14, v8, vcc
	flat_load_dwordx2 v[13:14], v[7:8]
	v_add_u32_e32 v11, s13, v12
	v_ashrrev_i32_e32 v12, 31, v11
	v_lshlrev_b64 v[9:10], 3, v[11:12]
	s_waitcnt vmcnt(0) lgkmcnt(0)
	buffer_store_dword v14, off, s[0:3], 0 offset:28
	buffer_store_dword v13, off, s[0:3], 0 offset:24
	v_add_co_u32_e32 v9, vcc, s4, v9
	v_addc_co_u32_e32 v10, vcc, v15, v10, vcc
	flat_load_dwordx2 v[13:14], v[9:10]
	v_add_u32_e32 v15, s13, v11
	v_ashrrev_i32_e32 v16, 31, v15
	v_lshlrev_b64 v[11:12], 3, v[15:16]
	v_add_u32_e32 v18, s13, v15
	v_add_co_u32_e32 v11, vcc, s4, v11
	v_addc_co_u32_e32 v12, vcc, v17, v12, vcc
	v_ashrrev_i32_e32 v19, 31, v18
	s_waitcnt vmcnt(0) lgkmcnt(0)
	buffer_store_dword v14, off, s[0:3], 0 offset:36
	buffer_store_dword v13, off, s[0:3], 0 offset:32
	flat_load_dwordx2 v[16:17], v[11:12]
	v_lshlrev_b64 v[13:14], 3, v[18:19]
	s_waitcnt vmcnt(0) lgkmcnt(0)
	buffer_store_dword v17, off, s[0:3], 0 offset:44
	buffer_store_dword v16, off, s[0:3], 0 offset:40
	v_add_co_u32_e32 v13, vcc, s4, v13
	v_addc_co_u32_e32 v14, vcc, v20, v14, vcc
	flat_load_dwordx2 v[19:20], v[13:14]
	v_add_u32_e32 v17, s13, v18
	v_ashrrev_i32_e32 v18, 31, v17
	v_lshlrev_b64 v[15:16], 3, v[17:18]
	s_waitcnt vmcnt(0) lgkmcnt(0)
	buffer_store_dword v20, off, s[0:3], 0 offset:52
	buffer_store_dword v19, off, s[0:3], 0 offset:48
	v_add_co_u32_e32 v15, vcc, s4, v15
	v_addc_co_u32_e32 v16, vcc, v21, v16, vcc
	flat_load_dwordx2 v[19:20], v[15:16]
	v_add_u32_e32 v21, s13, v17
	v_ashrrev_i32_e32 v22, 31, v21
	v_lshlrev_b64 v[17:18], 3, v[21:22]
	v_add_u32_e32 v24, s13, v21
	v_add_co_u32_e32 v17, vcc, s4, v17
	v_addc_co_u32_e32 v18, vcc, v23, v18, vcc
	v_ashrrev_i32_e32 v25, 31, v24
	s_waitcnt vmcnt(0) lgkmcnt(0)
	buffer_store_dword v20, off, s[0:3], 0 offset:60
	buffer_store_dword v19, off, s[0:3], 0 offset:56
	;; [unrolled: 27-line block ×7, first 2 shown]
	flat_load_dwordx2 v[52:53], v[47:48]
	v_lshlrev_b64 v[49:50], 3, v[54:55]
	s_waitcnt vmcnt(0) lgkmcnt(0)
	buffer_store_dword v53, off, s[0:3], 0 offset:188
	buffer_store_dword v52, off, s[0:3], 0 offset:184
	v_add_co_u32_e32 v49, vcc, s4, v49
	v_addc_co_u32_e32 v50, vcc, v56, v50, vcc
	flat_load_dwordx2 v[55:56], v[49:50]
	v_add_u32_e32 v53, s13, v54
	v_ashrrev_i32_e32 v54, 31, v53
	v_lshlrev_b64 v[51:52], 3, v[53:54]
	s_waitcnt vmcnt(0) lgkmcnt(0)
	buffer_store_dword v56, off, s[0:3], 0 offset:196
	buffer_store_dword v55, off, s[0:3], 0 offset:192
	v_add_co_u32_e32 v51, vcc, s4, v51
	v_addc_co_u32_e32 v52, vcc, v57, v52, vcc
	flat_load_dwordx2 v[55:56], v[51:52]
	v_add_u32_e32 v57, s13, v53
	v_ashrrev_i32_e32 v58, 31, v57
	v_lshlrev_b64 v[53:54], 3, v[57:58]
	v_add_u32_e32 v60, s13, v57
	v_add_co_u32_e32 v53, vcc, s4, v53
	v_addc_co_u32_e32 v54, vcc, v59, v54, vcc
	s_waitcnt vmcnt(0) lgkmcnt(0)
	buffer_store_dword v56, off, s[0:3], 0 offset:204
	buffer_store_dword v55, off, s[0:3], 0 offset:200
	flat_load_dwordx2 v[58:59], v[53:54]
	v_ashrrev_i32_e32 v61, 31, v60
	v_lshlrev_b64 v[55:56], 3, v[60:61]
	s_waitcnt vmcnt(0) lgkmcnt(0)
	buffer_store_dword v59, off, s[0:3], 0 offset:212
	buffer_store_dword v58, off, s[0:3], 0 offset:208
	v_add_co_u32_e32 v55, vcc, s4, v55
	v_addc_co_u32_e32 v56, vcc, v62, v56, vcc
	flat_load_dwordx2 v[61:62], v[55:56]
	v_add_u32_e32 v59, s13, v60
	v_ashrrev_i32_e32 v60, 31, v59
	v_lshlrev_b64 v[57:58], 3, v[59:60]
	s_waitcnt vmcnt(0) lgkmcnt(0)
	buffer_store_dword v62, off, s[0:3], 0 offset:220
	buffer_store_dword v61, off, s[0:3], 0 offset:216
	v_add_co_u32_e32 v57, vcc, s4, v57
	v_addc_co_u32_e32 v58, vcc, v63, v58, vcc
	flat_load_dwordx2 v[61:62], v[57:58]
	v_add_u32_e32 v63, s13, v59
	;; [unrolled: 9-line block ×32, first 2 shown]
	v_ashrrev_i32_e32 v120, 31, v119
	v_lshlrev_b64 v[119:120], 3, v[119:120]
	s_waitcnt vmcnt(0) lgkmcnt(0)
	buffer_store_dword v122, off, s[0:3], 0 offset:468
	buffer_store_dword v121, off, s[0:3], 0 offset:464
	v_add_co_u32_e32 v119, vcc, s4, v119
	v_addc_co_u32_e32 v120, vcc, v124, v120, vcc
	flat_load_dwordx2 v[124:125], v[119:120]
	v_mov_b32_e32 v121, 0
	v_mov_b32_e32 v122, 0xbff00000
	s_waitcnt vmcnt(0) lgkmcnt(0)
	buffer_store_dword v125, off, s[0:3], 0 offset:476
	buffer_store_dword v124, off, s[0:3], 0 offset:472
	s_cbranch_scc1 .LBB123_3
; %bb.2:
	v_mov_b32_e32 v121, 0
	v_lshl_add_u32 v132, v0, 3, v121
	buffer_load_dword v121, v132, s[0:3], 0 offen
	buffer_load_dword v122, v132, s[0:3], 0 offen offset:4
	s_waitcnt vmcnt(0)
	v_div_scale_f64 v[124:125], s[4:5], v[121:122], v[121:122], 1.0
	v_rcp_f64_e32 v[126:127], v[124:125]
	v_fma_f64 v[128:129], -v[124:125], v[126:127], 1.0
	v_fma_f64 v[126:127], v[126:127], v[128:129], v[126:127]
	v_div_scale_f64 v[128:129], vcc, 1.0, v[121:122], 1.0
	v_fma_f64 v[130:131], -v[124:125], v[126:127], 1.0
	v_fma_f64 v[126:127], v[126:127], v[130:131], v[126:127]
	v_mul_f64 v[130:131], v[128:129], v[126:127]
	v_fma_f64 v[124:125], -v[124:125], v[130:131], v[128:129]
	v_div_fmas_f64 v[124:125], v[124:125], v[126:127], v[130:131]
	v_div_fixup_f64 v[121:122], v[124:125], v[121:122], 1.0
	buffer_store_dword v121, v132, s[0:3], 0 offen
	buffer_store_dword v122, v132, s[0:3], 0 offen offset:4
	v_xor_b32_e32 v122, 0x80000000, v122
.LBB123_3:
	s_cmpk_eq_i32 s8, 0x79
	v_add_u32_e32 v124, 0x1e0, v123
	v_mov_b32_e32 v125, v123
	s_mov_b64 s[4:5], -1
	ds_write_b64 v123, v[121:122]
	s_cbranch_scc1 .LBB123_587
; %bb.4:
	buffer_load_dword v121, off, s[0:3], 0 offset:464
	buffer_load_dword v122, off, s[0:3], 0 offset:468
	s_movk_i32 s12, 0x48
	s_movk_i32 s13, 0x50
	;; [unrolled: 1-line block ×49, first 2 shown]
	v_cmp_eq_u32_e64 s[4:5], 59, v0
	s_waitcnt vmcnt(0)
	ds_write_b64 v124, v[121:122]
	s_waitcnt lgkmcnt(0)
	; wave barrier
	s_and_saveexec_b64 s[6:7], s[4:5]
	s_cbranch_execz .LBB123_10
; %bb.5:
	s_and_b64 vcc, exec, s[10:11]
	s_cbranch_vccz .LBB123_7
; %bb.6:
	buffer_load_dword v121, v125, s[0:3], 0 offen
	buffer_load_dword v122, v125, s[0:3], 0 offen offset:4
	ds_read_b64 v[126:127], v124
	s_waitcnt vmcnt(0) lgkmcnt(0)
	v_mul_f64 v[121:122], v[121:122], v[126:127]
	s_cbranch_execz .LBB123_8
	s_branch .LBB123_9
.LBB123_7:
                                        ; implicit-def: $vgpr121_vgpr122
.LBB123_8:
	ds_read_b64 v[121:122], v124
.LBB123_9:
	v_mov_b32_e32 v126, 0
	ds_read_b64 v[126:127], v126 offset:464
	s_waitcnt lgkmcnt(0)
	v_mul_f64 v[121:122], v[121:122], v[126:127]
	buffer_store_dword v122, off, s[0:3], 0 offset:468
	buffer_store_dword v121, off, s[0:3], 0 offset:464
.LBB123_10:
	s_or_b64 exec, exec, s[6:7]
	buffer_load_dword v121, off, s[0:3], 0 offset:456
	buffer_load_dword v122, off, s[0:3], 0 offset:460
	s_or_b32 s14, 0, 8
	s_mov_b32 s15, 16
	s_mov_b32 s16, 24
	;; [unrolled: 1-line block ×9, first 2 shown]
	v_cmp_lt_u32_e64 s[6:7], 57, v0
	s_waitcnt vmcnt(0)
	ds_write_b64 v124, v[121:122]
	s_waitcnt lgkmcnt(0)
	; wave barrier
	s_and_saveexec_b64 s[8:9], s[6:7]
	s_cbranch_execz .LBB123_16
; %bb.11:
	s_andn2_b64 vcc, exec, s[10:11]
	s_cbranch_vccnz .LBB123_13
; %bb.12:
	buffer_load_dword v121, v125, s[0:3], 0 offen
	buffer_load_dword v122, v125, s[0:3], 0 offen offset:4
	ds_read_b64 v[126:127], v124
	s_waitcnt vmcnt(0) lgkmcnt(0)
	v_mul_f64 v[121:122], v[121:122], v[126:127]
	s_cbranch_execz .LBB123_14
	s_branch .LBB123_15
.LBB123_13:
                                        ; implicit-def: $vgpr121_vgpr122
.LBB123_14:
	ds_read_b64 v[121:122], v124
.LBB123_15:
	buffer_load_dword v130, off, s[0:3], 0 offset:464
	buffer_load_dword v131, off, s[0:3], 0 offset:468
	v_mov_b32_e32 v126, 0
	ds_read2_b64 v[126:129], v126 offset0:57 offset1:118
	s_waitcnt vmcnt(0) lgkmcnt(0)
	v_fma_f64 v[128:129], v[130:131], v[128:129], v[121:122]
	v_cndmask_b32_e64 v122, v122, v129, s[4:5]
	v_cndmask_b32_e64 v121, v121, v128, s[4:5]
	v_mul_f64 v[121:122], v[121:122], v[126:127]
	buffer_store_dword v122, off, s[0:3], 0 offset:460
	buffer_store_dword v121, off, s[0:3], 0 offset:456
.LBB123_16:
	s_or_b64 exec, exec, s[8:9]
	buffer_load_dword v121, off, s[0:3], 0 offset:448
	buffer_load_dword v122, off, s[0:3], 0 offset:452
	v_cmp_lt_u32_e64 s[4:5], 56, v0
	s_waitcnt vmcnt(0)
	ds_write_b64 v124, v[121:122]
	s_waitcnt lgkmcnt(0)
	; wave barrier
	s_and_saveexec_b64 s[8:9], s[4:5]
	s_cbranch_execz .LBB123_26
; %bb.17:
	s_andn2_b64 vcc, exec, s[10:11]
	s_cbranch_vccnz .LBB123_19
; %bb.18:
	buffer_load_dword v121, v125, s[0:3], 0 offen
	buffer_load_dword v122, v125, s[0:3], 0 offen offset:4
	ds_read_b64 v[126:127], v124
	s_waitcnt vmcnt(0) lgkmcnt(0)
	v_mul_f64 v[121:122], v[121:122], v[126:127]
	s_cbranch_execz .LBB123_20
	s_branch .LBB123_21
.LBB123_19:
                                        ; implicit-def: $vgpr121_vgpr122
.LBB123_20:
	ds_read_b64 v[121:122], v124
.LBB123_21:
	s_and_saveexec_b64 s[12:13], s[6:7]
	s_cbranch_execz .LBB123_25
; %bb.22:
	v_subrev_u32_e32 v126, 57, v0
	s_movk_i32 s72, 0x3a8
	s_mov_b64 s[6:7], 0
.LBB123_23:                             ; =>This Inner Loop Header: Depth=1
	v_mov_b32_e32 v128, s71
	buffer_load_dword v127, v128, s[0:3], 0 offen
	s_nop 0
	buffer_load_dword v128, v128, s[0:3], 0 offen offset:4
	v_mov_b32_e32 v129, s72
	ds_read_b64 v[129:130], v129
	v_add_u32_e32 v126, -1, v126
	s_add_i32 s72, s72, 8
	s_add_i32 s71, s71, 8
	v_cmp_eq_u32_e32 vcc, 0, v126
	s_or_b64 s[6:7], vcc, s[6:7]
	s_waitcnt vmcnt(0) lgkmcnt(0)
	v_fma_f64 v[121:122], v[127:128], v[129:130], v[121:122]
	s_andn2_b64 exec, exec, s[6:7]
	s_cbranch_execnz .LBB123_23
; %bb.24:
	s_or_b64 exec, exec, s[6:7]
.LBB123_25:
	s_or_b64 exec, exec, s[12:13]
	v_mov_b32_e32 v126, 0
	ds_read_b64 v[126:127], v126 offset:448
	s_waitcnt lgkmcnt(0)
	v_mul_f64 v[121:122], v[121:122], v[126:127]
	buffer_store_dword v122, off, s[0:3], 0 offset:452
	buffer_store_dword v121, off, s[0:3], 0 offset:448
.LBB123_26:
	s_or_b64 exec, exec, s[8:9]
	buffer_load_dword v121, off, s[0:3], 0 offset:440
	buffer_load_dword v122, off, s[0:3], 0 offset:444
	v_cmp_lt_u32_e64 s[6:7], 55, v0
	s_waitcnt vmcnt(0)
	ds_write_b64 v124, v[121:122]
	s_waitcnt lgkmcnt(0)
	; wave barrier
	s_and_saveexec_b64 s[8:9], s[6:7]
	s_cbranch_execz .LBB123_36
; %bb.27:
	s_andn2_b64 vcc, exec, s[10:11]
	s_cbranch_vccnz .LBB123_29
; %bb.28:
	buffer_load_dword v121, v125, s[0:3], 0 offen
	buffer_load_dword v122, v125, s[0:3], 0 offen offset:4
	ds_read_b64 v[126:127], v124
	s_waitcnt vmcnt(0) lgkmcnt(0)
	v_mul_f64 v[121:122], v[121:122], v[126:127]
	s_cbranch_execz .LBB123_30
	s_branch .LBB123_31
.LBB123_29:
                                        ; implicit-def: $vgpr121_vgpr122
.LBB123_30:
	ds_read_b64 v[121:122], v124
.LBB123_31:
	s_and_saveexec_b64 s[12:13], s[4:5]
	s_cbranch_execz .LBB123_35
; %bb.32:
	v_subrev_u32_e32 v126, 56, v0
	s_movk_i32 s71, 0x3a0
	s_mov_b64 s[4:5], 0
.LBB123_33:                             ; =>This Inner Loop Header: Depth=1
	v_mov_b32_e32 v128, s70
	buffer_load_dword v127, v128, s[0:3], 0 offen
	s_nop 0
	buffer_load_dword v128, v128, s[0:3], 0 offen offset:4
	v_mov_b32_e32 v129, s71
	ds_read_b64 v[129:130], v129
	v_add_u32_e32 v126, -1, v126
	s_add_i32 s71, s71, 8
	s_add_i32 s70, s70, 8
	v_cmp_eq_u32_e32 vcc, 0, v126
	s_or_b64 s[4:5], vcc, s[4:5]
	s_waitcnt vmcnt(0) lgkmcnt(0)
	v_fma_f64 v[121:122], v[127:128], v[129:130], v[121:122]
	s_andn2_b64 exec, exec, s[4:5]
	s_cbranch_execnz .LBB123_33
; %bb.34:
	s_or_b64 exec, exec, s[4:5]
.LBB123_35:
	s_or_b64 exec, exec, s[12:13]
	v_mov_b32_e32 v126, 0
	ds_read_b64 v[126:127], v126 offset:440
	s_waitcnt lgkmcnt(0)
	v_mul_f64 v[121:122], v[121:122], v[126:127]
	buffer_store_dword v122, off, s[0:3], 0 offset:444
	buffer_store_dword v121, off, s[0:3], 0 offset:440
.LBB123_36:
	;; [unrolled: 59-line block ×8, first 2 shown]
	s_or_b64 exec, exec, s[8:9]
	buffer_load_dword v121, off, s[0:3], 0 offset:384
	buffer_load_dword v122, off, s[0:3], 0 offset:388
	v_cmp_lt_u32_e64 s[4:5], 48, v0
	s_waitcnt vmcnt(0)
	ds_write_b64 v124, v[121:122]
	s_waitcnt lgkmcnt(0)
	; wave barrier
	s_and_saveexec_b64 s[8:9], s[4:5]
	s_cbranch_execz .LBB123_106
; %bb.97:
	s_andn2_b64 vcc, exec, s[10:11]
	s_cbranch_vccnz .LBB123_99
; %bb.98:
	buffer_load_dword v121, v125, s[0:3], 0 offen
	buffer_load_dword v122, v125, s[0:3], 0 offen offset:4
	ds_read_b64 v[126:127], v124
	s_waitcnt vmcnt(0) lgkmcnt(0)
	v_mul_f64 v[121:122], v[121:122], v[126:127]
	s_cbranch_execz .LBB123_100
	s_branch .LBB123_101
.LBB123_99:
                                        ; implicit-def: $vgpr121_vgpr122
.LBB123_100:
	ds_read_b64 v[121:122], v124
.LBB123_101:
	s_and_saveexec_b64 s[12:13], s[6:7]
	s_cbranch_execz .LBB123_105
; %bb.102:
	v_subrev_u32_e32 v126, 49, v0
	s_movk_i32 s64, 0x368
	s_mov_b64 s[6:7], 0
.LBB123_103:                            ; =>This Inner Loop Header: Depth=1
	v_mov_b32_e32 v128, s63
	buffer_load_dword v127, v128, s[0:3], 0 offen
	s_nop 0
	buffer_load_dword v128, v128, s[0:3], 0 offen offset:4
	v_mov_b32_e32 v129, s64
	ds_read_b64 v[129:130], v129
	v_add_u32_e32 v126, -1, v126
	s_add_i32 s64, s64, 8
	s_add_i32 s63, s63, 8
	v_cmp_eq_u32_e32 vcc, 0, v126
	s_or_b64 s[6:7], vcc, s[6:7]
	s_waitcnt vmcnt(0) lgkmcnt(0)
	v_fma_f64 v[121:122], v[127:128], v[129:130], v[121:122]
	s_andn2_b64 exec, exec, s[6:7]
	s_cbranch_execnz .LBB123_103
; %bb.104:
	s_or_b64 exec, exec, s[6:7]
.LBB123_105:
	s_or_b64 exec, exec, s[12:13]
	v_mov_b32_e32 v126, 0
	ds_read_b64 v[126:127], v126 offset:384
	s_waitcnt lgkmcnt(0)
	v_mul_f64 v[121:122], v[121:122], v[126:127]
	buffer_store_dword v122, off, s[0:3], 0 offset:388
	buffer_store_dword v121, off, s[0:3], 0 offset:384
.LBB123_106:
	s_or_b64 exec, exec, s[8:9]
	buffer_load_dword v121, off, s[0:3], 0 offset:376
	buffer_load_dword v122, off, s[0:3], 0 offset:380
	v_cmp_lt_u32_e64 s[6:7], 47, v0
	s_waitcnt vmcnt(0)
	ds_write_b64 v124, v[121:122]
	s_waitcnt lgkmcnt(0)
	; wave barrier
	s_and_saveexec_b64 s[8:9], s[6:7]
	s_cbranch_execz .LBB123_116
; %bb.107:
	s_andn2_b64 vcc, exec, s[10:11]
	s_cbranch_vccnz .LBB123_109
; %bb.108:
	buffer_load_dword v121, v125, s[0:3], 0 offen
	buffer_load_dword v122, v125, s[0:3], 0 offen offset:4
	ds_read_b64 v[126:127], v124
	s_waitcnt vmcnt(0) lgkmcnt(0)
	v_mul_f64 v[121:122], v[121:122], v[126:127]
	s_cbranch_execz .LBB123_110
	s_branch .LBB123_111
.LBB123_109:
                                        ; implicit-def: $vgpr121_vgpr122
.LBB123_110:
	ds_read_b64 v[121:122], v124
.LBB123_111:
	s_and_saveexec_b64 s[12:13], s[4:5]
	s_cbranch_execz .LBB123_115
; %bb.112:
	v_subrev_u32_e32 v126, 48, v0
	s_movk_i32 s63, 0x360
	s_mov_b64 s[4:5], 0
.LBB123_113:                            ; =>This Inner Loop Header: Depth=1
	v_mov_b32_e32 v128, s62
	buffer_load_dword v127, v128, s[0:3], 0 offen
	s_nop 0
	buffer_load_dword v128, v128, s[0:3], 0 offen offset:4
	v_mov_b32_e32 v129, s63
	ds_read_b64 v[129:130], v129
	v_add_u32_e32 v126, -1, v126
	s_add_i32 s63, s63, 8
	s_add_i32 s62, s62, 8
	v_cmp_eq_u32_e32 vcc, 0, v126
	s_or_b64 s[4:5], vcc, s[4:5]
	s_waitcnt vmcnt(0) lgkmcnt(0)
	v_fma_f64 v[121:122], v[127:128], v[129:130], v[121:122]
	s_andn2_b64 exec, exec, s[4:5]
	s_cbranch_execnz .LBB123_113
; %bb.114:
	s_or_b64 exec, exec, s[4:5]
.LBB123_115:
	s_or_b64 exec, exec, s[12:13]
	v_mov_b32_e32 v126, 0
	ds_read_b64 v[126:127], v126 offset:376
	s_waitcnt lgkmcnt(0)
	v_mul_f64 v[121:122], v[121:122], v[126:127]
	buffer_store_dword v122, off, s[0:3], 0 offset:380
	buffer_store_dword v121, off, s[0:3], 0 offset:376
.LBB123_116:
	;; [unrolled: 59-line block ×33, first 2 shown]
	s_or_b64 exec, exec, s[8:9]
	buffer_load_dword v121, off, s[0:3], 0 offset:120
	buffer_load_dword v122, off, s[0:3], 0 offset:124
	v_cmp_lt_u32_e64 s[6:7], 15, v0
	s_waitcnt vmcnt(0)
	ds_write_b64 v124, v[121:122]
	s_waitcnt lgkmcnt(0)
	; wave barrier
	s_and_saveexec_b64 s[8:9], s[6:7]
	s_cbranch_execz .LBB123_436
; %bb.427:
	s_andn2_b64 vcc, exec, s[10:11]
	s_cbranch_vccnz .LBB123_429
; %bb.428:
	buffer_load_dword v121, v125, s[0:3], 0 offen
	buffer_load_dword v122, v125, s[0:3], 0 offen offset:4
	ds_read_b64 v[126:127], v124
	s_waitcnt vmcnt(0) lgkmcnt(0)
	v_mul_f64 v[121:122], v[121:122], v[126:127]
	s_cbranch_execz .LBB123_430
	s_branch .LBB123_431
.LBB123_429:
                                        ; implicit-def: $vgpr121_vgpr122
.LBB123_430:
	ds_read_b64 v[121:122], v124
.LBB123_431:
	s_and_saveexec_b64 s[12:13], s[4:5]
	s_cbranch_execz .LBB123_435
; %bb.432:
	v_add_u32_e32 v126, -16, v0
	s_movk_i32 s30, 0x260
	s_mov_b64 s[4:5], 0
.LBB123_433:                            ; =>This Inner Loop Header: Depth=1
	v_mov_b32_e32 v128, s29
	buffer_load_dword v127, v128, s[0:3], 0 offen
	s_nop 0
	buffer_load_dword v128, v128, s[0:3], 0 offen offset:4
	v_mov_b32_e32 v129, s30
	ds_read_b64 v[129:130], v129
	v_add_u32_e32 v126, -1, v126
	s_add_i32 s30, s30, 8
	s_add_i32 s29, s29, 8
	v_cmp_eq_u32_e32 vcc, 0, v126
	s_or_b64 s[4:5], vcc, s[4:5]
	s_waitcnt vmcnt(0) lgkmcnt(0)
	v_fma_f64 v[121:122], v[127:128], v[129:130], v[121:122]
	s_andn2_b64 exec, exec, s[4:5]
	s_cbranch_execnz .LBB123_433
; %bb.434:
	s_or_b64 exec, exec, s[4:5]
.LBB123_435:
	s_or_b64 exec, exec, s[12:13]
	v_mov_b32_e32 v126, 0
	ds_read_b64 v[126:127], v126 offset:120
	s_waitcnt lgkmcnt(0)
	v_mul_f64 v[121:122], v[121:122], v[126:127]
	buffer_store_dword v122, off, s[0:3], 0 offset:124
	buffer_store_dword v121, off, s[0:3], 0 offset:120
.LBB123_436:
	s_or_b64 exec, exec, s[8:9]
	buffer_load_dword v121, off, s[0:3], 0 offset:112
	buffer_load_dword v122, off, s[0:3], 0 offset:116
	v_cmp_lt_u32_e64 s[4:5], 14, v0
	s_waitcnt vmcnt(0)
	ds_write_b64 v124, v[121:122]
	s_waitcnt lgkmcnt(0)
	; wave barrier
	s_and_saveexec_b64 s[8:9], s[4:5]
	s_cbranch_execz .LBB123_446
; %bb.437:
	s_andn2_b64 vcc, exec, s[10:11]
	s_cbranch_vccnz .LBB123_439
; %bb.438:
	buffer_load_dword v121, v125, s[0:3], 0 offen
	buffer_load_dword v122, v125, s[0:3], 0 offen offset:4
	ds_read_b64 v[126:127], v124
	s_waitcnt vmcnt(0) lgkmcnt(0)
	v_mul_f64 v[121:122], v[121:122], v[126:127]
	s_cbranch_execz .LBB123_440
	s_branch .LBB123_441
.LBB123_439:
                                        ; implicit-def: $vgpr121_vgpr122
.LBB123_440:
	ds_read_b64 v[121:122], v124
.LBB123_441:
	s_and_saveexec_b64 s[12:13], s[6:7]
	s_cbranch_execz .LBB123_445
; %bb.442:
	v_add_u32_e32 v126, -15, v0
	s_movk_i32 s29, 0x258
	s_mov_b64 s[6:7], 0
.LBB123_443:                            ; =>This Inner Loop Header: Depth=1
	v_mov_b32_e32 v128, s28
	buffer_load_dword v127, v128, s[0:3], 0 offen
	s_nop 0
	buffer_load_dword v128, v128, s[0:3], 0 offen offset:4
	v_mov_b32_e32 v129, s29
	ds_read_b64 v[129:130], v129
	v_add_u32_e32 v126, -1, v126
	s_add_i32 s29, s29, 8
	s_add_i32 s28, s28, 8
	v_cmp_eq_u32_e32 vcc, 0, v126
	s_or_b64 s[6:7], vcc, s[6:7]
	s_waitcnt vmcnt(0) lgkmcnt(0)
	v_fma_f64 v[121:122], v[127:128], v[129:130], v[121:122]
	s_andn2_b64 exec, exec, s[6:7]
	s_cbranch_execnz .LBB123_443
; %bb.444:
	s_or_b64 exec, exec, s[6:7]
.LBB123_445:
	s_or_b64 exec, exec, s[12:13]
	v_mov_b32_e32 v126, 0
	ds_read_b64 v[126:127], v126 offset:112
	s_waitcnt lgkmcnt(0)
	v_mul_f64 v[121:122], v[121:122], v[126:127]
	buffer_store_dword v122, off, s[0:3], 0 offset:116
	buffer_store_dword v121, off, s[0:3], 0 offset:112
.LBB123_446:
	;; [unrolled: 59-line block ×15, first 2 shown]
	s_or_b64 exec, exec, s[8:9]
	buffer_load_dword v121, off, s[0:3], 0
	buffer_load_dword v122, off, s[0:3], 0 offset:4
	v_cmp_ne_u32_e32 vcc, 0, v0
	s_waitcnt vmcnt(0)
	ds_write_b64 v124, v[121:122]
	s_waitcnt lgkmcnt(0)
	; wave barrier
	s_and_saveexec_b64 s[4:5], vcc
	s_cbranch_execz .LBB123_586
; %bb.577:
	s_andn2_b64 vcc, exec, s[10:11]
	s_cbranch_vccnz .LBB123_579
; %bb.578:
	buffer_load_dword v121, v125, s[0:3], 0 offen
	buffer_load_dword v122, v125, s[0:3], 0 offen offset:4
	ds_read_b64 v[126:127], v124
	s_waitcnt vmcnt(0) lgkmcnt(0)
	v_mul_f64 v[121:122], v[121:122], v[126:127]
	s_cbranch_execz .LBB123_580
	s_branch .LBB123_581
.LBB123_579:
                                        ; implicit-def: $vgpr121_vgpr122
.LBB123_580:
	ds_read_b64 v[121:122], v124
.LBB123_581:
	s_and_saveexec_b64 s[8:9], s[6:7]
	s_cbranch_execz .LBB123_585
; %bb.582:
	v_add_u32_e32 v126, -1, v0
	s_movk_i32 s12, 0x1e8
	s_mov_b64 s[6:7], 0
.LBB123_583:                            ; =>This Inner Loop Header: Depth=1
	v_mov_b32_e32 v128, s14
	buffer_load_dword v127, v128, s[0:3], 0 offen
	s_nop 0
	buffer_load_dword v128, v128, s[0:3], 0 offen offset:4
	v_mov_b32_e32 v129, s12
	ds_read_b64 v[129:130], v129
	v_add_u32_e32 v126, -1, v126
	s_add_i32 s12, s12, 8
	s_add_i32 s14, s14, 8
	v_cmp_eq_u32_e32 vcc, 0, v126
	s_or_b64 s[6:7], vcc, s[6:7]
	s_waitcnt vmcnt(0) lgkmcnt(0)
	v_fma_f64 v[121:122], v[127:128], v[129:130], v[121:122]
	s_andn2_b64 exec, exec, s[6:7]
	s_cbranch_execnz .LBB123_583
; %bb.584:
	s_or_b64 exec, exec, s[6:7]
.LBB123_585:
	s_or_b64 exec, exec, s[8:9]
	v_mov_b32_e32 v126, 0
	ds_read_b64 v[126:127], v126
	s_waitcnt lgkmcnt(0)
	v_mul_f64 v[121:122], v[121:122], v[126:127]
	buffer_store_dword v122, off, s[0:3], 0 offset:4
	buffer_store_dword v121, off, s[0:3], 0
.LBB123_586:
	s_or_b64 exec, exec, s[4:5]
	s_mov_b64 s[4:5], 0
.LBB123_587:
	s_and_b64 vcc, exec, s[4:5]
	s_cbranch_vccz .LBB123_1169
; %bb.588:
	buffer_load_dword v121, off, s[0:3], 0 offset:8
	buffer_load_dword v122, off, s[0:3], 0 offset:12
	v_cmp_eq_u32_e64 s[6:7], 0, v0
	s_waitcnt vmcnt(0)
	ds_write_b64 v124, v[121:122]
	s_waitcnt lgkmcnt(0)
	; wave barrier
	s_and_saveexec_b64 s[4:5], s[6:7]
	s_cbranch_execz .LBB123_594
; %bb.589:
	s_and_b64 vcc, exec, s[10:11]
	s_cbranch_vccz .LBB123_591
; %bb.590:
	buffer_load_dword v121, v125, s[0:3], 0 offen
	buffer_load_dword v122, v125, s[0:3], 0 offen offset:4
	ds_read_b64 v[126:127], v124
	s_waitcnt vmcnt(0) lgkmcnt(0)
	v_mul_f64 v[121:122], v[121:122], v[126:127]
	s_cbranch_execz .LBB123_592
	s_branch .LBB123_593
.LBB123_591:
                                        ; implicit-def: $vgpr121_vgpr122
.LBB123_592:
	ds_read_b64 v[121:122], v124
.LBB123_593:
	v_mov_b32_e32 v126, 0
	ds_read_b64 v[126:127], v126 offset:8
	s_waitcnt lgkmcnt(0)
	v_mul_f64 v[121:122], v[121:122], v[126:127]
	buffer_store_dword v122, off, s[0:3], 0 offset:12
	buffer_store_dword v121, off, s[0:3], 0 offset:8
.LBB123_594:
	s_or_b64 exec, exec, s[4:5]
	buffer_load_dword v121, off, s[0:3], 0 offset:16
	buffer_load_dword v122, off, s[0:3], 0 offset:20
	v_cndmask_b32_e64 v126, 0, 1, s[10:11]
	v_cmp_gt_u32_e32 vcc, 2, v0
	v_cmp_ne_u32_e64 s[4:5], 1, v126
	s_waitcnt vmcnt(0)
	ds_write_b64 v124, v[121:122]
	s_waitcnt lgkmcnt(0)
	; wave barrier
	s_and_saveexec_b64 s[8:9], vcc
	s_cbranch_execz .LBB123_600
; %bb.595:
	s_and_b64 vcc, exec, s[4:5]
	s_cbranch_vccnz .LBB123_597
; %bb.596:
	buffer_load_dword v121, v125, s[0:3], 0 offen
	buffer_load_dword v122, v125, s[0:3], 0 offen offset:4
	ds_read_b64 v[126:127], v124
	s_waitcnt vmcnt(0) lgkmcnt(0)
	v_mul_f64 v[121:122], v[121:122], v[126:127]
	s_cbranch_execz .LBB123_598
	s_branch .LBB123_599
.LBB123_597:
                                        ; implicit-def: $vgpr121_vgpr122
.LBB123_598:
	ds_read_b64 v[121:122], v124
.LBB123_599:
	buffer_load_dword v130, off, s[0:3], 0 offset:8
	buffer_load_dword v131, off, s[0:3], 0 offset:12
	v_mov_b32_e32 v126, 0
	ds_read2_b64 v[126:129], v126 offset0:2 offset1:61
	s_waitcnt vmcnt(0) lgkmcnt(0)
	v_fma_f64 v[128:129], v[130:131], v[128:129], v[121:122]
	v_cndmask_b32_e64 v122, v122, v129, s[6:7]
	v_cndmask_b32_e64 v121, v121, v128, s[6:7]
	v_mul_f64 v[121:122], v[121:122], v[126:127]
	buffer_store_dword v122, off, s[0:3], 0 offset:20
	buffer_store_dword v121, off, s[0:3], 0 offset:16
.LBB123_600:
	s_or_b64 exec, exec, s[8:9]
	buffer_load_dword v121, off, s[0:3], 0 offset:24
	buffer_load_dword v122, off, s[0:3], 0 offset:28
	v_cmp_gt_u32_e32 vcc, 3, v0
	s_waitcnt vmcnt(0)
	ds_write_b64 v124, v[121:122]
	s_waitcnt lgkmcnt(0)
	; wave barrier
	s_and_saveexec_b64 s[8:9], vcc
	s_cbranch_execz .LBB123_608
; %bb.601:
	s_and_b64 vcc, exec, s[4:5]
	s_cbranch_vccnz .LBB123_603
; %bb.602:
	buffer_load_dword v121, v125, s[0:3], 0 offen
	buffer_load_dword v122, v125, s[0:3], 0 offen offset:4
	ds_read_b64 v[126:127], v124
	s_waitcnt vmcnt(0) lgkmcnt(0)
	v_mul_f64 v[121:122], v[121:122], v[126:127]
	s_cbranch_execz .LBB123_604
	s_branch .LBB123_605
.LBB123_603:
                                        ; implicit-def: $vgpr121_vgpr122
.LBB123_604:
	ds_read_b64 v[121:122], v124
.LBB123_605:
	v_cmp_ne_u32_e32 vcc, 2, v0
	s_and_saveexec_b64 s[10:11], vcc
	s_cbranch_execz .LBB123_607
; %bb.606:
	buffer_load_dword v126, v125, s[0:3], 0 offen offset:8
	buffer_load_dword v127, v125, s[0:3], 0 offen offset:12
	buffer_load_dword v128, off, s[0:3], 0 offset:16
	buffer_load_dword v129, off, s[0:3], 0 offset:20
	ds_read_b64 v[130:131], v124 offset:8
	v_mov_b32_e32 v132, 0
	ds_read_b64 v[132:133], v132 offset:496
	s_waitcnt vmcnt(2) lgkmcnt(1)
	v_fma_f64 v[121:122], v[126:127], v[130:131], v[121:122]
	s_waitcnt vmcnt(0) lgkmcnt(0)
	v_fma_f64 v[126:127], v[128:129], v[132:133], v[121:122]
	v_cndmask_b32_e64 v122, v122, v127, s[6:7]
	v_cndmask_b32_e64 v121, v121, v126, s[6:7]
.LBB123_607:
	s_or_b64 exec, exec, s[10:11]
	v_mov_b32_e32 v126, 0
	ds_read_b64 v[126:127], v126 offset:24
	s_waitcnt lgkmcnt(0)
	v_mul_f64 v[121:122], v[121:122], v[126:127]
	buffer_store_dword v122, off, s[0:3], 0 offset:28
	buffer_store_dword v121, off, s[0:3], 0 offset:24
.LBB123_608:
	s_or_b64 exec, exec, s[8:9]
	buffer_load_dword v121, off, s[0:3], 0 offset:32
	buffer_load_dword v122, off, s[0:3], 0 offset:36
	v_cmp_gt_u32_e32 vcc, 4, v0
	s_waitcnt vmcnt(0)
	ds_write_b64 v124, v[121:122]
	s_waitcnt lgkmcnt(0)
	; wave barrier
	s_and_saveexec_b64 s[6:7], vcc
	s_cbranch_execz .LBB123_618
; %bb.609:
	s_and_b64 vcc, exec, s[4:5]
	s_cbranch_vccnz .LBB123_611
; %bb.610:
	buffer_load_dword v121, v125, s[0:3], 0 offen
	buffer_load_dword v122, v125, s[0:3], 0 offen offset:4
	ds_read_b64 v[126:127], v124
	s_waitcnt vmcnt(0) lgkmcnt(0)
	v_mul_f64 v[121:122], v[121:122], v[126:127]
	s_cbranch_execz .LBB123_612
	s_branch .LBB123_613
.LBB123_611:
                                        ; implicit-def: $vgpr121_vgpr122
.LBB123_612:
	ds_read_b64 v[121:122], v124
.LBB123_613:
	v_cmp_ne_u32_e32 vcc, 3, v0
	s_and_saveexec_b64 s[8:9], vcc
	s_cbranch_execz .LBB123_617
; %bb.614:
	s_mov_b32 s10, 0
	v_add_u32_e32 v126, 0x1e8, v123
	v_add3_u32 v127, v123, s10, 8
	s_mov_b64 s[10:11], 0
	v_mov_b32_e32 v128, v0
.LBB123_615:                            ; =>This Inner Loop Header: Depth=1
	buffer_load_dword v129, v127, s[0:3], 0 offen
	buffer_load_dword v130, v127, s[0:3], 0 offen offset:4
	ds_read_b64 v[131:132], v126
	v_add_u32_e32 v128, 1, v128
	v_cmp_lt_u32_e32 vcc, 2, v128
	v_add_u32_e32 v126, 8, v126
	s_or_b64 s[10:11], vcc, s[10:11]
	v_add_u32_e32 v127, 8, v127
	s_waitcnt vmcnt(0) lgkmcnt(0)
	v_fma_f64 v[121:122], v[129:130], v[131:132], v[121:122]
	s_andn2_b64 exec, exec, s[10:11]
	s_cbranch_execnz .LBB123_615
; %bb.616:
	s_or_b64 exec, exec, s[10:11]
.LBB123_617:
	s_or_b64 exec, exec, s[8:9]
	v_mov_b32_e32 v126, 0
	ds_read_b64 v[126:127], v126 offset:32
	s_waitcnt lgkmcnt(0)
	v_mul_f64 v[121:122], v[121:122], v[126:127]
	buffer_store_dword v122, off, s[0:3], 0 offset:36
	buffer_store_dword v121, off, s[0:3], 0 offset:32
.LBB123_618:
	s_or_b64 exec, exec, s[6:7]
	buffer_load_dword v121, off, s[0:3], 0 offset:40
	buffer_load_dword v122, off, s[0:3], 0 offset:44
	v_cmp_gt_u32_e32 vcc, 5, v0
	s_waitcnt vmcnt(0)
	ds_write_b64 v124, v[121:122]
	s_waitcnt lgkmcnt(0)
	; wave barrier
	s_and_saveexec_b64 s[6:7], vcc
	s_cbranch_execz .LBB123_628
; %bb.619:
	s_and_b64 vcc, exec, s[4:5]
	s_cbranch_vccnz .LBB123_621
; %bb.620:
	buffer_load_dword v121, v125, s[0:3], 0 offen
	buffer_load_dword v122, v125, s[0:3], 0 offen offset:4
	ds_read_b64 v[126:127], v124
	s_waitcnt vmcnt(0) lgkmcnt(0)
	v_mul_f64 v[121:122], v[121:122], v[126:127]
	s_cbranch_execz .LBB123_622
	s_branch .LBB123_623
.LBB123_621:
                                        ; implicit-def: $vgpr121_vgpr122
.LBB123_622:
	ds_read_b64 v[121:122], v124
.LBB123_623:
	v_cmp_ne_u32_e32 vcc, 4, v0
	s_and_saveexec_b64 s[8:9], vcc
	s_cbranch_execz .LBB123_627
; %bb.624:
	s_mov_b32 s10, 0
	v_add_u32_e32 v126, 0x1e8, v123
	v_add3_u32 v127, v123, s10, 8
	s_mov_b64 s[10:11], 0
	v_mov_b32_e32 v128, v0
.LBB123_625:                            ; =>This Inner Loop Header: Depth=1
	buffer_load_dword v129, v127, s[0:3], 0 offen
	buffer_load_dword v130, v127, s[0:3], 0 offen offset:4
	ds_read_b64 v[131:132], v126
	v_add_u32_e32 v128, 1, v128
	v_cmp_lt_u32_e32 vcc, 3, v128
	v_add_u32_e32 v126, 8, v126
	s_or_b64 s[10:11], vcc, s[10:11]
	v_add_u32_e32 v127, 8, v127
	s_waitcnt vmcnt(0) lgkmcnt(0)
	v_fma_f64 v[121:122], v[129:130], v[131:132], v[121:122]
	s_andn2_b64 exec, exec, s[10:11]
	s_cbranch_execnz .LBB123_625
; %bb.626:
	s_or_b64 exec, exec, s[10:11]
.LBB123_627:
	s_or_b64 exec, exec, s[8:9]
	v_mov_b32_e32 v126, 0
	ds_read_b64 v[126:127], v126 offset:40
	s_waitcnt lgkmcnt(0)
	v_mul_f64 v[121:122], v[121:122], v[126:127]
	buffer_store_dword v122, off, s[0:3], 0 offset:44
	buffer_store_dword v121, off, s[0:3], 0 offset:40
.LBB123_628:
	;; [unrolled: 59-line block ×39, first 2 shown]
	s_or_b64 exec, exec, s[6:7]
	buffer_load_dword v121, off, s[0:3], 0 offset:344
	buffer_load_dword v122, off, s[0:3], 0 offset:348
	v_cmp_gt_u32_e32 vcc, 43, v0
	s_waitcnt vmcnt(0)
	ds_write_b64 v124, v[121:122]
	s_waitcnt lgkmcnt(0)
	; wave barrier
	s_and_saveexec_b64 s[6:7], vcc
	s_cbranch_execz .LBB123_1008
; %bb.999:
	s_and_b64 vcc, exec, s[4:5]
	s_cbranch_vccnz .LBB123_1001
; %bb.1000:
	buffer_load_dword v121, v125, s[0:3], 0 offen
	buffer_load_dword v122, v125, s[0:3], 0 offen offset:4
	ds_read_b64 v[126:127], v124
	s_waitcnt vmcnt(0) lgkmcnt(0)
	v_mul_f64 v[121:122], v[121:122], v[126:127]
	s_cbranch_execz .LBB123_1002
	s_branch .LBB123_1003
.LBB123_1001:
                                        ; implicit-def: $vgpr121_vgpr122
.LBB123_1002:
	ds_read_b64 v[121:122], v124
.LBB123_1003:
	v_cmp_ne_u32_e32 vcc, 42, v0
	s_and_saveexec_b64 s[8:9], vcc
	s_cbranch_execz .LBB123_1007
; %bb.1004:
	s_mov_b32 s10, 0
	v_add_u32_e32 v126, 0x1e8, v123
	v_add3_u32 v127, v123, s10, 8
	s_mov_b64 s[10:11], 0
	v_mov_b32_e32 v128, v0
.LBB123_1005:                           ; =>This Inner Loop Header: Depth=1
	buffer_load_dword v129, v127, s[0:3], 0 offen
	buffer_load_dword v130, v127, s[0:3], 0 offen offset:4
	ds_read_b64 v[131:132], v126
	v_add_u32_e32 v128, 1, v128
	v_cmp_lt_u32_e32 vcc, 41, v128
	v_add_u32_e32 v126, 8, v126
	s_or_b64 s[10:11], vcc, s[10:11]
	v_add_u32_e32 v127, 8, v127
	s_waitcnt vmcnt(0) lgkmcnt(0)
	v_fma_f64 v[121:122], v[129:130], v[131:132], v[121:122]
	s_andn2_b64 exec, exec, s[10:11]
	s_cbranch_execnz .LBB123_1005
; %bb.1006:
	s_or_b64 exec, exec, s[10:11]
.LBB123_1007:
	s_or_b64 exec, exec, s[8:9]
	v_mov_b32_e32 v126, 0
	ds_read_b64 v[126:127], v126 offset:344
	s_waitcnt lgkmcnt(0)
	v_mul_f64 v[121:122], v[121:122], v[126:127]
	buffer_store_dword v122, off, s[0:3], 0 offset:348
	buffer_store_dword v121, off, s[0:3], 0 offset:344
.LBB123_1008:
	s_or_b64 exec, exec, s[6:7]
	buffer_load_dword v121, off, s[0:3], 0 offset:352
	buffer_load_dword v122, off, s[0:3], 0 offset:356
	v_cmp_gt_u32_e32 vcc, 44, v0
	s_waitcnt vmcnt(0)
	ds_write_b64 v124, v[121:122]
	s_waitcnt lgkmcnt(0)
	; wave barrier
	s_and_saveexec_b64 s[6:7], vcc
	s_cbranch_execz .LBB123_1018
; %bb.1009:
	s_and_b64 vcc, exec, s[4:5]
	s_cbranch_vccnz .LBB123_1011
; %bb.1010:
	buffer_load_dword v121, v125, s[0:3], 0 offen
	buffer_load_dword v122, v125, s[0:3], 0 offen offset:4
	ds_read_b64 v[126:127], v124
	s_waitcnt vmcnt(0) lgkmcnt(0)
	v_mul_f64 v[121:122], v[121:122], v[126:127]
	s_cbranch_execz .LBB123_1012
	s_branch .LBB123_1013
.LBB123_1011:
                                        ; implicit-def: $vgpr121_vgpr122
.LBB123_1012:
	ds_read_b64 v[121:122], v124
.LBB123_1013:
	v_cmp_ne_u32_e32 vcc, 43, v0
	s_and_saveexec_b64 s[8:9], vcc
	s_cbranch_execz .LBB123_1017
; %bb.1014:
	s_mov_b32 s10, 0
	v_add_u32_e32 v126, 0x1e8, v123
	v_add3_u32 v127, v123, s10, 8
	s_mov_b64 s[10:11], 0
	v_mov_b32_e32 v128, v0
.LBB123_1015:                           ; =>This Inner Loop Header: Depth=1
	buffer_load_dword v129, v127, s[0:3], 0 offen
	buffer_load_dword v130, v127, s[0:3], 0 offen offset:4
	ds_read_b64 v[131:132], v126
	v_add_u32_e32 v128, 1, v128
	v_cmp_lt_u32_e32 vcc, 42, v128
	v_add_u32_e32 v126, 8, v126
	s_or_b64 s[10:11], vcc, s[10:11]
	v_add_u32_e32 v127, 8, v127
	s_waitcnt vmcnt(0) lgkmcnt(0)
	v_fma_f64 v[121:122], v[129:130], v[131:132], v[121:122]
	s_andn2_b64 exec, exec, s[10:11]
	s_cbranch_execnz .LBB123_1015
; %bb.1016:
	s_or_b64 exec, exec, s[10:11]
.LBB123_1017:
	s_or_b64 exec, exec, s[8:9]
	v_mov_b32_e32 v126, 0
	ds_read_b64 v[126:127], v126 offset:352
	s_waitcnt lgkmcnt(0)
	v_mul_f64 v[121:122], v[121:122], v[126:127]
	buffer_store_dword v122, off, s[0:3], 0 offset:356
	buffer_store_dword v121, off, s[0:3], 0 offset:352
.LBB123_1018:
	;; [unrolled: 59-line block ×15, first 2 shown]
	s_or_b64 exec, exec, s[6:7]
	buffer_load_dword v121, off, s[0:3], 0 offset:464
	buffer_load_dword v122, off, s[0:3], 0 offset:468
	v_cmp_gt_u32_e64 s[6:7], 58, v0
	s_waitcnt vmcnt(0)
	ds_write_b64 v124, v[121:122]
	s_waitcnt lgkmcnt(0)
	; wave barrier
	s_and_saveexec_b64 s[8:9], s[6:7]
	s_cbranch_execz .LBB123_1158
; %bb.1149:
	s_and_b64 vcc, exec, s[4:5]
	s_cbranch_vccnz .LBB123_1151
; %bb.1150:
	buffer_load_dword v121, v125, s[0:3], 0 offen
	buffer_load_dword v122, v125, s[0:3], 0 offen offset:4
	ds_read_b64 v[126:127], v124
	s_waitcnt vmcnt(0) lgkmcnt(0)
	v_mul_f64 v[121:122], v[121:122], v[126:127]
	s_cbranch_execz .LBB123_1152
	s_branch .LBB123_1153
.LBB123_1151:
                                        ; implicit-def: $vgpr121_vgpr122
.LBB123_1152:
	ds_read_b64 v[121:122], v124
.LBB123_1153:
	v_cmp_ne_u32_e32 vcc, 57, v0
	s_and_saveexec_b64 s[10:11], vcc
	s_cbranch_execz .LBB123_1157
; %bb.1154:
	s_mov_b32 s12, 0
	v_add_u32_e32 v126, 0x1e8, v123
	v_add3_u32 v127, v123, s12, 8
	s_mov_b64 s[12:13], 0
	v_mov_b32_e32 v128, v0
.LBB123_1155:                           ; =>This Inner Loop Header: Depth=1
	buffer_load_dword v129, v127, s[0:3], 0 offen
	buffer_load_dword v130, v127, s[0:3], 0 offen offset:4
	ds_read_b64 v[131:132], v126
	v_add_u32_e32 v128, 1, v128
	v_cmp_lt_u32_e32 vcc, 56, v128
	v_add_u32_e32 v126, 8, v126
	s_or_b64 s[12:13], vcc, s[12:13]
	v_add_u32_e32 v127, 8, v127
	s_waitcnt vmcnt(0) lgkmcnt(0)
	v_fma_f64 v[121:122], v[129:130], v[131:132], v[121:122]
	s_andn2_b64 exec, exec, s[12:13]
	s_cbranch_execnz .LBB123_1155
; %bb.1156:
	s_or_b64 exec, exec, s[12:13]
.LBB123_1157:
	s_or_b64 exec, exec, s[10:11]
	v_mov_b32_e32 v126, 0
	ds_read_b64 v[126:127], v126 offset:464
	s_waitcnt lgkmcnt(0)
	v_mul_f64 v[121:122], v[121:122], v[126:127]
	buffer_store_dword v122, off, s[0:3], 0 offset:468
	buffer_store_dword v121, off, s[0:3], 0 offset:464
.LBB123_1158:
	s_or_b64 exec, exec, s[8:9]
	buffer_load_dword v121, off, s[0:3], 0 offset:472
	buffer_load_dword v122, off, s[0:3], 0 offset:476
	v_cmp_ne_u32_e32 vcc, 59, v0
	s_waitcnt vmcnt(0)
	ds_write_b64 v124, v[121:122]
	s_waitcnt lgkmcnt(0)
	; wave barrier
	s_and_saveexec_b64 s[8:9], vcc
	s_cbranch_execz .LBB123_1168
; %bb.1159:
	s_and_b64 vcc, exec, s[4:5]
	s_cbranch_vccnz .LBB123_1161
; %bb.1160:
	buffer_load_dword v121, v125, s[0:3], 0 offen
	buffer_load_dword v122, v125, s[0:3], 0 offen offset:4
	ds_read_b64 v[125:126], v124
	s_waitcnt vmcnt(0) lgkmcnt(0)
	v_mul_f64 v[121:122], v[121:122], v[125:126]
	s_cbranch_execz .LBB123_1162
	s_branch .LBB123_1163
.LBB123_1161:
                                        ; implicit-def: $vgpr121_vgpr122
.LBB123_1162:
	ds_read_b64 v[121:122], v124
.LBB123_1163:
	s_and_saveexec_b64 s[4:5], s[6:7]
	s_cbranch_execz .LBB123_1167
; %bb.1164:
	s_mov_b32 s6, 0
	v_add_u32_e32 v124, 0x1e8, v123
	v_add3_u32 v123, v123, s6, 8
	s_mov_b64 s[6:7], 0
.LBB123_1165:                           ; =>This Inner Loop Header: Depth=1
	buffer_load_dword v125, v123, s[0:3], 0 offen
	buffer_load_dword v126, v123, s[0:3], 0 offen offset:4
	ds_read_b64 v[127:128], v124
	v_add_u32_e32 v0, 1, v0
	v_cmp_lt_u32_e32 vcc, 57, v0
	v_add_u32_e32 v124, 8, v124
	s_or_b64 s[6:7], vcc, s[6:7]
	v_add_u32_e32 v123, 8, v123
	s_waitcnt vmcnt(0) lgkmcnt(0)
	v_fma_f64 v[121:122], v[125:126], v[127:128], v[121:122]
	s_andn2_b64 exec, exec, s[6:7]
	s_cbranch_execnz .LBB123_1165
; %bb.1166:
	s_or_b64 exec, exec, s[6:7]
.LBB123_1167:
	s_or_b64 exec, exec, s[4:5]
	v_mov_b32_e32 v0, 0
	ds_read_b64 v[123:124], v0 offset:472
	s_waitcnt lgkmcnt(0)
	v_mul_f64 v[121:122], v[121:122], v[123:124]
	buffer_store_dword v122, off, s[0:3], 0 offset:476
	buffer_store_dword v121, off, s[0:3], 0 offset:472
.LBB123_1168:
	s_or_b64 exec, exec, s[8:9]
.LBB123_1169:
	buffer_load_dword v121, off, s[0:3], 0
	buffer_load_dword v122, off, s[0:3], 0 offset:4
	s_waitcnt vmcnt(0)
	flat_store_dwordx2 v[1:2], v[121:122]
	buffer_load_dword v0, off, s[0:3], 0 offset:8
	s_nop 0
	buffer_load_dword v1, off, s[0:3], 0 offset:12
	s_waitcnt vmcnt(0)
	flat_store_dwordx2 v[3:4], v[0:1]
	buffer_load_dword v0, off, s[0:3], 0 offset:16
	s_nop 0
	;; [unrolled: 5-line block ×59, first 2 shown]
	buffer_load_dword v1, off, s[0:3], 0 offset:476
	s_waitcnt vmcnt(0)
	flat_store_dwordx2 v[119:120], v[0:1]
.LBB123_1170:
	s_endpgm
	.section	.rodata,"a",@progbits
	.p2align	6, 0x0
	.amdhsa_kernel _ZN9rocsolver6v33100L18trti2_kernel_smallILi60EdPKPdEEv13rocblas_fill_17rocblas_diagonal_T1_iil
		.amdhsa_group_segment_fixed_size 960
		.amdhsa_private_segment_fixed_size 496
		.amdhsa_kernarg_size 32
		.amdhsa_user_sgpr_count 6
		.amdhsa_user_sgpr_private_segment_buffer 1
		.amdhsa_user_sgpr_dispatch_ptr 0
		.amdhsa_user_sgpr_queue_ptr 0
		.amdhsa_user_sgpr_kernarg_segment_ptr 1
		.amdhsa_user_sgpr_dispatch_id 0
		.amdhsa_user_sgpr_flat_scratch_init 0
		.amdhsa_user_sgpr_private_segment_size 0
		.amdhsa_uses_dynamic_stack 0
		.amdhsa_system_sgpr_private_segment_wavefront_offset 1
		.amdhsa_system_sgpr_workgroup_id_x 1
		.amdhsa_system_sgpr_workgroup_id_y 0
		.amdhsa_system_sgpr_workgroup_id_z 0
		.amdhsa_system_sgpr_workgroup_info 0
		.amdhsa_system_vgpr_workitem_id 0
		.amdhsa_next_free_vgpr 134
		.amdhsa_next_free_sgpr 73
		.amdhsa_reserve_vcc 1
		.amdhsa_reserve_flat_scratch 0
		.amdhsa_float_round_mode_32 0
		.amdhsa_float_round_mode_16_64 0
		.amdhsa_float_denorm_mode_32 3
		.amdhsa_float_denorm_mode_16_64 3
		.amdhsa_dx10_clamp 1
		.amdhsa_ieee_mode 1
		.amdhsa_fp16_overflow 0
		.amdhsa_exception_fp_ieee_invalid_op 0
		.amdhsa_exception_fp_denorm_src 0
		.amdhsa_exception_fp_ieee_div_zero 0
		.amdhsa_exception_fp_ieee_overflow 0
		.amdhsa_exception_fp_ieee_underflow 0
		.amdhsa_exception_fp_ieee_inexact 0
		.amdhsa_exception_int_div_zero 0
	.end_amdhsa_kernel
	.section	.text._ZN9rocsolver6v33100L18trti2_kernel_smallILi60EdPKPdEEv13rocblas_fill_17rocblas_diagonal_T1_iil,"axG",@progbits,_ZN9rocsolver6v33100L18trti2_kernel_smallILi60EdPKPdEEv13rocblas_fill_17rocblas_diagonal_T1_iil,comdat
.Lfunc_end123:
	.size	_ZN9rocsolver6v33100L18trti2_kernel_smallILi60EdPKPdEEv13rocblas_fill_17rocblas_diagonal_T1_iil, .Lfunc_end123-_ZN9rocsolver6v33100L18trti2_kernel_smallILi60EdPKPdEEv13rocblas_fill_17rocblas_diagonal_T1_iil
                                        ; -- End function
	.set _ZN9rocsolver6v33100L18trti2_kernel_smallILi60EdPKPdEEv13rocblas_fill_17rocblas_diagonal_T1_iil.num_vgpr, 134
	.set _ZN9rocsolver6v33100L18trti2_kernel_smallILi60EdPKPdEEv13rocblas_fill_17rocblas_diagonal_T1_iil.num_agpr, 0
	.set _ZN9rocsolver6v33100L18trti2_kernel_smallILi60EdPKPdEEv13rocblas_fill_17rocblas_diagonal_T1_iil.numbered_sgpr, 73
	.set _ZN9rocsolver6v33100L18trti2_kernel_smallILi60EdPKPdEEv13rocblas_fill_17rocblas_diagonal_T1_iil.num_named_barrier, 0
	.set _ZN9rocsolver6v33100L18trti2_kernel_smallILi60EdPKPdEEv13rocblas_fill_17rocblas_diagonal_T1_iil.private_seg_size, 496
	.set _ZN9rocsolver6v33100L18trti2_kernel_smallILi60EdPKPdEEv13rocblas_fill_17rocblas_diagonal_T1_iil.uses_vcc, 1
	.set _ZN9rocsolver6v33100L18trti2_kernel_smallILi60EdPKPdEEv13rocblas_fill_17rocblas_diagonal_T1_iil.uses_flat_scratch, 0
	.set _ZN9rocsolver6v33100L18trti2_kernel_smallILi60EdPKPdEEv13rocblas_fill_17rocblas_diagonal_T1_iil.has_dyn_sized_stack, 0
	.set _ZN9rocsolver6v33100L18trti2_kernel_smallILi60EdPKPdEEv13rocblas_fill_17rocblas_diagonal_T1_iil.has_recursion, 0
	.set _ZN9rocsolver6v33100L18trti2_kernel_smallILi60EdPKPdEEv13rocblas_fill_17rocblas_diagonal_T1_iil.has_indirect_call, 0
	.section	.AMDGPU.csdata,"",@progbits
; Kernel info:
; codeLenInByte = 35900
; TotalNumSgprs: 77
; NumVgprs: 134
; ScratchSize: 496
; MemoryBound: 0
; FloatMode: 240
; IeeeMode: 1
; LDSByteSize: 960 bytes/workgroup (compile time only)
; SGPRBlocks: 9
; VGPRBlocks: 33
; NumSGPRsForWavesPerEU: 77
; NumVGPRsForWavesPerEU: 134
; Occupancy: 1
; WaveLimiterHint : 1
; COMPUTE_PGM_RSRC2:SCRATCH_EN: 1
; COMPUTE_PGM_RSRC2:USER_SGPR: 6
; COMPUTE_PGM_RSRC2:TRAP_HANDLER: 0
; COMPUTE_PGM_RSRC2:TGID_X_EN: 1
; COMPUTE_PGM_RSRC2:TGID_Y_EN: 0
; COMPUTE_PGM_RSRC2:TGID_Z_EN: 0
; COMPUTE_PGM_RSRC2:TIDIG_COMP_CNT: 0
	.section	.text._ZN9rocsolver6v33100L18trti2_kernel_smallILi61EdPKPdEEv13rocblas_fill_17rocblas_diagonal_T1_iil,"axG",@progbits,_ZN9rocsolver6v33100L18trti2_kernel_smallILi61EdPKPdEEv13rocblas_fill_17rocblas_diagonal_T1_iil,comdat
	.globl	_ZN9rocsolver6v33100L18trti2_kernel_smallILi61EdPKPdEEv13rocblas_fill_17rocblas_diagonal_T1_iil ; -- Begin function _ZN9rocsolver6v33100L18trti2_kernel_smallILi61EdPKPdEEv13rocblas_fill_17rocblas_diagonal_T1_iil
	.p2align	8
	.type	_ZN9rocsolver6v33100L18trti2_kernel_smallILi61EdPKPdEEv13rocblas_fill_17rocblas_diagonal_T1_iil,@function
_ZN9rocsolver6v33100L18trti2_kernel_smallILi61EdPKPdEEv13rocblas_fill_17rocblas_diagonal_T1_iil: ; @_ZN9rocsolver6v33100L18trti2_kernel_smallILi61EdPKPdEEv13rocblas_fill_17rocblas_diagonal_T1_iil
; %bb.0:
	s_add_u32 s0, s0, s7
	s_addc_u32 s1, s1, 0
	v_cmp_gt_u32_e32 vcc, 61, v0
	s_and_saveexec_b64 s[8:9], vcc
	s_cbranch_execz .LBB124_1190
; %bb.1:
	s_load_dwordx2 s[12:13], s[4:5], 0x10
	s_load_dwordx4 s[8:11], s[4:5], 0x0
	s_ashr_i32 s7, s6, 31
	s_lshl_b64 s[6:7], s[6:7], 3
	v_lshlrev_b32_e32 v125, 3, v0
	s_waitcnt lgkmcnt(0)
	s_ashr_i32 s5, s12, 31
	s_add_u32 s6, s10, s6
	s_addc_u32 s7, s11, s7
	s_load_dwordx2 s[6:7], s[6:7], 0x0
	s_mov_b32 s4, s12
	s_lshl_b64 s[4:5], s[4:5], 3
	s_waitcnt lgkmcnt(0)
	s_add_u32 s4, s6, s4
	s_addc_u32 s5, s7, s5
	v_mov_b32_e32 v2, s5
	v_add_co_u32_e32 v1, vcc, s4, v125
	v_addc_co_u32_e32 v2, vcc, 0, v2, vcc
	flat_load_dwordx2 v[5:6], v[1:2]
	s_mov_b32 s6, s13
	s_ashr_i32 s7, s13, 31
	s_lshl_b64 s[6:7], s[6:7], 3
	v_mov_b32_e32 v4, s7
	v_add_co_u32_e32 v3, vcc, s6, v1
	v_addc_co_u32_e32 v4, vcc, v2, v4, vcc
	s_add_i32 s6, s13, s13
	v_add_u32_e32 v9, s6, v0
	v_ashrrev_i32_e32 v10, 31, v9
	v_mov_b32_e32 v11, s5
	v_add_u32_e32 v12, s13, v9
	v_ashrrev_i32_e32 v13, 31, v12
	v_mov_b32_e32 v14, s5
	v_mov_b32_e32 v15, s5
	;; [unrolled: 1-line block ×57, first 2 shown]
	s_cmpk_lg_i32 s9, 0x84
	s_cselect_b64 s[10:11], -1, 0
	s_cmpk_eq_i32 s9, 0x84
	s_waitcnt vmcnt(0) lgkmcnt(0)
	buffer_store_dword v6, off, s[0:3], 0 offset:4
	buffer_store_dword v5, off, s[0:3], 0
	flat_load_dwordx2 v[7:8], v[3:4]
	v_lshlrev_b64 v[5:6], 3, v[9:10]
	s_waitcnt vmcnt(0) lgkmcnt(0)
	buffer_store_dword v8, off, s[0:3], 0 offset:12
	buffer_store_dword v7, off, s[0:3], 0 offset:8
	v_add_co_u32_e32 v5, vcc, s4, v5
	v_addc_co_u32_e32 v6, vcc, v11, v6, vcc
	flat_load_dwordx2 v[10:11], v[5:6]
	v_lshlrev_b64 v[7:8], 3, v[12:13]
	s_waitcnt vmcnt(0) lgkmcnt(0)
	buffer_store_dword v11, off, s[0:3], 0 offset:20
	buffer_store_dword v10, off, s[0:3], 0 offset:16
	v_add_co_u32_e32 v7, vcc, s4, v7
	v_addc_co_u32_e32 v8, vcc, v14, v8, vcc
	flat_load_dwordx2 v[13:14], v[7:8]
	v_add_u32_e32 v11, s13, v12
	v_ashrrev_i32_e32 v12, 31, v11
	v_lshlrev_b64 v[9:10], 3, v[11:12]
	s_waitcnt vmcnt(0) lgkmcnt(0)
	buffer_store_dword v14, off, s[0:3], 0 offset:28
	buffer_store_dword v13, off, s[0:3], 0 offset:24
	v_add_co_u32_e32 v9, vcc, s4, v9
	v_addc_co_u32_e32 v10, vcc, v15, v10, vcc
	flat_load_dwordx2 v[13:14], v[9:10]
	v_add_u32_e32 v15, s13, v11
	v_ashrrev_i32_e32 v16, 31, v15
	v_lshlrev_b64 v[11:12], 3, v[15:16]
	v_add_u32_e32 v18, s13, v15
	v_add_co_u32_e32 v11, vcc, s4, v11
	v_addc_co_u32_e32 v12, vcc, v17, v12, vcc
	v_ashrrev_i32_e32 v19, 31, v18
	s_waitcnt vmcnt(0) lgkmcnt(0)
	buffer_store_dword v14, off, s[0:3], 0 offset:36
	buffer_store_dword v13, off, s[0:3], 0 offset:32
	flat_load_dwordx2 v[16:17], v[11:12]
	v_lshlrev_b64 v[13:14], 3, v[18:19]
	s_waitcnt vmcnt(0) lgkmcnt(0)
	buffer_store_dword v17, off, s[0:3], 0 offset:44
	buffer_store_dword v16, off, s[0:3], 0 offset:40
	v_add_co_u32_e32 v13, vcc, s4, v13
	v_addc_co_u32_e32 v14, vcc, v20, v14, vcc
	flat_load_dwordx2 v[19:20], v[13:14]
	v_add_u32_e32 v17, s13, v18
	v_ashrrev_i32_e32 v18, 31, v17
	v_lshlrev_b64 v[15:16], 3, v[17:18]
	s_waitcnt vmcnt(0) lgkmcnt(0)
	buffer_store_dword v20, off, s[0:3], 0 offset:52
	buffer_store_dword v19, off, s[0:3], 0 offset:48
	v_add_co_u32_e32 v15, vcc, s4, v15
	v_addc_co_u32_e32 v16, vcc, v21, v16, vcc
	flat_load_dwordx2 v[19:20], v[15:16]
	v_add_u32_e32 v21, s13, v17
	v_ashrrev_i32_e32 v22, 31, v21
	v_lshlrev_b64 v[17:18], 3, v[21:22]
	v_add_u32_e32 v24, s13, v21
	v_add_co_u32_e32 v17, vcc, s4, v17
	v_addc_co_u32_e32 v18, vcc, v23, v18, vcc
	v_ashrrev_i32_e32 v25, 31, v24
	s_waitcnt vmcnt(0) lgkmcnt(0)
	buffer_store_dword v20, off, s[0:3], 0 offset:60
	buffer_store_dword v19, off, s[0:3], 0 offset:56
	;; [unrolled: 27-line block ×7, first 2 shown]
	flat_load_dwordx2 v[52:53], v[47:48]
	v_lshlrev_b64 v[49:50], 3, v[54:55]
	s_waitcnt vmcnt(0) lgkmcnt(0)
	buffer_store_dword v53, off, s[0:3], 0 offset:188
	buffer_store_dword v52, off, s[0:3], 0 offset:184
	v_add_co_u32_e32 v49, vcc, s4, v49
	v_addc_co_u32_e32 v50, vcc, v56, v50, vcc
	flat_load_dwordx2 v[55:56], v[49:50]
	v_add_u32_e32 v53, s13, v54
	v_ashrrev_i32_e32 v54, 31, v53
	v_lshlrev_b64 v[51:52], 3, v[53:54]
	s_waitcnt vmcnt(0) lgkmcnt(0)
	buffer_store_dword v56, off, s[0:3], 0 offset:196
	buffer_store_dword v55, off, s[0:3], 0 offset:192
	v_add_co_u32_e32 v51, vcc, s4, v51
	v_addc_co_u32_e32 v52, vcc, v57, v52, vcc
	flat_load_dwordx2 v[55:56], v[51:52]
	v_add_u32_e32 v57, s13, v53
	v_ashrrev_i32_e32 v58, 31, v57
	v_lshlrev_b64 v[53:54], 3, v[57:58]
	v_add_u32_e32 v60, s13, v57
	v_add_co_u32_e32 v53, vcc, s4, v53
	v_addc_co_u32_e32 v54, vcc, v59, v54, vcc
	s_waitcnt vmcnt(0) lgkmcnt(0)
	buffer_store_dword v56, off, s[0:3], 0 offset:204
	buffer_store_dword v55, off, s[0:3], 0 offset:200
	flat_load_dwordx2 v[58:59], v[53:54]
	v_ashrrev_i32_e32 v61, 31, v60
	v_lshlrev_b64 v[55:56], 3, v[60:61]
	s_waitcnt vmcnt(0) lgkmcnt(0)
	buffer_store_dword v59, off, s[0:3], 0 offset:212
	buffer_store_dword v58, off, s[0:3], 0 offset:208
	v_add_co_u32_e32 v55, vcc, s4, v55
	v_addc_co_u32_e32 v56, vcc, v62, v56, vcc
	flat_load_dwordx2 v[61:62], v[55:56]
	v_add_u32_e32 v59, s13, v60
	v_ashrrev_i32_e32 v60, 31, v59
	v_lshlrev_b64 v[57:58], 3, v[59:60]
	s_waitcnt vmcnt(0) lgkmcnt(0)
	buffer_store_dword v62, off, s[0:3], 0 offset:220
	buffer_store_dword v61, off, s[0:3], 0 offset:216
	v_add_co_u32_e32 v57, vcc, s4, v57
	v_addc_co_u32_e32 v58, vcc, v63, v58, vcc
	flat_load_dwordx2 v[61:62], v[57:58]
	v_add_u32_e32 v63, s13, v59
	;; [unrolled: 9-line block ×33, first 2 shown]
	v_ashrrev_i32_e32 v122, 31, v121
	v_lshlrev_b64 v[121:122], 3, v[121:122]
	v_mov_b32_e32 v124, s5
	v_add_co_u32_e32 v121, vcc, s4, v121
	v_addc_co_u32_e32 v122, vcc, v124, v122, vcc
	s_waitcnt vmcnt(0) lgkmcnt(0)
	buffer_store_dword v127, off, s[0:3], 0 offset:476
	buffer_store_dword v126, off, s[0:3], 0 offset:472
	flat_load_dwordx2 v[126:127], v[121:122]
	v_mov_b32_e32 v123, 0
	v_mov_b32_e32 v124, 0xbff00000
	s_waitcnt vmcnt(0) lgkmcnt(0)
	buffer_store_dword v127, off, s[0:3], 0 offset:484
	buffer_store_dword v126, off, s[0:3], 0 offset:480
	s_cbranch_scc1 .LBB124_3
; %bb.2:
	v_mov_b32_e32 v123, 0
	v_lshl_add_u32 v134, v0, 3, v123
	buffer_load_dword v123, v134, s[0:3], 0 offen
	buffer_load_dword v124, v134, s[0:3], 0 offen offset:4
	s_waitcnt vmcnt(0)
	v_div_scale_f64 v[126:127], s[4:5], v[123:124], v[123:124], 1.0
	v_rcp_f64_e32 v[128:129], v[126:127]
	v_fma_f64 v[130:131], -v[126:127], v[128:129], 1.0
	v_fma_f64 v[128:129], v[128:129], v[130:131], v[128:129]
	v_div_scale_f64 v[130:131], vcc, 1.0, v[123:124], 1.0
	v_fma_f64 v[132:133], -v[126:127], v[128:129], 1.0
	v_fma_f64 v[128:129], v[128:129], v[132:133], v[128:129]
	v_mul_f64 v[132:133], v[130:131], v[128:129]
	v_fma_f64 v[126:127], -v[126:127], v[132:133], v[130:131]
	v_div_fmas_f64 v[126:127], v[126:127], v[128:129], v[132:133]
	v_div_fixup_f64 v[123:124], v[126:127], v[123:124], 1.0
	buffer_store_dword v123, v134, s[0:3], 0 offen
	buffer_store_dword v124, v134, s[0:3], 0 offen offset:4
	v_xor_b32_e32 v124, 0x80000000, v124
.LBB124_3:
	s_cmpk_eq_i32 s8, 0x79
	v_add_u32_e32 v126, 0x1f0, v125
	v_mov_b32_e32 v127, v125
	s_mov_b64 s[4:5], -1
	ds_write_b64 v125, v[123:124]
	s_cbranch_scc1 .LBB124_597
; %bb.4:
	buffer_load_dword v123, off, s[0:3], 0 offset:472
	buffer_load_dword v124, off, s[0:3], 0 offset:476
	s_movk_i32 s12, 0x48
	s_movk_i32 s13, 0x50
	;; [unrolled: 1-line block ×50, first 2 shown]
	v_cmp_eq_u32_e64 s[4:5], 60, v0
	s_waitcnt vmcnt(0)
	ds_write_b64 v126, v[123:124]
	s_waitcnt lgkmcnt(0)
	; wave barrier
	s_and_saveexec_b64 s[6:7], s[4:5]
	s_cbranch_execz .LBB124_10
; %bb.5:
	s_and_b64 vcc, exec, s[10:11]
	s_cbranch_vccz .LBB124_7
; %bb.6:
	buffer_load_dword v123, v127, s[0:3], 0 offen
	buffer_load_dword v124, v127, s[0:3], 0 offen offset:4
	ds_read_b64 v[128:129], v126
	s_waitcnt vmcnt(0) lgkmcnt(0)
	v_mul_f64 v[123:124], v[123:124], v[128:129]
	s_cbranch_execz .LBB124_8
	s_branch .LBB124_9
.LBB124_7:
                                        ; implicit-def: $vgpr123_vgpr124
.LBB124_8:
	ds_read_b64 v[123:124], v126
.LBB124_9:
	v_mov_b32_e32 v128, 0
	ds_read_b64 v[128:129], v128 offset:472
	s_waitcnt lgkmcnt(0)
	v_mul_f64 v[123:124], v[123:124], v[128:129]
	buffer_store_dword v124, off, s[0:3], 0 offset:476
	buffer_store_dword v123, off, s[0:3], 0 offset:472
.LBB124_10:
	s_or_b64 exec, exec, s[6:7]
	buffer_load_dword v123, off, s[0:3], 0 offset:464
	buffer_load_dword v124, off, s[0:3], 0 offset:468
	s_or_b32 s14, 0, 8
	s_mov_b32 s15, 16
	s_mov_b32 s16, 24
	;; [unrolled: 1-line block ×9, first 2 shown]
	v_cmp_lt_u32_e64 s[6:7], 58, v0
	s_waitcnt vmcnt(0)
	ds_write_b64 v126, v[123:124]
	s_waitcnt lgkmcnt(0)
	; wave barrier
	s_and_saveexec_b64 s[8:9], s[6:7]
	s_cbranch_execz .LBB124_16
; %bb.11:
	s_andn2_b64 vcc, exec, s[10:11]
	s_cbranch_vccnz .LBB124_13
; %bb.12:
	buffer_load_dword v123, v127, s[0:3], 0 offen
	buffer_load_dword v124, v127, s[0:3], 0 offen offset:4
	ds_read_b64 v[128:129], v126
	s_waitcnt vmcnt(0) lgkmcnt(0)
	v_mul_f64 v[123:124], v[123:124], v[128:129]
	s_cbranch_execz .LBB124_14
	s_branch .LBB124_15
.LBB124_13:
                                        ; implicit-def: $vgpr123_vgpr124
.LBB124_14:
	ds_read_b64 v[123:124], v126
.LBB124_15:
	buffer_load_dword v132, off, s[0:3], 0 offset:472
	buffer_load_dword v133, off, s[0:3], 0 offset:476
	v_mov_b32_e32 v128, 0
	ds_read2_b64 v[128:131], v128 offset0:58 offset1:121
	s_waitcnt vmcnt(0) lgkmcnt(0)
	v_fma_f64 v[130:131], v[132:133], v[130:131], v[123:124]
	v_cndmask_b32_e64 v124, v124, v131, s[4:5]
	v_cndmask_b32_e64 v123, v123, v130, s[4:5]
	v_mul_f64 v[123:124], v[123:124], v[128:129]
	buffer_store_dword v124, off, s[0:3], 0 offset:468
	buffer_store_dword v123, off, s[0:3], 0 offset:464
.LBB124_16:
	s_or_b64 exec, exec, s[8:9]
	buffer_load_dword v123, off, s[0:3], 0 offset:456
	buffer_load_dword v124, off, s[0:3], 0 offset:460
	v_cmp_lt_u32_e64 s[4:5], 57, v0
	s_waitcnt vmcnt(0)
	ds_write_b64 v126, v[123:124]
	s_waitcnt lgkmcnt(0)
	; wave barrier
	s_and_saveexec_b64 s[8:9], s[4:5]
	s_cbranch_execz .LBB124_26
; %bb.17:
	s_andn2_b64 vcc, exec, s[10:11]
	s_cbranch_vccnz .LBB124_19
; %bb.18:
	buffer_load_dword v123, v127, s[0:3], 0 offen
	buffer_load_dword v124, v127, s[0:3], 0 offen offset:4
	ds_read_b64 v[128:129], v126
	s_waitcnt vmcnt(0) lgkmcnt(0)
	v_mul_f64 v[123:124], v[123:124], v[128:129]
	s_cbranch_execz .LBB124_20
	s_branch .LBB124_21
.LBB124_19:
                                        ; implicit-def: $vgpr123_vgpr124
.LBB124_20:
	ds_read_b64 v[123:124], v126
.LBB124_21:
	s_and_saveexec_b64 s[12:13], s[6:7]
	s_cbranch_execz .LBB124_25
; %bb.22:
	v_subrev_u32_e32 v128, 58, v0
	s_movk_i32 s73, 0x3c0
	s_mov_b64 s[6:7], 0
.LBB124_23:                             ; =>This Inner Loop Header: Depth=1
	v_mov_b32_e32 v130, s72
	buffer_load_dword v129, v130, s[0:3], 0 offen
	s_nop 0
	buffer_load_dword v130, v130, s[0:3], 0 offen offset:4
	v_mov_b32_e32 v131, s73
	ds_read_b64 v[131:132], v131
	v_add_u32_e32 v128, -1, v128
	s_add_i32 s73, s73, 8
	s_add_i32 s72, s72, 8
	v_cmp_eq_u32_e32 vcc, 0, v128
	s_or_b64 s[6:7], vcc, s[6:7]
	s_waitcnt vmcnt(0) lgkmcnt(0)
	v_fma_f64 v[123:124], v[129:130], v[131:132], v[123:124]
	s_andn2_b64 exec, exec, s[6:7]
	s_cbranch_execnz .LBB124_23
; %bb.24:
	s_or_b64 exec, exec, s[6:7]
.LBB124_25:
	s_or_b64 exec, exec, s[12:13]
	v_mov_b32_e32 v128, 0
	ds_read_b64 v[128:129], v128 offset:456
	s_waitcnt lgkmcnt(0)
	v_mul_f64 v[123:124], v[123:124], v[128:129]
	buffer_store_dword v124, off, s[0:3], 0 offset:460
	buffer_store_dword v123, off, s[0:3], 0 offset:456
.LBB124_26:
	s_or_b64 exec, exec, s[8:9]
	buffer_load_dword v123, off, s[0:3], 0 offset:448
	buffer_load_dword v124, off, s[0:3], 0 offset:452
	v_cmp_lt_u32_e64 s[6:7], 56, v0
	s_waitcnt vmcnt(0)
	ds_write_b64 v126, v[123:124]
	s_waitcnt lgkmcnt(0)
	; wave barrier
	s_and_saveexec_b64 s[8:9], s[6:7]
	s_cbranch_execz .LBB124_36
; %bb.27:
	s_andn2_b64 vcc, exec, s[10:11]
	s_cbranch_vccnz .LBB124_29
; %bb.28:
	buffer_load_dword v123, v127, s[0:3], 0 offen
	buffer_load_dword v124, v127, s[0:3], 0 offen offset:4
	ds_read_b64 v[128:129], v126
	s_waitcnt vmcnt(0) lgkmcnt(0)
	v_mul_f64 v[123:124], v[123:124], v[128:129]
	s_cbranch_execz .LBB124_30
	s_branch .LBB124_31
.LBB124_29:
                                        ; implicit-def: $vgpr123_vgpr124
.LBB124_30:
	ds_read_b64 v[123:124], v126
.LBB124_31:
	s_and_saveexec_b64 s[12:13], s[4:5]
	s_cbranch_execz .LBB124_35
; %bb.32:
	v_subrev_u32_e32 v128, 57, v0
	s_movk_i32 s72, 0x3b8
	s_mov_b64 s[4:5], 0
.LBB124_33:                             ; =>This Inner Loop Header: Depth=1
	v_mov_b32_e32 v130, s71
	buffer_load_dword v129, v130, s[0:3], 0 offen
	s_nop 0
	buffer_load_dword v130, v130, s[0:3], 0 offen offset:4
	v_mov_b32_e32 v131, s72
	ds_read_b64 v[131:132], v131
	v_add_u32_e32 v128, -1, v128
	s_add_i32 s72, s72, 8
	s_add_i32 s71, s71, 8
	v_cmp_eq_u32_e32 vcc, 0, v128
	s_or_b64 s[4:5], vcc, s[4:5]
	s_waitcnt vmcnt(0) lgkmcnt(0)
	v_fma_f64 v[123:124], v[129:130], v[131:132], v[123:124]
	s_andn2_b64 exec, exec, s[4:5]
	s_cbranch_execnz .LBB124_33
; %bb.34:
	s_or_b64 exec, exec, s[4:5]
.LBB124_35:
	s_or_b64 exec, exec, s[12:13]
	v_mov_b32_e32 v128, 0
	ds_read_b64 v[128:129], v128 offset:448
	s_waitcnt lgkmcnt(0)
	v_mul_f64 v[123:124], v[123:124], v[128:129]
	buffer_store_dword v124, off, s[0:3], 0 offset:452
	buffer_store_dword v123, off, s[0:3], 0 offset:448
.LBB124_36:
	;; [unrolled: 59-line block ×8, first 2 shown]
	s_or_b64 exec, exec, s[8:9]
	buffer_load_dword v123, off, s[0:3], 0 offset:392
	buffer_load_dword v124, off, s[0:3], 0 offset:396
	v_cmp_lt_u32_e64 s[4:5], 49, v0
	s_waitcnt vmcnt(0)
	ds_write_b64 v126, v[123:124]
	s_waitcnt lgkmcnt(0)
	; wave barrier
	s_and_saveexec_b64 s[8:9], s[4:5]
	s_cbranch_execz .LBB124_106
; %bb.97:
	s_andn2_b64 vcc, exec, s[10:11]
	s_cbranch_vccnz .LBB124_99
; %bb.98:
	buffer_load_dword v123, v127, s[0:3], 0 offen
	buffer_load_dword v124, v127, s[0:3], 0 offen offset:4
	ds_read_b64 v[128:129], v126
	s_waitcnt vmcnt(0) lgkmcnt(0)
	v_mul_f64 v[123:124], v[123:124], v[128:129]
	s_cbranch_execz .LBB124_100
	s_branch .LBB124_101
.LBB124_99:
                                        ; implicit-def: $vgpr123_vgpr124
.LBB124_100:
	ds_read_b64 v[123:124], v126
.LBB124_101:
	s_and_saveexec_b64 s[12:13], s[6:7]
	s_cbranch_execz .LBB124_105
; %bb.102:
	v_subrev_u32_e32 v128, 50, v0
	s_movk_i32 s65, 0x380
	s_mov_b64 s[6:7], 0
.LBB124_103:                            ; =>This Inner Loop Header: Depth=1
	v_mov_b32_e32 v130, s64
	buffer_load_dword v129, v130, s[0:3], 0 offen
	s_nop 0
	buffer_load_dword v130, v130, s[0:3], 0 offen offset:4
	v_mov_b32_e32 v131, s65
	ds_read_b64 v[131:132], v131
	v_add_u32_e32 v128, -1, v128
	s_add_i32 s65, s65, 8
	s_add_i32 s64, s64, 8
	v_cmp_eq_u32_e32 vcc, 0, v128
	s_or_b64 s[6:7], vcc, s[6:7]
	s_waitcnt vmcnt(0) lgkmcnt(0)
	v_fma_f64 v[123:124], v[129:130], v[131:132], v[123:124]
	s_andn2_b64 exec, exec, s[6:7]
	s_cbranch_execnz .LBB124_103
; %bb.104:
	s_or_b64 exec, exec, s[6:7]
.LBB124_105:
	s_or_b64 exec, exec, s[12:13]
	v_mov_b32_e32 v128, 0
	ds_read_b64 v[128:129], v128 offset:392
	s_waitcnt lgkmcnt(0)
	v_mul_f64 v[123:124], v[123:124], v[128:129]
	buffer_store_dword v124, off, s[0:3], 0 offset:396
	buffer_store_dword v123, off, s[0:3], 0 offset:392
.LBB124_106:
	s_or_b64 exec, exec, s[8:9]
	buffer_load_dword v123, off, s[0:3], 0 offset:384
	buffer_load_dword v124, off, s[0:3], 0 offset:388
	v_cmp_lt_u32_e64 s[6:7], 48, v0
	s_waitcnt vmcnt(0)
	ds_write_b64 v126, v[123:124]
	s_waitcnt lgkmcnt(0)
	; wave barrier
	s_and_saveexec_b64 s[8:9], s[6:7]
	s_cbranch_execz .LBB124_116
; %bb.107:
	s_andn2_b64 vcc, exec, s[10:11]
	s_cbranch_vccnz .LBB124_109
; %bb.108:
	buffer_load_dword v123, v127, s[0:3], 0 offen
	buffer_load_dword v124, v127, s[0:3], 0 offen offset:4
	ds_read_b64 v[128:129], v126
	s_waitcnt vmcnt(0) lgkmcnt(0)
	v_mul_f64 v[123:124], v[123:124], v[128:129]
	s_cbranch_execz .LBB124_110
	s_branch .LBB124_111
.LBB124_109:
                                        ; implicit-def: $vgpr123_vgpr124
.LBB124_110:
	ds_read_b64 v[123:124], v126
.LBB124_111:
	s_and_saveexec_b64 s[12:13], s[4:5]
	s_cbranch_execz .LBB124_115
; %bb.112:
	v_subrev_u32_e32 v128, 49, v0
	s_movk_i32 s64, 0x378
	s_mov_b64 s[4:5], 0
.LBB124_113:                            ; =>This Inner Loop Header: Depth=1
	v_mov_b32_e32 v130, s63
	buffer_load_dword v129, v130, s[0:3], 0 offen
	s_nop 0
	buffer_load_dword v130, v130, s[0:3], 0 offen offset:4
	v_mov_b32_e32 v131, s64
	ds_read_b64 v[131:132], v131
	v_add_u32_e32 v128, -1, v128
	s_add_i32 s64, s64, 8
	s_add_i32 s63, s63, 8
	v_cmp_eq_u32_e32 vcc, 0, v128
	s_or_b64 s[4:5], vcc, s[4:5]
	s_waitcnt vmcnt(0) lgkmcnt(0)
	v_fma_f64 v[123:124], v[129:130], v[131:132], v[123:124]
	s_andn2_b64 exec, exec, s[4:5]
	s_cbranch_execnz .LBB124_113
; %bb.114:
	s_or_b64 exec, exec, s[4:5]
.LBB124_115:
	s_or_b64 exec, exec, s[12:13]
	v_mov_b32_e32 v128, 0
	ds_read_b64 v[128:129], v128 offset:384
	s_waitcnt lgkmcnt(0)
	v_mul_f64 v[123:124], v[123:124], v[128:129]
	buffer_store_dword v124, off, s[0:3], 0 offset:388
	buffer_store_dword v123, off, s[0:3], 0 offset:384
.LBB124_116:
	;; [unrolled: 59-line block ×34, first 2 shown]
	s_or_b64 exec, exec, s[8:9]
	buffer_load_dword v123, off, s[0:3], 0 offset:120
	buffer_load_dword v124, off, s[0:3], 0 offset:124
	v_cmp_lt_u32_e64 s[4:5], 15, v0
	s_waitcnt vmcnt(0)
	ds_write_b64 v126, v[123:124]
	s_waitcnt lgkmcnt(0)
	; wave barrier
	s_and_saveexec_b64 s[8:9], s[4:5]
	s_cbranch_execz .LBB124_446
; %bb.437:
	s_andn2_b64 vcc, exec, s[10:11]
	s_cbranch_vccnz .LBB124_439
; %bb.438:
	buffer_load_dword v123, v127, s[0:3], 0 offen
	buffer_load_dword v124, v127, s[0:3], 0 offen offset:4
	ds_read_b64 v[128:129], v126
	s_waitcnt vmcnt(0) lgkmcnt(0)
	v_mul_f64 v[123:124], v[123:124], v[128:129]
	s_cbranch_execz .LBB124_440
	s_branch .LBB124_441
.LBB124_439:
                                        ; implicit-def: $vgpr123_vgpr124
.LBB124_440:
	ds_read_b64 v[123:124], v126
.LBB124_441:
	s_and_saveexec_b64 s[12:13], s[6:7]
	s_cbranch_execz .LBB124_445
; %bb.442:
	v_add_u32_e32 v128, -16, v0
	s_movk_i32 s30, 0x270
	s_mov_b64 s[6:7], 0
.LBB124_443:                            ; =>This Inner Loop Header: Depth=1
	v_mov_b32_e32 v130, s29
	buffer_load_dword v129, v130, s[0:3], 0 offen
	s_nop 0
	buffer_load_dword v130, v130, s[0:3], 0 offen offset:4
	v_mov_b32_e32 v131, s30
	ds_read_b64 v[131:132], v131
	v_add_u32_e32 v128, -1, v128
	s_add_i32 s30, s30, 8
	s_add_i32 s29, s29, 8
	v_cmp_eq_u32_e32 vcc, 0, v128
	s_or_b64 s[6:7], vcc, s[6:7]
	s_waitcnt vmcnt(0) lgkmcnt(0)
	v_fma_f64 v[123:124], v[129:130], v[131:132], v[123:124]
	s_andn2_b64 exec, exec, s[6:7]
	s_cbranch_execnz .LBB124_443
; %bb.444:
	s_or_b64 exec, exec, s[6:7]
.LBB124_445:
	s_or_b64 exec, exec, s[12:13]
	v_mov_b32_e32 v128, 0
	ds_read_b64 v[128:129], v128 offset:120
	s_waitcnt lgkmcnt(0)
	v_mul_f64 v[123:124], v[123:124], v[128:129]
	buffer_store_dword v124, off, s[0:3], 0 offset:124
	buffer_store_dword v123, off, s[0:3], 0 offset:120
.LBB124_446:
	s_or_b64 exec, exec, s[8:9]
	buffer_load_dword v123, off, s[0:3], 0 offset:112
	buffer_load_dword v124, off, s[0:3], 0 offset:116
	v_cmp_lt_u32_e64 s[6:7], 14, v0
	s_waitcnt vmcnt(0)
	ds_write_b64 v126, v[123:124]
	s_waitcnt lgkmcnt(0)
	; wave barrier
	s_and_saveexec_b64 s[8:9], s[6:7]
	s_cbranch_execz .LBB124_456
; %bb.447:
	s_andn2_b64 vcc, exec, s[10:11]
	s_cbranch_vccnz .LBB124_449
; %bb.448:
	buffer_load_dword v123, v127, s[0:3], 0 offen
	buffer_load_dword v124, v127, s[0:3], 0 offen offset:4
	ds_read_b64 v[128:129], v126
	s_waitcnt vmcnt(0) lgkmcnt(0)
	v_mul_f64 v[123:124], v[123:124], v[128:129]
	s_cbranch_execz .LBB124_450
	s_branch .LBB124_451
.LBB124_449:
                                        ; implicit-def: $vgpr123_vgpr124
.LBB124_450:
	ds_read_b64 v[123:124], v126
.LBB124_451:
	s_and_saveexec_b64 s[12:13], s[4:5]
	s_cbranch_execz .LBB124_455
; %bb.452:
	v_add_u32_e32 v128, -15, v0
	s_movk_i32 s29, 0x268
	s_mov_b64 s[4:5], 0
.LBB124_453:                            ; =>This Inner Loop Header: Depth=1
	v_mov_b32_e32 v130, s28
	buffer_load_dword v129, v130, s[0:3], 0 offen
	s_nop 0
	buffer_load_dword v130, v130, s[0:3], 0 offen offset:4
	v_mov_b32_e32 v131, s29
	ds_read_b64 v[131:132], v131
	v_add_u32_e32 v128, -1, v128
	s_add_i32 s29, s29, 8
	s_add_i32 s28, s28, 8
	v_cmp_eq_u32_e32 vcc, 0, v128
	s_or_b64 s[4:5], vcc, s[4:5]
	s_waitcnt vmcnt(0) lgkmcnt(0)
	v_fma_f64 v[123:124], v[129:130], v[131:132], v[123:124]
	s_andn2_b64 exec, exec, s[4:5]
	s_cbranch_execnz .LBB124_453
; %bb.454:
	s_or_b64 exec, exec, s[4:5]
.LBB124_455:
	s_or_b64 exec, exec, s[12:13]
	v_mov_b32_e32 v128, 0
	ds_read_b64 v[128:129], v128 offset:112
	s_waitcnt lgkmcnt(0)
	v_mul_f64 v[123:124], v[123:124], v[128:129]
	buffer_store_dword v124, off, s[0:3], 0 offset:116
	buffer_store_dword v123, off, s[0:3], 0 offset:112
.LBB124_456:
	;; [unrolled: 59-line block ×15, first 2 shown]
	s_or_b64 exec, exec, s[8:9]
	buffer_load_dword v123, off, s[0:3], 0
	buffer_load_dword v124, off, s[0:3], 0 offset:4
	v_cmp_ne_u32_e32 vcc, 0, v0
	s_waitcnt vmcnt(0)
	ds_write_b64 v126, v[123:124]
	s_waitcnt lgkmcnt(0)
	; wave barrier
	s_and_saveexec_b64 s[6:7], vcc
	s_cbranch_execz .LBB124_596
; %bb.587:
	s_andn2_b64 vcc, exec, s[10:11]
	s_cbranch_vccnz .LBB124_589
; %bb.588:
	buffer_load_dword v123, v127, s[0:3], 0 offen
	buffer_load_dword v124, v127, s[0:3], 0 offen offset:4
	ds_read_b64 v[128:129], v126
	s_waitcnt vmcnt(0) lgkmcnt(0)
	v_mul_f64 v[123:124], v[123:124], v[128:129]
	s_cbranch_execz .LBB124_590
	s_branch .LBB124_591
.LBB124_589:
                                        ; implicit-def: $vgpr123_vgpr124
.LBB124_590:
	ds_read_b64 v[123:124], v126
.LBB124_591:
	s_and_saveexec_b64 s[8:9], s[4:5]
	s_cbranch_execz .LBB124_595
; %bb.592:
	v_add_u32_e32 v128, -1, v0
	s_movk_i32 s12, 0x1f8
	s_mov_b64 s[4:5], 0
.LBB124_593:                            ; =>This Inner Loop Header: Depth=1
	v_mov_b32_e32 v130, s14
	buffer_load_dword v129, v130, s[0:3], 0 offen
	s_nop 0
	buffer_load_dword v130, v130, s[0:3], 0 offen offset:4
	v_mov_b32_e32 v131, s12
	ds_read_b64 v[131:132], v131
	v_add_u32_e32 v128, -1, v128
	s_add_i32 s12, s12, 8
	s_add_i32 s14, s14, 8
	v_cmp_eq_u32_e32 vcc, 0, v128
	s_or_b64 s[4:5], vcc, s[4:5]
	s_waitcnt vmcnt(0) lgkmcnt(0)
	v_fma_f64 v[123:124], v[129:130], v[131:132], v[123:124]
	s_andn2_b64 exec, exec, s[4:5]
	s_cbranch_execnz .LBB124_593
; %bb.594:
	s_or_b64 exec, exec, s[4:5]
.LBB124_595:
	s_or_b64 exec, exec, s[8:9]
	v_mov_b32_e32 v128, 0
	ds_read_b64 v[128:129], v128
	s_waitcnt lgkmcnt(0)
	v_mul_f64 v[123:124], v[123:124], v[128:129]
	buffer_store_dword v124, off, s[0:3], 0 offset:4
	buffer_store_dword v123, off, s[0:3], 0
.LBB124_596:
	s_or_b64 exec, exec, s[6:7]
	s_mov_b64 s[4:5], 0
.LBB124_597:
	s_and_b64 vcc, exec, s[4:5]
	s_cbranch_vccz .LBB124_1189
; %bb.598:
	buffer_load_dword v123, off, s[0:3], 0 offset:8
	buffer_load_dword v124, off, s[0:3], 0 offset:12
	v_cmp_eq_u32_e64 s[6:7], 0, v0
	s_waitcnt vmcnt(0)
	ds_write_b64 v126, v[123:124]
	s_waitcnt lgkmcnt(0)
	; wave barrier
	s_and_saveexec_b64 s[4:5], s[6:7]
	s_cbranch_execz .LBB124_604
; %bb.599:
	s_and_b64 vcc, exec, s[10:11]
	s_cbranch_vccz .LBB124_601
; %bb.600:
	buffer_load_dword v123, v127, s[0:3], 0 offen
	buffer_load_dword v124, v127, s[0:3], 0 offen offset:4
	ds_read_b64 v[128:129], v126
	s_waitcnt vmcnt(0) lgkmcnt(0)
	v_mul_f64 v[123:124], v[123:124], v[128:129]
	s_cbranch_execz .LBB124_602
	s_branch .LBB124_603
.LBB124_601:
                                        ; implicit-def: $vgpr123_vgpr124
.LBB124_602:
	ds_read_b64 v[123:124], v126
.LBB124_603:
	v_mov_b32_e32 v128, 0
	ds_read_b64 v[128:129], v128 offset:8
	s_waitcnt lgkmcnt(0)
	v_mul_f64 v[123:124], v[123:124], v[128:129]
	buffer_store_dword v124, off, s[0:3], 0 offset:12
	buffer_store_dword v123, off, s[0:3], 0 offset:8
.LBB124_604:
	s_or_b64 exec, exec, s[4:5]
	buffer_load_dword v123, off, s[0:3], 0 offset:16
	buffer_load_dword v124, off, s[0:3], 0 offset:20
	v_cndmask_b32_e64 v128, 0, 1, s[10:11]
	v_cmp_gt_u32_e32 vcc, 2, v0
	v_cmp_ne_u32_e64 s[4:5], 1, v128
	s_waitcnt vmcnt(0)
	ds_write_b64 v126, v[123:124]
	s_waitcnt lgkmcnt(0)
	; wave barrier
	s_and_saveexec_b64 s[8:9], vcc
	s_cbranch_execz .LBB124_610
; %bb.605:
	s_and_b64 vcc, exec, s[4:5]
	s_cbranch_vccnz .LBB124_607
; %bb.606:
	buffer_load_dword v123, v127, s[0:3], 0 offen
	buffer_load_dword v124, v127, s[0:3], 0 offen offset:4
	ds_read_b64 v[128:129], v126
	s_waitcnt vmcnt(0) lgkmcnt(0)
	v_mul_f64 v[123:124], v[123:124], v[128:129]
	s_cbranch_execz .LBB124_608
	s_branch .LBB124_609
.LBB124_607:
                                        ; implicit-def: $vgpr123_vgpr124
.LBB124_608:
	ds_read_b64 v[123:124], v126
.LBB124_609:
	buffer_load_dword v132, off, s[0:3], 0 offset:8
	buffer_load_dword v133, off, s[0:3], 0 offset:12
	v_mov_b32_e32 v128, 0
	ds_read2_b64 v[128:131], v128 offset0:2 offset1:63
	s_waitcnt vmcnt(0) lgkmcnt(0)
	v_fma_f64 v[130:131], v[132:133], v[130:131], v[123:124]
	v_cndmask_b32_e64 v124, v124, v131, s[6:7]
	v_cndmask_b32_e64 v123, v123, v130, s[6:7]
	v_mul_f64 v[123:124], v[123:124], v[128:129]
	buffer_store_dword v124, off, s[0:3], 0 offset:20
	buffer_store_dword v123, off, s[0:3], 0 offset:16
.LBB124_610:
	s_or_b64 exec, exec, s[8:9]
	buffer_load_dword v123, off, s[0:3], 0 offset:24
	buffer_load_dword v124, off, s[0:3], 0 offset:28
	v_cmp_gt_u32_e32 vcc, 3, v0
	s_waitcnt vmcnt(0)
	ds_write_b64 v126, v[123:124]
	s_waitcnt lgkmcnt(0)
	; wave barrier
	s_and_saveexec_b64 s[8:9], vcc
	s_cbranch_execz .LBB124_618
; %bb.611:
	s_and_b64 vcc, exec, s[4:5]
	s_cbranch_vccnz .LBB124_613
; %bb.612:
	buffer_load_dword v123, v127, s[0:3], 0 offen
	buffer_load_dword v124, v127, s[0:3], 0 offen offset:4
	ds_read_b64 v[128:129], v126
	s_waitcnt vmcnt(0) lgkmcnt(0)
	v_mul_f64 v[123:124], v[123:124], v[128:129]
	s_cbranch_execz .LBB124_614
	s_branch .LBB124_615
.LBB124_613:
                                        ; implicit-def: $vgpr123_vgpr124
.LBB124_614:
	ds_read_b64 v[123:124], v126
.LBB124_615:
	v_cmp_ne_u32_e32 vcc, 2, v0
	s_and_saveexec_b64 s[10:11], vcc
	s_cbranch_execz .LBB124_617
; %bb.616:
	buffer_load_dword v128, v127, s[0:3], 0 offen offset:8
	buffer_load_dword v129, v127, s[0:3], 0 offen offset:12
	buffer_load_dword v130, off, s[0:3], 0 offset:16
	buffer_load_dword v131, off, s[0:3], 0 offset:20
	ds_read_b64 v[132:133], v126 offset:8
	v_mov_b32_e32 v134, 0
	ds_read_b64 v[134:135], v134 offset:512
	s_waitcnt vmcnt(2) lgkmcnt(1)
	v_fma_f64 v[123:124], v[128:129], v[132:133], v[123:124]
	s_waitcnt vmcnt(0) lgkmcnt(0)
	v_fma_f64 v[128:129], v[130:131], v[134:135], v[123:124]
	v_cndmask_b32_e64 v124, v124, v129, s[6:7]
	v_cndmask_b32_e64 v123, v123, v128, s[6:7]
.LBB124_617:
	s_or_b64 exec, exec, s[10:11]
	v_mov_b32_e32 v128, 0
	ds_read_b64 v[128:129], v128 offset:24
	s_waitcnt lgkmcnt(0)
	v_mul_f64 v[123:124], v[123:124], v[128:129]
	buffer_store_dword v124, off, s[0:3], 0 offset:28
	buffer_store_dword v123, off, s[0:3], 0 offset:24
.LBB124_618:
	s_or_b64 exec, exec, s[8:9]
	buffer_load_dword v123, off, s[0:3], 0 offset:32
	buffer_load_dword v124, off, s[0:3], 0 offset:36
	v_cmp_gt_u32_e32 vcc, 4, v0
	s_waitcnt vmcnt(0)
	ds_write_b64 v126, v[123:124]
	s_waitcnt lgkmcnt(0)
	; wave barrier
	s_and_saveexec_b64 s[6:7], vcc
	s_cbranch_execz .LBB124_628
; %bb.619:
	s_and_b64 vcc, exec, s[4:5]
	s_cbranch_vccnz .LBB124_621
; %bb.620:
	buffer_load_dword v123, v127, s[0:3], 0 offen
	buffer_load_dword v124, v127, s[0:3], 0 offen offset:4
	ds_read_b64 v[128:129], v126
	s_waitcnt vmcnt(0) lgkmcnt(0)
	v_mul_f64 v[123:124], v[123:124], v[128:129]
	s_cbranch_execz .LBB124_622
	s_branch .LBB124_623
.LBB124_621:
                                        ; implicit-def: $vgpr123_vgpr124
.LBB124_622:
	ds_read_b64 v[123:124], v126
.LBB124_623:
	v_cmp_ne_u32_e32 vcc, 3, v0
	s_and_saveexec_b64 s[8:9], vcc
	s_cbranch_execz .LBB124_627
; %bb.624:
	s_mov_b32 s10, 0
	v_add_u32_e32 v128, 0x1f8, v125
	v_add3_u32 v129, v125, s10, 8
	s_mov_b64 s[10:11], 0
	v_mov_b32_e32 v130, v0
.LBB124_625:                            ; =>This Inner Loop Header: Depth=1
	buffer_load_dword v131, v129, s[0:3], 0 offen
	buffer_load_dword v132, v129, s[0:3], 0 offen offset:4
	ds_read_b64 v[133:134], v128
	v_add_u32_e32 v130, 1, v130
	v_cmp_lt_u32_e32 vcc, 2, v130
	v_add_u32_e32 v128, 8, v128
	s_or_b64 s[10:11], vcc, s[10:11]
	v_add_u32_e32 v129, 8, v129
	s_waitcnt vmcnt(0) lgkmcnt(0)
	v_fma_f64 v[123:124], v[131:132], v[133:134], v[123:124]
	s_andn2_b64 exec, exec, s[10:11]
	s_cbranch_execnz .LBB124_625
; %bb.626:
	s_or_b64 exec, exec, s[10:11]
.LBB124_627:
	s_or_b64 exec, exec, s[8:9]
	v_mov_b32_e32 v128, 0
	ds_read_b64 v[128:129], v128 offset:32
	s_waitcnt lgkmcnt(0)
	v_mul_f64 v[123:124], v[123:124], v[128:129]
	buffer_store_dword v124, off, s[0:3], 0 offset:36
	buffer_store_dword v123, off, s[0:3], 0 offset:32
.LBB124_628:
	s_or_b64 exec, exec, s[6:7]
	buffer_load_dword v123, off, s[0:3], 0 offset:40
	buffer_load_dword v124, off, s[0:3], 0 offset:44
	v_cmp_gt_u32_e32 vcc, 5, v0
	s_waitcnt vmcnt(0)
	ds_write_b64 v126, v[123:124]
	s_waitcnt lgkmcnt(0)
	; wave barrier
	s_and_saveexec_b64 s[6:7], vcc
	s_cbranch_execz .LBB124_638
; %bb.629:
	s_and_b64 vcc, exec, s[4:5]
	s_cbranch_vccnz .LBB124_631
; %bb.630:
	buffer_load_dword v123, v127, s[0:3], 0 offen
	buffer_load_dword v124, v127, s[0:3], 0 offen offset:4
	ds_read_b64 v[128:129], v126
	s_waitcnt vmcnt(0) lgkmcnt(0)
	v_mul_f64 v[123:124], v[123:124], v[128:129]
	s_cbranch_execz .LBB124_632
	s_branch .LBB124_633
.LBB124_631:
                                        ; implicit-def: $vgpr123_vgpr124
.LBB124_632:
	ds_read_b64 v[123:124], v126
.LBB124_633:
	v_cmp_ne_u32_e32 vcc, 4, v0
	s_and_saveexec_b64 s[8:9], vcc
	s_cbranch_execz .LBB124_637
; %bb.634:
	s_mov_b32 s10, 0
	v_add_u32_e32 v128, 0x1f8, v125
	v_add3_u32 v129, v125, s10, 8
	s_mov_b64 s[10:11], 0
	v_mov_b32_e32 v130, v0
.LBB124_635:                            ; =>This Inner Loop Header: Depth=1
	buffer_load_dword v131, v129, s[0:3], 0 offen
	buffer_load_dword v132, v129, s[0:3], 0 offen offset:4
	ds_read_b64 v[133:134], v128
	v_add_u32_e32 v130, 1, v130
	v_cmp_lt_u32_e32 vcc, 3, v130
	v_add_u32_e32 v128, 8, v128
	s_or_b64 s[10:11], vcc, s[10:11]
	v_add_u32_e32 v129, 8, v129
	s_waitcnt vmcnt(0) lgkmcnt(0)
	v_fma_f64 v[123:124], v[131:132], v[133:134], v[123:124]
	s_andn2_b64 exec, exec, s[10:11]
	s_cbranch_execnz .LBB124_635
; %bb.636:
	s_or_b64 exec, exec, s[10:11]
.LBB124_637:
	s_or_b64 exec, exec, s[8:9]
	v_mov_b32_e32 v128, 0
	ds_read_b64 v[128:129], v128 offset:40
	s_waitcnt lgkmcnt(0)
	v_mul_f64 v[123:124], v[123:124], v[128:129]
	buffer_store_dword v124, off, s[0:3], 0 offset:44
	buffer_store_dword v123, off, s[0:3], 0 offset:40
.LBB124_638:
	;; [unrolled: 59-line block ×38, first 2 shown]
	s_or_b64 exec, exec, s[6:7]
	buffer_load_dword v123, off, s[0:3], 0 offset:336
	buffer_load_dword v124, off, s[0:3], 0 offset:340
	v_cmp_gt_u32_e32 vcc, 42, v0
	s_waitcnt vmcnt(0)
	ds_write_b64 v126, v[123:124]
	s_waitcnt lgkmcnt(0)
	; wave barrier
	s_and_saveexec_b64 s[6:7], vcc
	s_cbranch_execz .LBB124_1008
; %bb.999:
	s_and_b64 vcc, exec, s[4:5]
	s_cbranch_vccnz .LBB124_1001
; %bb.1000:
	buffer_load_dword v123, v127, s[0:3], 0 offen
	buffer_load_dword v124, v127, s[0:3], 0 offen offset:4
	ds_read_b64 v[128:129], v126
	s_waitcnt vmcnt(0) lgkmcnt(0)
	v_mul_f64 v[123:124], v[123:124], v[128:129]
	s_cbranch_execz .LBB124_1002
	s_branch .LBB124_1003
.LBB124_1001:
                                        ; implicit-def: $vgpr123_vgpr124
.LBB124_1002:
	ds_read_b64 v[123:124], v126
.LBB124_1003:
	v_cmp_ne_u32_e32 vcc, 41, v0
	s_and_saveexec_b64 s[8:9], vcc
	s_cbranch_execz .LBB124_1007
; %bb.1004:
	s_mov_b32 s10, 0
	v_add_u32_e32 v128, 0x1f8, v125
	v_add3_u32 v129, v125, s10, 8
	s_mov_b64 s[10:11], 0
	v_mov_b32_e32 v130, v0
.LBB124_1005:                           ; =>This Inner Loop Header: Depth=1
	buffer_load_dword v131, v129, s[0:3], 0 offen
	buffer_load_dword v132, v129, s[0:3], 0 offen offset:4
	ds_read_b64 v[133:134], v128
	v_add_u32_e32 v130, 1, v130
	v_cmp_lt_u32_e32 vcc, 40, v130
	v_add_u32_e32 v128, 8, v128
	s_or_b64 s[10:11], vcc, s[10:11]
	v_add_u32_e32 v129, 8, v129
	s_waitcnt vmcnt(0) lgkmcnt(0)
	v_fma_f64 v[123:124], v[131:132], v[133:134], v[123:124]
	s_andn2_b64 exec, exec, s[10:11]
	s_cbranch_execnz .LBB124_1005
; %bb.1006:
	s_or_b64 exec, exec, s[10:11]
.LBB124_1007:
	s_or_b64 exec, exec, s[8:9]
	v_mov_b32_e32 v128, 0
	ds_read_b64 v[128:129], v128 offset:336
	s_waitcnt lgkmcnt(0)
	v_mul_f64 v[123:124], v[123:124], v[128:129]
	buffer_store_dword v124, off, s[0:3], 0 offset:340
	buffer_store_dword v123, off, s[0:3], 0 offset:336
.LBB124_1008:
	s_or_b64 exec, exec, s[6:7]
	buffer_load_dword v123, off, s[0:3], 0 offset:344
	buffer_load_dword v124, off, s[0:3], 0 offset:348
	v_cmp_gt_u32_e32 vcc, 43, v0
	s_waitcnt vmcnt(0)
	ds_write_b64 v126, v[123:124]
	s_waitcnt lgkmcnt(0)
	; wave barrier
	s_and_saveexec_b64 s[6:7], vcc
	s_cbranch_execz .LBB124_1018
; %bb.1009:
	s_and_b64 vcc, exec, s[4:5]
	s_cbranch_vccnz .LBB124_1011
; %bb.1010:
	buffer_load_dword v123, v127, s[0:3], 0 offen
	buffer_load_dword v124, v127, s[0:3], 0 offen offset:4
	ds_read_b64 v[128:129], v126
	s_waitcnt vmcnt(0) lgkmcnt(0)
	v_mul_f64 v[123:124], v[123:124], v[128:129]
	s_cbranch_execz .LBB124_1012
	s_branch .LBB124_1013
.LBB124_1011:
                                        ; implicit-def: $vgpr123_vgpr124
.LBB124_1012:
	ds_read_b64 v[123:124], v126
.LBB124_1013:
	v_cmp_ne_u32_e32 vcc, 42, v0
	s_and_saveexec_b64 s[8:9], vcc
	s_cbranch_execz .LBB124_1017
; %bb.1014:
	s_mov_b32 s10, 0
	v_add_u32_e32 v128, 0x1f8, v125
	v_add3_u32 v129, v125, s10, 8
	s_mov_b64 s[10:11], 0
	v_mov_b32_e32 v130, v0
.LBB124_1015:                           ; =>This Inner Loop Header: Depth=1
	buffer_load_dword v131, v129, s[0:3], 0 offen
	buffer_load_dword v132, v129, s[0:3], 0 offen offset:4
	ds_read_b64 v[133:134], v128
	v_add_u32_e32 v130, 1, v130
	v_cmp_lt_u32_e32 vcc, 41, v130
	v_add_u32_e32 v128, 8, v128
	s_or_b64 s[10:11], vcc, s[10:11]
	v_add_u32_e32 v129, 8, v129
	s_waitcnt vmcnt(0) lgkmcnt(0)
	v_fma_f64 v[123:124], v[131:132], v[133:134], v[123:124]
	s_andn2_b64 exec, exec, s[10:11]
	s_cbranch_execnz .LBB124_1015
; %bb.1016:
	s_or_b64 exec, exec, s[10:11]
.LBB124_1017:
	s_or_b64 exec, exec, s[8:9]
	v_mov_b32_e32 v128, 0
	ds_read_b64 v[128:129], v128 offset:344
	s_waitcnt lgkmcnt(0)
	v_mul_f64 v[123:124], v[123:124], v[128:129]
	buffer_store_dword v124, off, s[0:3], 0 offset:348
	buffer_store_dword v123, off, s[0:3], 0 offset:344
.LBB124_1018:
	;; [unrolled: 59-line block ×17, first 2 shown]
	s_or_b64 exec, exec, s[6:7]
	buffer_load_dword v123, off, s[0:3], 0 offset:472
	buffer_load_dword v124, off, s[0:3], 0 offset:476
	v_cmp_gt_u32_e64 s[6:7], 59, v0
	s_waitcnt vmcnt(0)
	ds_write_b64 v126, v[123:124]
	s_waitcnt lgkmcnt(0)
	; wave barrier
	s_and_saveexec_b64 s[8:9], s[6:7]
	s_cbranch_execz .LBB124_1178
; %bb.1169:
	s_and_b64 vcc, exec, s[4:5]
	s_cbranch_vccnz .LBB124_1171
; %bb.1170:
	buffer_load_dword v123, v127, s[0:3], 0 offen
	buffer_load_dword v124, v127, s[0:3], 0 offen offset:4
	ds_read_b64 v[128:129], v126
	s_waitcnt vmcnt(0) lgkmcnt(0)
	v_mul_f64 v[123:124], v[123:124], v[128:129]
	s_cbranch_execz .LBB124_1172
	s_branch .LBB124_1173
.LBB124_1171:
                                        ; implicit-def: $vgpr123_vgpr124
.LBB124_1172:
	ds_read_b64 v[123:124], v126
.LBB124_1173:
	v_cmp_ne_u32_e32 vcc, 58, v0
	s_and_saveexec_b64 s[10:11], vcc
	s_cbranch_execz .LBB124_1177
; %bb.1174:
	s_mov_b32 s12, 0
	v_add_u32_e32 v128, 0x1f8, v125
	v_add3_u32 v129, v125, s12, 8
	s_mov_b64 s[12:13], 0
	v_mov_b32_e32 v130, v0
.LBB124_1175:                           ; =>This Inner Loop Header: Depth=1
	buffer_load_dword v131, v129, s[0:3], 0 offen
	buffer_load_dword v132, v129, s[0:3], 0 offen offset:4
	ds_read_b64 v[133:134], v128
	v_add_u32_e32 v130, 1, v130
	v_cmp_lt_u32_e32 vcc, 57, v130
	v_add_u32_e32 v128, 8, v128
	s_or_b64 s[12:13], vcc, s[12:13]
	v_add_u32_e32 v129, 8, v129
	s_waitcnt vmcnt(0) lgkmcnt(0)
	v_fma_f64 v[123:124], v[131:132], v[133:134], v[123:124]
	s_andn2_b64 exec, exec, s[12:13]
	s_cbranch_execnz .LBB124_1175
; %bb.1176:
	s_or_b64 exec, exec, s[12:13]
.LBB124_1177:
	s_or_b64 exec, exec, s[10:11]
	v_mov_b32_e32 v128, 0
	ds_read_b64 v[128:129], v128 offset:472
	s_waitcnt lgkmcnt(0)
	v_mul_f64 v[123:124], v[123:124], v[128:129]
	buffer_store_dword v124, off, s[0:3], 0 offset:476
	buffer_store_dword v123, off, s[0:3], 0 offset:472
.LBB124_1178:
	s_or_b64 exec, exec, s[8:9]
	buffer_load_dword v123, off, s[0:3], 0 offset:480
	buffer_load_dword v124, off, s[0:3], 0 offset:484
	v_cmp_ne_u32_e32 vcc, 60, v0
	s_waitcnt vmcnt(0)
	ds_write_b64 v126, v[123:124]
	s_waitcnt lgkmcnt(0)
	; wave barrier
	s_and_saveexec_b64 s[8:9], vcc
	s_cbranch_execz .LBB124_1188
; %bb.1179:
	s_and_b64 vcc, exec, s[4:5]
	s_cbranch_vccnz .LBB124_1181
; %bb.1180:
	buffer_load_dword v123, v127, s[0:3], 0 offen
	buffer_load_dword v124, v127, s[0:3], 0 offen offset:4
	ds_read_b64 v[127:128], v126
	s_waitcnt vmcnt(0) lgkmcnt(0)
	v_mul_f64 v[123:124], v[123:124], v[127:128]
	s_cbranch_execz .LBB124_1182
	s_branch .LBB124_1183
.LBB124_1181:
                                        ; implicit-def: $vgpr123_vgpr124
.LBB124_1182:
	ds_read_b64 v[123:124], v126
.LBB124_1183:
	s_and_saveexec_b64 s[4:5], s[6:7]
	s_cbranch_execz .LBB124_1187
; %bb.1184:
	s_mov_b32 s6, 0
	v_add_u32_e32 v126, 0x1f8, v125
	v_add3_u32 v125, v125, s6, 8
	s_mov_b64 s[6:7], 0
.LBB124_1185:                           ; =>This Inner Loop Header: Depth=1
	buffer_load_dword v127, v125, s[0:3], 0 offen
	buffer_load_dword v128, v125, s[0:3], 0 offen offset:4
	ds_read_b64 v[129:130], v126
	v_add_u32_e32 v0, 1, v0
	v_cmp_lt_u32_e32 vcc, 58, v0
	v_add_u32_e32 v126, 8, v126
	s_or_b64 s[6:7], vcc, s[6:7]
	v_add_u32_e32 v125, 8, v125
	s_waitcnt vmcnt(0) lgkmcnt(0)
	v_fma_f64 v[123:124], v[127:128], v[129:130], v[123:124]
	s_andn2_b64 exec, exec, s[6:7]
	s_cbranch_execnz .LBB124_1185
; %bb.1186:
	s_or_b64 exec, exec, s[6:7]
.LBB124_1187:
	s_or_b64 exec, exec, s[4:5]
	v_mov_b32_e32 v0, 0
	ds_read_b64 v[125:126], v0 offset:480
	s_waitcnt lgkmcnt(0)
	v_mul_f64 v[123:124], v[123:124], v[125:126]
	buffer_store_dword v124, off, s[0:3], 0 offset:484
	buffer_store_dword v123, off, s[0:3], 0 offset:480
.LBB124_1188:
	s_or_b64 exec, exec, s[8:9]
.LBB124_1189:
	buffer_load_dword v123, off, s[0:3], 0
	buffer_load_dword v124, off, s[0:3], 0 offset:4
	s_waitcnt vmcnt(0)
	flat_store_dwordx2 v[1:2], v[123:124]
	buffer_load_dword v0, off, s[0:3], 0 offset:8
	s_nop 0
	buffer_load_dword v1, off, s[0:3], 0 offset:12
	s_waitcnt vmcnt(0)
	flat_store_dwordx2 v[3:4], v[0:1]
	buffer_load_dword v0, off, s[0:3], 0 offset:16
	s_nop 0
	;; [unrolled: 5-line block ×60, first 2 shown]
	buffer_load_dword v1, off, s[0:3], 0 offset:484
	s_waitcnt vmcnt(0)
	flat_store_dwordx2 v[121:122], v[0:1]
.LBB124_1190:
	s_endpgm
	.section	.rodata,"a",@progbits
	.p2align	6, 0x0
	.amdhsa_kernel _ZN9rocsolver6v33100L18trti2_kernel_smallILi61EdPKPdEEv13rocblas_fill_17rocblas_diagonal_T1_iil
		.amdhsa_group_segment_fixed_size 984
		.amdhsa_private_segment_fixed_size 496
		.amdhsa_kernarg_size 32
		.amdhsa_user_sgpr_count 6
		.amdhsa_user_sgpr_private_segment_buffer 1
		.amdhsa_user_sgpr_dispatch_ptr 0
		.amdhsa_user_sgpr_queue_ptr 0
		.amdhsa_user_sgpr_kernarg_segment_ptr 1
		.amdhsa_user_sgpr_dispatch_id 0
		.amdhsa_user_sgpr_flat_scratch_init 0
		.amdhsa_user_sgpr_private_segment_size 0
		.amdhsa_uses_dynamic_stack 0
		.amdhsa_system_sgpr_private_segment_wavefront_offset 1
		.amdhsa_system_sgpr_workgroup_id_x 1
		.amdhsa_system_sgpr_workgroup_id_y 0
		.amdhsa_system_sgpr_workgroup_id_z 0
		.amdhsa_system_sgpr_workgroup_info 0
		.amdhsa_system_vgpr_workitem_id 0
		.amdhsa_next_free_vgpr 136
		.amdhsa_next_free_sgpr 74
		.amdhsa_reserve_vcc 1
		.amdhsa_reserve_flat_scratch 0
		.amdhsa_float_round_mode_32 0
		.amdhsa_float_round_mode_16_64 0
		.amdhsa_float_denorm_mode_32 3
		.amdhsa_float_denorm_mode_16_64 3
		.amdhsa_dx10_clamp 1
		.amdhsa_ieee_mode 1
		.amdhsa_fp16_overflow 0
		.amdhsa_exception_fp_ieee_invalid_op 0
		.amdhsa_exception_fp_denorm_src 0
		.amdhsa_exception_fp_ieee_div_zero 0
		.amdhsa_exception_fp_ieee_overflow 0
		.amdhsa_exception_fp_ieee_underflow 0
		.amdhsa_exception_fp_ieee_inexact 0
		.amdhsa_exception_int_div_zero 0
	.end_amdhsa_kernel
	.section	.text._ZN9rocsolver6v33100L18trti2_kernel_smallILi61EdPKPdEEv13rocblas_fill_17rocblas_diagonal_T1_iil,"axG",@progbits,_ZN9rocsolver6v33100L18trti2_kernel_smallILi61EdPKPdEEv13rocblas_fill_17rocblas_diagonal_T1_iil,comdat
.Lfunc_end124:
	.size	_ZN9rocsolver6v33100L18trti2_kernel_smallILi61EdPKPdEEv13rocblas_fill_17rocblas_diagonal_T1_iil, .Lfunc_end124-_ZN9rocsolver6v33100L18trti2_kernel_smallILi61EdPKPdEEv13rocblas_fill_17rocblas_diagonal_T1_iil
                                        ; -- End function
	.set _ZN9rocsolver6v33100L18trti2_kernel_smallILi61EdPKPdEEv13rocblas_fill_17rocblas_diagonal_T1_iil.num_vgpr, 136
	.set _ZN9rocsolver6v33100L18trti2_kernel_smallILi61EdPKPdEEv13rocblas_fill_17rocblas_diagonal_T1_iil.num_agpr, 0
	.set _ZN9rocsolver6v33100L18trti2_kernel_smallILi61EdPKPdEEv13rocblas_fill_17rocblas_diagonal_T1_iil.numbered_sgpr, 74
	.set _ZN9rocsolver6v33100L18trti2_kernel_smallILi61EdPKPdEEv13rocblas_fill_17rocblas_diagonal_T1_iil.num_named_barrier, 0
	.set _ZN9rocsolver6v33100L18trti2_kernel_smallILi61EdPKPdEEv13rocblas_fill_17rocblas_diagonal_T1_iil.private_seg_size, 496
	.set _ZN9rocsolver6v33100L18trti2_kernel_smallILi61EdPKPdEEv13rocblas_fill_17rocblas_diagonal_T1_iil.uses_vcc, 1
	.set _ZN9rocsolver6v33100L18trti2_kernel_smallILi61EdPKPdEEv13rocblas_fill_17rocblas_diagonal_T1_iil.uses_flat_scratch, 0
	.set _ZN9rocsolver6v33100L18trti2_kernel_smallILi61EdPKPdEEv13rocblas_fill_17rocblas_diagonal_T1_iil.has_dyn_sized_stack, 0
	.set _ZN9rocsolver6v33100L18trti2_kernel_smallILi61EdPKPdEEv13rocblas_fill_17rocblas_diagonal_T1_iil.has_recursion, 0
	.set _ZN9rocsolver6v33100L18trti2_kernel_smallILi61EdPKPdEEv13rocblas_fill_17rocblas_diagonal_T1_iil.has_indirect_call, 0
	.section	.AMDGPU.csdata,"",@progbits
; Kernel info:
; codeLenInByte = 36512
; TotalNumSgprs: 78
; NumVgprs: 136
; ScratchSize: 496
; MemoryBound: 0
; FloatMode: 240
; IeeeMode: 1
; LDSByteSize: 984 bytes/workgroup (compile time only)
; SGPRBlocks: 9
; VGPRBlocks: 33
; NumSGPRsForWavesPerEU: 78
; NumVGPRsForWavesPerEU: 136
; Occupancy: 1
; WaveLimiterHint : 1
; COMPUTE_PGM_RSRC2:SCRATCH_EN: 1
; COMPUTE_PGM_RSRC2:USER_SGPR: 6
; COMPUTE_PGM_RSRC2:TRAP_HANDLER: 0
; COMPUTE_PGM_RSRC2:TGID_X_EN: 1
; COMPUTE_PGM_RSRC2:TGID_Y_EN: 0
; COMPUTE_PGM_RSRC2:TGID_Z_EN: 0
; COMPUTE_PGM_RSRC2:TIDIG_COMP_CNT: 0
	.section	.text._ZN9rocsolver6v33100L18trti2_kernel_smallILi62EdPKPdEEv13rocblas_fill_17rocblas_diagonal_T1_iil,"axG",@progbits,_ZN9rocsolver6v33100L18trti2_kernel_smallILi62EdPKPdEEv13rocblas_fill_17rocblas_diagonal_T1_iil,comdat
	.globl	_ZN9rocsolver6v33100L18trti2_kernel_smallILi62EdPKPdEEv13rocblas_fill_17rocblas_diagonal_T1_iil ; -- Begin function _ZN9rocsolver6v33100L18trti2_kernel_smallILi62EdPKPdEEv13rocblas_fill_17rocblas_diagonal_T1_iil
	.p2align	8
	.type	_ZN9rocsolver6v33100L18trti2_kernel_smallILi62EdPKPdEEv13rocblas_fill_17rocblas_diagonal_T1_iil,@function
_ZN9rocsolver6v33100L18trti2_kernel_smallILi62EdPKPdEEv13rocblas_fill_17rocblas_diagonal_T1_iil: ; @_ZN9rocsolver6v33100L18trti2_kernel_smallILi62EdPKPdEEv13rocblas_fill_17rocblas_diagonal_T1_iil
; %bb.0:
	s_add_u32 s0, s0, s7
	s_addc_u32 s1, s1, 0
	v_cmp_gt_u32_e32 vcc, 62, v0
	s_and_saveexec_b64 s[8:9], vcc
	s_cbranch_execz .LBB125_1210
; %bb.1:
	s_load_dwordx2 s[12:13], s[4:5], 0x10
	s_load_dwordx4 s[8:11], s[4:5], 0x0
	s_ashr_i32 s7, s6, 31
	s_lshl_b64 s[6:7], s[6:7], 3
	v_lshlrev_b32_e32 v127, 3, v0
	s_waitcnt lgkmcnt(0)
	s_ashr_i32 s5, s12, 31
	s_add_u32 s6, s10, s6
	s_addc_u32 s7, s11, s7
	s_load_dwordx2 s[6:7], s[6:7], 0x0
	s_mov_b32 s4, s12
	s_lshl_b64 s[4:5], s[4:5], 3
	s_waitcnt lgkmcnt(0)
	s_add_u32 s4, s6, s4
	s_addc_u32 s5, s7, s5
	v_mov_b32_e32 v2, s5
	v_add_co_u32_e32 v1, vcc, s4, v127
	v_addc_co_u32_e32 v2, vcc, 0, v2, vcc
	flat_load_dwordx2 v[5:6], v[1:2]
	s_mov_b32 s6, s13
	s_ashr_i32 s7, s13, 31
	s_lshl_b64 s[6:7], s[6:7], 3
	v_mov_b32_e32 v4, s7
	v_add_co_u32_e32 v3, vcc, s6, v1
	v_addc_co_u32_e32 v4, vcc, v2, v4, vcc
	s_add_i32 s6, s13, s13
	v_add_u32_e32 v9, s6, v0
	v_ashrrev_i32_e32 v10, 31, v9
	v_mov_b32_e32 v11, s5
	v_add_u32_e32 v12, s13, v9
	v_ashrrev_i32_e32 v13, 31, v12
	v_mov_b32_e32 v14, s5
	v_mov_b32_e32 v15, s5
	v_mov_b32_e32 v17, s5
	v_mov_b32_e32 v20, s5
	v_mov_b32_e32 v21, s5
	v_mov_b32_e32 v23, s5
	v_mov_b32_e32 v26, s5
	v_mov_b32_e32 v27, s5
	v_mov_b32_e32 v29, s5
	v_mov_b32_e32 v32, s5
	v_mov_b32_e32 v33, s5
	v_mov_b32_e32 v35, s5
	v_mov_b32_e32 v38, s5
	v_mov_b32_e32 v39, s5
	v_mov_b32_e32 v41, s5
	v_mov_b32_e32 v44, s5
	v_mov_b32_e32 v45, s5
	v_mov_b32_e32 v47, s5
	v_mov_b32_e32 v50, s5
	v_mov_b32_e32 v51, s5
	v_mov_b32_e32 v53, s5
	v_mov_b32_e32 v56, s5
	v_mov_b32_e32 v57, s5
	v_mov_b32_e32 v59, s5
	v_mov_b32_e32 v62, s5
	v_mov_b32_e32 v63, s5
	v_mov_b32_e32 v65, s5
	v_mov_b32_e32 v68, s5
	v_mov_b32_e32 v69, s5
	v_mov_b32_e32 v71, s5
	v_mov_b32_e32 v74, s5
	v_mov_b32_e32 v75, s5
	v_mov_b32_e32 v77, s5
	v_mov_b32_e32 v80, s5
	v_mov_b32_e32 v81, s5
	v_mov_b32_e32 v83, s5
	v_mov_b32_e32 v86, s5
	v_mov_b32_e32 v87, s5
	v_mov_b32_e32 v89, s5
	v_mov_b32_e32 v92, s5
	v_mov_b32_e32 v93, s5
	v_mov_b32_e32 v95, s5
	v_mov_b32_e32 v98, s5
	v_mov_b32_e32 v99, s5
	v_mov_b32_e32 v101, s5
	v_mov_b32_e32 v104, s5
	v_mov_b32_e32 v105, s5
	v_mov_b32_e32 v107, s5
	v_mov_b32_e32 v110, s5
	v_mov_b32_e32 v111, s5
	v_mov_b32_e32 v113, s5
	v_mov_b32_e32 v116, s5
	v_mov_b32_e32 v117, s5
	v_mov_b32_e32 v119, s5
	v_mov_b32_e32 v122, s5
	v_mov_b32_e32 v123, s5
	v_mov_b32_e32 v125, s5
	v_mov_b32_e32 v126, s5
	s_cmpk_lg_i32 s9, 0x84
	s_cselect_b64 s[10:11], -1, 0
	s_cmpk_eq_i32 s9, 0x84
	s_waitcnt vmcnt(0) lgkmcnt(0)
	buffer_store_dword v6, off, s[0:3], 0 offset:4
	buffer_store_dword v5, off, s[0:3], 0
	flat_load_dwordx2 v[7:8], v[3:4]
	v_lshlrev_b64 v[5:6], 3, v[9:10]
	s_waitcnt vmcnt(0) lgkmcnt(0)
	buffer_store_dword v8, off, s[0:3], 0 offset:12
	buffer_store_dword v7, off, s[0:3], 0 offset:8
	v_add_co_u32_e32 v5, vcc, s4, v5
	v_addc_co_u32_e32 v6, vcc, v11, v6, vcc
	flat_load_dwordx2 v[10:11], v[5:6]
	v_lshlrev_b64 v[7:8], 3, v[12:13]
	s_waitcnt vmcnt(0) lgkmcnt(0)
	buffer_store_dword v11, off, s[0:3], 0 offset:20
	buffer_store_dword v10, off, s[0:3], 0 offset:16
	v_add_co_u32_e32 v7, vcc, s4, v7
	v_addc_co_u32_e32 v8, vcc, v14, v8, vcc
	flat_load_dwordx2 v[13:14], v[7:8]
	v_add_u32_e32 v11, s13, v12
	v_ashrrev_i32_e32 v12, 31, v11
	v_lshlrev_b64 v[9:10], 3, v[11:12]
	s_waitcnt vmcnt(0) lgkmcnt(0)
	buffer_store_dword v14, off, s[0:3], 0 offset:28
	buffer_store_dword v13, off, s[0:3], 0 offset:24
	v_add_co_u32_e32 v9, vcc, s4, v9
	v_addc_co_u32_e32 v10, vcc, v15, v10, vcc
	flat_load_dwordx2 v[13:14], v[9:10]
	v_add_u32_e32 v15, s13, v11
	v_ashrrev_i32_e32 v16, 31, v15
	v_lshlrev_b64 v[11:12], 3, v[15:16]
	v_add_u32_e32 v18, s13, v15
	v_add_co_u32_e32 v11, vcc, s4, v11
	v_addc_co_u32_e32 v12, vcc, v17, v12, vcc
	v_ashrrev_i32_e32 v19, 31, v18
	s_waitcnt vmcnt(0) lgkmcnt(0)
	buffer_store_dword v14, off, s[0:3], 0 offset:36
	buffer_store_dword v13, off, s[0:3], 0 offset:32
	flat_load_dwordx2 v[16:17], v[11:12]
	v_lshlrev_b64 v[13:14], 3, v[18:19]
	s_waitcnt vmcnt(0) lgkmcnt(0)
	buffer_store_dword v17, off, s[0:3], 0 offset:44
	buffer_store_dword v16, off, s[0:3], 0 offset:40
	v_add_co_u32_e32 v13, vcc, s4, v13
	v_addc_co_u32_e32 v14, vcc, v20, v14, vcc
	flat_load_dwordx2 v[19:20], v[13:14]
	v_add_u32_e32 v17, s13, v18
	v_ashrrev_i32_e32 v18, 31, v17
	v_lshlrev_b64 v[15:16], 3, v[17:18]
	s_waitcnt vmcnt(0) lgkmcnt(0)
	buffer_store_dword v20, off, s[0:3], 0 offset:52
	buffer_store_dword v19, off, s[0:3], 0 offset:48
	v_add_co_u32_e32 v15, vcc, s4, v15
	v_addc_co_u32_e32 v16, vcc, v21, v16, vcc
	flat_load_dwordx2 v[19:20], v[15:16]
	v_add_u32_e32 v21, s13, v17
	v_ashrrev_i32_e32 v22, 31, v21
	v_lshlrev_b64 v[17:18], 3, v[21:22]
	v_add_u32_e32 v24, s13, v21
	v_add_co_u32_e32 v17, vcc, s4, v17
	v_addc_co_u32_e32 v18, vcc, v23, v18, vcc
	v_ashrrev_i32_e32 v25, 31, v24
	s_waitcnt vmcnt(0) lgkmcnt(0)
	buffer_store_dword v20, off, s[0:3], 0 offset:60
	buffer_store_dword v19, off, s[0:3], 0 offset:56
	;; [unrolled: 27-line block ×7, first 2 shown]
	flat_load_dwordx2 v[52:53], v[47:48]
	v_lshlrev_b64 v[49:50], 3, v[54:55]
	s_waitcnt vmcnt(0) lgkmcnt(0)
	buffer_store_dword v53, off, s[0:3], 0 offset:188
	buffer_store_dword v52, off, s[0:3], 0 offset:184
	v_add_co_u32_e32 v49, vcc, s4, v49
	v_addc_co_u32_e32 v50, vcc, v56, v50, vcc
	flat_load_dwordx2 v[55:56], v[49:50]
	v_add_u32_e32 v53, s13, v54
	v_ashrrev_i32_e32 v54, 31, v53
	v_lshlrev_b64 v[51:52], 3, v[53:54]
	s_waitcnt vmcnt(0) lgkmcnt(0)
	buffer_store_dword v56, off, s[0:3], 0 offset:196
	buffer_store_dword v55, off, s[0:3], 0 offset:192
	v_add_co_u32_e32 v51, vcc, s4, v51
	v_addc_co_u32_e32 v52, vcc, v57, v52, vcc
	flat_load_dwordx2 v[55:56], v[51:52]
	v_add_u32_e32 v57, s13, v53
	v_ashrrev_i32_e32 v58, 31, v57
	v_lshlrev_b64 v[53:54], 3, v[57:58]
	v_add_u32_e32 v60, s13, v57
	v_add_co_u32_e32 v53, vcc, s4, v53
	v_addc_co_u32_e32 v54, vcc, v59, v54, vcc
	s_waitcnt vmcnt(0) lgkmcnt(0)
	buffer_store_dword v56, off, s[0:3], 0 offset:204
	buffer_store_dword v55, off, s[0:3], 0 offset:200
	flat_load_dwordx2 v[58:59], v[53:54]
	v_ashrrev_i32_e32 v61, 31, v60
	v_lshlrev_b64 v[55:56], 3, v[60:61]
	s_waitcnt vmcnt(0) lgkmcnt(0)
	buffer_store_dword v59, off, s[0:3], 0 offset:212
	buffer_store_dword v58, off, s[0:3], 0 offset:208
	v_add_co_u32_e32 v55, vcc, s4, v55
	v_addc_co_u32_e32 v56, vcc, v62, v56, vcc
	flat_load_dwordx2 v[61:62], v[55:56]
	v_add_u32_e32 v59, s13, v60
	v_ashrrev_i32_e32 v60, 31, v59
	v_lshlrev_b64 v[57:58], 3, v[59:60]
	s_waitcnt vmcnt(0) lgkmcnt(0)
	buffer_store_dword v62, off, s[0:3], 0 offset:220
	buffer_store_dword v61, off, s[0:3], 0 offset:216
	v_add_co_u32_e32 v57, vcc, s4, v57
	v_addc_co_u32_e32 v58, vcc, v63, v58, vcc
	flat_load_dwordx2 v[61:62], v[57:58]
	v_add_u32_e32 v63, s13, v59
	;; [unrolled: 9-line block ×34, first 2 shown]
	v_ashrrev_i32_e32 v124, 31, v123
	v_lshlrev_b64 v[123:124], 3, v[123:124]
	v_mov_b32_e32 v129, s5
	v_add_co_u32_e32 v123, vcc, s4, v123
	v_addc_co_u32_e32 v124, vcc, v129, v124, vcc
	s_waitcnt vmcnt(0) lgkmcnt(0)
	buffer_store_dword v126, off, s[0:3], 0 offset:484
	buffer_store_dword v125, off, s[0:3], 0 offset:480
	flat_load_dwordx2 v[128:129], v[123:124]
	v_mov_b32_e32 v125, 0
	v_mov_b32_e32 v126, 0xbff00000
	s_waitcnt vmcnt(0) lgkmcnt(0)
	buffer_store_dword v129, off, s[0:3], 0 offset:492
	buffer_store_dword v128, off, s[0:3], 0 offset:488
	s_cbranch_scc1 .LBB125_3
; %bb.2:
	v_mov_b32_e32 v125, 0
	v_lshl_add_u32 v136, v0, 3, v125
	buffer_load_dword v125, v136, s[0:3], 0 offen
	buffer_load_dword v126, v136, s[0:3], 0 offen offset:4
	s_waitcnt vmcnt(0)
	v_div_scale_f64 v[128:129], s[4:5], v[125:126], v[125:126], 1.0
	v_rcp_f64_e32 v[130:131], v[128:129]
	v_fma_f64 v[132:133], -v[128:129], v[130:131], 1.0
	v_fma_f64 v[130:131], v[130:131], v[132:133], v[130:131]
	v_div_scale_f64 v[132:133], vcc, 1.0, v[125:126], 1.0
	v_fma_f64 v[134:135], -v[128:129], v[130:131], 1.0
	v_fma_f64 v[130:131], v[130:131], v[134:135], v[130:131]
	v_mul_f64 v[134:135], v[132:133], v[130:131]
	v_fma_f64 v[128:129], -v[128:129], v[134:135], v[132:133]
	v_div_fmas_f64 v[128:129], v[128:129], v[130:131], v[134:135]
	v_div_fixup_f64 v[125:126], v[128:129], v[125:126], 1.0
	buffer_store_dword v125, v136, s[0:3], 0 offen
	buffer_store_dword v126, v136, s[0:3], 0 offen offset:4
	v_xor_b32_e32 v126, 0x80000000, v126
.LBB125_3:
	s_cmpk_eq_i32 s8, 0x79
	v_add_u32_e32 v128, 0x1f0, v127
	v_mov_b32_e32 v129, v127
	s_mov_b64 s[4:5], -1
	ds_write_b64 v127, v[125:126]
	s_cbranch_scc1 .LBB125_607
; %bb.4:
	buffer_load_dword v125, off, s[0:3], 0 offset:480
	buffer_load_dword v126, off, s[0:3], 0 offset:484
	s_movk_i32 s12, 0x48
	s_movk_i32 s13, 0x50
	;; [unrolled: 1-line block ×51, first 2 shown]
	v_cmp_eq_u32_e64 s[4:5], 61, v0
	s_waitcnt vmcnt(0)
	ds_write_b64 v128, v[125:126]
	s_waitcnt lgkmcnt(0)
	; wave barrier
	s_and_saveexec_b64 s[6:7], s[4:5]
	s_cbranch_execz .LBB125_10
; %bb.5:
	s_and_b64 vcc, exec, s[10:11]
	s_cbranch_vccz .LBB125_7
; %bb.6:
	buffer_load_dword v125, v129, s[0:3], 0 offen
	buffer_load_dword v126, v129, s[0:3], 0 offen offset:4
	ds_read_b64 v[130:131], v128
	s_waitcnt vmcnt(0) lgkmcnt(0)
	v_mul_f64 v[125:126], v[125:126], v[130:131]
	s_cbranch_execz .LBB125_8
	s_branch .LBB125_9
.LBB125_7:
                                        ; implicit-def: $vgpr125_vgpr126
.LBB125_8:
	ds_read_b64 v[125:126], v128
.LBB125_9:
	v_mov_b32_e32 v130, 0
	ds_read_b64 v[130:131], v130 offset:480
	s_waitcnt lgkmcnt(0)
	v_mul_f64 v[125:126], v[125:126], v[130:131]
	buffer_store_dword v126, off, s[0:3], 0 offset:484
	buffer_store_dword v125, off, s[0:3], 0 offset:480
.LBB125_10:
	s_or_b64 exec, exec, s[6:7]
	buffer_load_dword v125, off, s[0:3], 0 offset:472
	buffer_load_dword v126, off, s[0:3], 0 offset:476
	s_or_b32 s14, 0, 8
	s_mov_b32 s15, 16
	s_mov_b32 s16, 24
	;; [unrolled: 1-line block ×9, first 2 shown]
	v_cmp_lt_u32_e64 s[6:7], 59, v0
	s_waitcnt vmcnt(0)
	ds_write_b64 v128, v[125:126]
	s_waitcnt lgkmcnt(0)
	; wave barrier
	s_and_saveexec_b64 s[8:9], s[6:7]
	s_cbranch_execz .LBB125_16
; %bb.11:
	s_andn2_b64 vcc, exec, s[10:11]
	s_cbranch_vccnz .LBB125_13
; %bb.12:
	buffer_load_dword v125, v129, s[0:3], 0 offen
	buffer_load_dword v126, v129, s[0:3], 0 offen offset:4
	ds_read_b64 v[130:131], v128
	s_waitcnt vmcnt(0) lgkmcnt(0)
	v_mul_f64 v[125:126], v[125:126], v[130:131]
	s_cbranch_execz .LBB125_14
	s_branch .LBB125_15
.LBB125_13:
                                        ; implicit-def: $vgpr125_vgpr126
.LBB125_14:
	ds_read_b64 v[125:126], v128
.LBB125_15:
	buffer_load_dword v134, off, s[0:3], 0 offset:480
	buffer_load_dword v135, off, s[0:3], 0 offset:484
	v_mov_b32_e32 v130, 0
	ds_read2_b64 v[130:133], v130 offset0:59 offset1:122
	s_waitcnt vmcnt(0) lgkmcnt(0)
	v_fma_f64 v[132:133], v[134:135], v[132:133], v[125:126]
	v_cndmask_b32_e64 v126, v126, v133, s[4:5]
	v_cndmask_b32_e64 v125, v125, v132, s[4:5]
	v_mul_f64 v[125:126], v[125:126], v[130:131]
	buffer_store_dword v126, off, s[0:3], 0 offset:476
	buffer_store_dword v125, off, s[0:3], 0 offset:472
.LBB125_16:
	s_or_b64 exec, exec, s[8:9]
	buffer_load_dword v125, off, s[0:3], 0 offset:464
	buffer_load_dword v126, off, s[0:3], 0 offset:468
	v_cmp_lt_u32_e64 s[4:5], 58, v0
	s_waitcnt vmcnt(0)
	ds_write_b64 v128, v[125:126]
	s_waitcnt lgkmcnt(0)
	; wave barrier
	s_and_saveexec_b64 s[8:9], s[4:5]
	s_cbranch_execz .LBB125_26
; %bb.17:
	s_andn2_b64 vcc, exec, s[10:11]
	s_cbranch_vccnz .LBB125_19
; %bb.18:
	buffer_load_dword v125, v129, s[0:3], 0 offen
	buffer_load_dword v126, v129, s[0:3], 0 offen offset:4
	ds_read_b64 v[130:131], v128
	s_waitcnt vmcnt(0) lgkmcnt(0)
	v_mul_f64 v[125:126], v[125:126], v[130:131]
	s_cbranch_execz .LBB125_20
	s_branch .LBB125_21
.LBB125_19:
                                        ; implicit-def: $vgpr125_vgpr126
.LBB125_20:
	ds_read_b64 v[125:126], v128
.LBB125_21:
	s_and_saveexec_b64 s[12:13], s[6:7]
	s_cbranch_execz .LBB125_25
; %bb.22:
	v_subrev_u32_e32 v130, 59, v0
	s_movk_i32 s74, 0x3c8
	s_mov_b64 s[6:7], 0
.LBB125_23:                             ; =>This Inner Loop Header: Depth=1
	v_mov_b32_e32 v132, s73
	buffer_load_dword v131, v132, s[0:3], 0 offen
	s_nop 0
	buffer_load_dword v132, v132, s[0:3], 0 offen offset:4
	v_mov_b32_e32 v133, s74
	ds_read_b64 v[133:134], v133
	v_add_u32_e32 v130, -1, v130
	s_add_i32 s74, s74, 8
	s_add_i32 s73, s73, 8
	v_cmp_eq_u32_e32 vcc, 0, v130
	s_or_b64 s[6:7], vcc, s[6:7]
	s_waitcnt vmcnt(0) lgkmcnt(0)
	v_fma_f64 v[125:126], v[131:132], v[133:134], v[125:126]
	s_andn2_b64 exec, exec, s[6:7]
	s_cbranch_execnz .LBB125_23
; %bb.24:
	s_or_b64 exec, exec, s[6:7]
.LBB125_25:
	s_or_b64 exec, exec, s[12:13]
	v_mov_b32_e32 v130, 0
	ds_read_b64 v[130:131], v130 offset:464
	s_waitcnt lgkmcnt(0)
	v_mul_f64 v[125:126], v[125:126], v[130:131]
	buffer_store_dword v126, off, s[0:3], 0 offset:468
	buffer_store_dword v125, off, s[0:3], 0 offset:464
.LBB125_26:
	s_or_b64 exec, exec, s[8:9]
	buffer_load_dword v125, off, s[0:3], 0 offset:456
	buffer_load_dword v126, off, s[0:3], 0 offset:460
	v_cmp_lt_u32_e64 s[6:7], 57, v0
	s_waitcnt vmcnt(0)
	ds_write_b64 v128, v[125:126]
	s_waitcnt lgkmcnt(0)
	; wave barrier
	s_and_saveexec_b64 s[8:9], s[6:7]
	s_cbranch_execz .LBB125_36
; %bb.27:
	s_andn2_b64 vcc, exec, s[10:11]
	s_cbranch_vccnz .LBB125_29
; %bb.28:
	buffer_load_dword v125, v129, s[0:3], 0 offen
	buffer_load_dword v126, v129, s[0:3], 0 offen offset:4
	ds_read_b64 v[130:131], v128
	s_waitcnt vmcnt(0) lgkmcnt(0)
	v_mul_f64 v[125:126], v[125:126], v[130:131]
	s_cbranch_execz .LBB125_30
	s_branch .LBB125_31
.LBB125_29:
                                        ; implicit-def: $vgpr125_vgpr126
.LBB125_30:
	ds_read_b64 v[125:126], v128
.LBB125_31:
	s_and_saveexec_b64 s[12:13], s[4:5]
	s_cbranch_execz .LBB125_35
; %bb.32:
	v_subrev_u32_e32 v130, 58, v0
	s_movk_i32 s73, 0x3c0
	s_mov_b64 s[4:5], 0
.LBB125_33:                             ; =>This Inner Loop Header: Depth=1
	v_mov_b32_e32 v132, s72
	buffer_load_dword v131, v132, s[0:3], 0 offen
	s_nop 0
	buffer_load_dword v132, v132, s[0:3], 0 offen offset:4
	v_mov_b32_e32 v133, s73
	ds_read_b64 v[133:134], v133
	v_add_u32_e32 v130, -1, v130
	s_add_i32 s73, s73, 8
	s_add_i32 s72, s72, 8
	v_cmp_eq_u32_e32 vcc, 0, v130
	s_or_b64 s[4:5], vcc, s[4:5]
	s_waitcnt vmcnt(0) lgkmcnt(0)
	v_fma_f64 v[125:126], v[131:132], v[133:134], v[125:126]
	s_andn2_b64 exec, exec, s[4:5]
	s_cbranch_execnz .LBB125_33
; %bb.34:
	s_or_b64 exec, exec, s[4:5]
.LBB125_35:
	s_or_b64 exec, exec, s[12:13]
	v_mov_b32_e32 v130, 0
	ds_read_b64 v[130:131], v130 offset:456
	s_waitcnt lgkmcnt(0)
	v_mul_f64 v[125:126], v[125:126], v[130:131]
	buffer_store_dword v126, off, s[0:3], 0 offset:460
	buffer_store_dword v125, off, s[0:3], 0 offset:456
.LBB125_36:
	;; [unrolled: 59-line block ×8, first 2 shown]
	s_or_b64 exec, exec, s[8:9]
	buffer_load_dword v125, off, s[0:3], 0 offset:400
	buffer_load_dword v126, off, s[0:3], 0 offset:404
	v_cmp_lt_u32_e64 s[4:5], 50, v0
	s_waitcnt vmcnt(0)
	ds_write_b64 v128, v[125:126]
	s_waitcnt lgkmcnt(0)
	; wave barrier
	s_and_saveexec_b64 s[8:9], s[4:5]
	s_cbranch_execz .LBB125_106
; %bb.97:
	s_andn2_b64 vcc, exec, s[10:11]
	s_cbranch_vccnz .LBB125_99
; %bb.98:
	buffer_load_dword v125, v129, s[0:3], 0 offen
	buffer_load_dword v126, v129, s[0:3], 0 offen offset:4
	ds_read_b64 v[130:131], v128
	s_waitcnt vmcnt(0) lgkmcnt(0)
	v_mul_f64 v[125:126], v[125:126], v[130:131]
	s_cbranch_execz .LBB125_100
	s_branch .LBB125_101
.LBB125_99:
                                        ; implicit-def: $vgpr125_vgpr126
.LBB125_100:
	ds_read_b64 v[125:126], v128
.LBB125_101:
	s_and_saveexec_b64 s[12:13], s[6:7]
	s_cbranch_execz .LBB125_105
; %bb.102:
	v_subrev_u32_e32 v130, 51, v0
	s_movk_i32 s66, 0x388
	s_mov_b64 s[6:7], 0
.LBB125_103:                            ; =>This Inner Loop Header: Depth=1
	v_mov_b32_e32 v132, s65
	buffer_load_dword v131, v132, s[0:3], 0 offen
	s_nop 0
	buffer_load_dword v132, v132, s[0:3], 0 offen offset:4
	v_mov_b32_e32 v133, s66
	ds_read_b64 v[133:134], v133
	v_add_u32_e32 v130, -1, v130
	s_add_i32 s66, s66, 8
	s_add_i32 s65, s65, 8
	v_cmp_eq_u32_e32 vcc, 0, v130
	s_or_b64 s[6:7], vcc, s[6:7]
	s_waitcnt vmcnt(0) lgkmcnt(0)
	v_fma_f64 v[125:126], v[131:132], v[133:134], v[125:126]
	s_andn2_b64 exec, exec, s[6:7]
	s_cbranch_execnz .LBB125_103
; %bb.104:
	s_or_b64 exec, exec, s[6:7]
.LBB125_105:
	s_or_b64 exec, exec, s[12:13]
	v_mov_b32_e32 v130, 0
	ds_read_b64 v[130:131], v130 offset:400
	s_waitcnt lgkmcnt(0)
	v_mul_f64 v[125:126], v[125:126], v[130:131]
	buffer_store_dword v126, off, s[0:3], 0 offset:404
	buffer_store_dword v125, off, s[0:3], 0 offset:400
.LBB125_106:
	s_or_b64 exec, exec, s[8:9]
	buffer_load_dword v125, off, s[0:3], 0 offset:392
	buffer_load_dword v126, off, s[0:3], 0 offset:396
	v_cmp_lt_u32_e64 s[6:7], 49, v0
	s_waitcnt vmcnt(0)
	ds_write_b64 v128, v[125:126]
	s_waitcnt lgkmcnt(0)
	; wave barrier
	s_and_saveexec_b64 s[8:9], s[6:7]
	s_cbranch_execz .LBB125_116
; %bb.107:
	s_andn2_b64 vcc, exec, s[10:11]
	s_cbranch_vccnz .LBB125_109
; %bb.108:
	buffer_load_dword v125, v129, s[0:3], 0 offen
	buffer_load_dword v126, v129, s[0:3], 0 offen offset:4
	ds_read_b64 v[130:131], v128
	s_waitcnt vmcnt(0) lgkmcnt(0)
	v_mul_f64 v[125:126], v[125:126], v[130:131]
	s_cbranch_execz .LBB125_110
	s_branch .LBB125_111
.LBB125_109:
                                        ; implicit-def: $vgpr125_vgpr126
.LBB125_110:
	ds_read_b64 v[125:126], v128
.LBB125_111:
	s_and_saveexec_b64 s[12:13], s[4:5]
	s_cbranch_execz .LBB125_115
; %bb.112:
	v_subrev_u32_e32 v130, 50, v0
	s_movk_i32 s65, 0x380
	s_mov_b64 s[4:5], 0
.LBB125_113:                            ; =>This Inner Loop Header: Depth=1
	v_mov_b32_e32 v132, s64
	buffer_load_dword v131, v132, s[0:3], 0 offen
	s_nop 0
	buffer_load_dword v132, v132, s[0:3], 0 offen offset:4
	v_mov_b32_e32 v133, s65
	ds_read_b64 v[133:134], v133
	v_add_u32_e32 v130, -1, v130
	s_add_i32 s65, s65, 8
	s_add_i32 s64, s64, 8
	v_cmp_eq_u32_e32 vcc, 0, v130
	s_or_b64 s[4:5], vcc, s[4:5]
	s_waitcnt vmcnt(0) lgkmcnt(0)
	v_fma_f64 v[125:126], v[131:132], v[133:134], v[125:126]
	s_andn2_b64 exec, exec, s[4:5]
	s_cbranch_execnz .LBB125_113
; %bb.114:
	s_or_b64 exec, exec, s[4:5]
.LBB125_115:
	s_or_b64 exec, exec, s[12:13]
	v_mov_b32_e32 v130, 0
	ds_read_b64 v[130:131], v130 offset:392
	s_waitcnt lgkmcnt(0)
	v_mul_f64 v[125:126], v[125:126], v[130:131]
	buffer_store_dword v126, off, s[0:3], 0 offset:396
	buffer_store_dword v125, off, s[0:3], 0 offset:392
.LBB125_116:
	;; [unrolled: 59-line block ×35, first 2 shown]
	s_or_b64 exec, exec, s[8:9]
	buffer_load_dword v125, off, s[0:3], 0 offset:120
	buffer_load_dword v126, off, s[0:3], 0 offset:124
	v_cmp_lt_u32_e64 s[6:7], 15, v0
	s_waitcnt vmcnt(0)
	ds_write_b64 v128, v[125:126]
	s_waitcnt lgkmcnt(0)
	; wave barrier
	s_and_saveexec_b64 s[8:9], s[6:7]
	s_cbranch_execz .LBB125_456
; %bb.447:
	s_andn2_b64 vcc, exec, s[10:11]
	s_cbranch_vccnz .LBB125_449
; %bb.448:
	buffer_load_dword v125, v129, s[0:3], 0 offen
	buffer_load_dword v126, v129, s[0:3], 0 offen offset:4
	ds_read_b64 v[130:131], v128
	s_waitcnt vmcnt(0) lgkmcnt(0)
	v_mul_f64 v[125:126], v[125:126], v[130:131]
	s_cbranch_execz .LBB125_450
	s_branch .LBB125_451
.LBB125_449:
                                        ; implicit-def: $vgpr125_vgpr126
.LBB125_450:
	ds_read_b64 v[125:126], v128
.LBB125_451:
	s_and_saveexec_b64 s[12:13], s[4:5]
	s_cbranch_execz .LBB125_455
; %bb.452:
	v_add_u32_e32 v130, -16, v0
	s_movk_i32 s30, 0x270
	s_mov_b64 s[4:5], 0
.LBB125_453:                            ; =>This Inner Loop Header: Depth=1
	v_mov_b32_e32 v132, s29
	buffer_load_dword v131, v132, s[0:3], 0 offen
	s_nop 0
	buffer_load_dword v132, v132, s[0:3], 0 offen offset:4
	v_mov_b32_e32 v133, s30
	ds_read_b64 v[133:134], v133
	v_add_u32_e32 v130, -1, v130
	s_add_i32 s30, s30, 8
	s_add_i32 s29, s29, 8
	v_cmp_eq_u32_e32 vcc, 0, v130
	s_or_b64 s[4:5], vcc, s[4:5]
	s_waitcnt vmcnt(0) lgkmcnt(0)
	v_fma_f64 v[125:126], v[131:132], v[133:134], v[125:126]
	s_andn2_b64 exec, exec, s[4:5]
	s_cbranch_execnz .LBB125_453
; %bb.454:
	s_or_b64 exec, exec, s[4:5]
.LBB125_455:
	s_or_b64 exec, exec, s[12:13]
	v_mov_b32_e32 v130, 0
	ds_read_b64 v[130:131], v130 offset:120
	s_waitcnt lgkmcnt(0)
	v_mul_f64 v[125:126], v[125:126], v[130:131]
	buffer_store_dword v126, off, s[0:3], 0 offset:124
	buffer_store_dword v125, off, s[0:3], 0 offset:120
.LBB125_456:
	s_or_b64 exec, exec, s[8:9]
	buffer_load_dword v125, off, s[0:3], 0 offset:112
	buffer_load_dword v126, off, s[0:3], 0 offset:116
	v_cmp_lt_u32_e64 s[4:5], 14, v0
	s_waitcnt vmcnt(0)
	ds_write_b64 v128, v[125:126]
	s_waitcnt lgkmcnt(0)
	; wave barrier
	s_and_saveexec_b64 s[8:9], s[4:5]
	s_cbranch_execz .LBB125_466
; %bb.457:
	s_andn2_b64 vcc, exec, s[10:11]
	s_cbranch_vccnz .LBB125_459
; %bb.458:
	buffer_load_dword v125, v129, s[0:3], 0 offen
	buffer_load_dword v126, v129, s[0:3], 0 offen offset:4
	ds_read_b64 v[130:131], v128
	s_waitcnt vmcnt(0) lgkmcnt(0)
	v_mul_f64 v[125:126], v[125:126], v[130:131]
	s_cbranch_execz .LBB125_460
	s_branch .LBB125_461
.LBB125_459:
                                        ; implicit-def: $vgpr125_vgpr126
.LBB125_460:
	ds_read_b64 v[125:126], v128
.LBB125_461:
	s_and_saveexec_b64 s[12:13], s[6:7]
	s_cbranch_execz .LBB125_465
; %bb.462:
	v_add_u32_e32 v130, -15, v0
	s_movk_i32 s29, 0x268
	s_mov_b64 s[6:7], 0
.LBB125_463:                            ; =>This Inner Loop Header: Depth=1
	v_mov_b32_e32 v132, s28
	buffer_load_dword v131, v132, s[0:3], 0 offen
	s_nop 0
	buffer_load_dword v132, v132, s[0:3], 0 offen offset:4
	v_mov_b32_e32 v133, s29
	ds_read_b64 v[133:134], v133
	v_add_u32_e32 v130, -1, v130
	s_add_i32 s29, s29, 8
	s_add_i32 s28, s28, 8
	v_cmp_eq_u32_e32 vcc, 0, v130
	s_or_b64 s[6:7], vcc, s[6:7]
	s_waitcnt vmcnt(0) lgkmcnt(0)
	v_fma_f64 v[125:126], v[131:132], v[133:134], v[125:126]
	s_andn2_b64 exec, exec, s[6:7]
	s_cbranch_execnz .LBB125_463
; %bb.464:
	s_or_b64 exec, exec, s[6:7]
.LBB125_465:
	s_or_b64 exec, exec, s[12:13]
	v_mov_b32_e32 v130, 0
	ds_read_b64 v[130:131], v130 offset:112
	s_waitcnt lgkmcnt(0)
	v_mul_f64 v[125:126], v[125:126], v[130:131]
	buffer_store_dword v126, off, s[0:3], 0 offset:116
	buffer_store_dword v125, off, s[0:3], 0 offset:112
.LBB125_466:
	;; [unrolled: 59-line block ×15, first 2 shown]
	s_or_b64 exec, exec, s[8:9]
	buffer_load_dword v125, off, s[0:3], 0
	buffer_load_dword v126, off, s[0:3], 0 offset:4
	v_cmp_ne_u32_e32 vcc, 0, v0
	s_waitcnt vmcnt(0)
	ds_write_b64 v128, v[125:126]
	s_waitcnt lgkmcnt(0)
	; wave barrier
	s_and_saveexec_b64 s[4:5], vcc
	s_cbranch_execz .LBB125_606
; %bb.597:
	s_andn2_b64 vcc, exec, s[10:11]
	s_cbranch_vccnz .LBB125_599
; %bb.598:
	buffer_load_dword v125, v129, s[0:3], 0 offen
	buffer_load_dword v126, v129, s[0:3], 0 offen offset:4
	ds_read_b64 v[130:131], v128
	s_waitcnt vmcnt(0) lgkmcnt(0)
	v_mul_f64 v[125:126], v[125:126], v[130:131]
	s_cbranch_execz .LBB125_600
	s_branch .LBB125_601
.LBB125_599:
                                        ; implicit-def: $vgpr125_vgpr126
.LBB125_600:
	ds_read_b64 v[125:126], v128
.LBB125_601:
	s_and_saveexec_b64 s[8:9], s[6:7]
	s_cbranch_execz .LBB125_605
; %bb.602:
	v_add_u32_e32 v130, -1, v0
	s_movk_i32 s12, 0x1f8
	s_mov_b64 s[6:7], 0
.LBB125_603:                            ; =>This Inner Loop Header: Depth=1
	v_mov_b32_e32 v132, s14
	buffer_load_dword v131, v132, s[0:3], 0 offen
	s_nop 0
	buffer_load_dword v132, v132, s[0:3], 0 offen offset:4
	v_mov_b32_e32 v133, s12
	ds_read_b64 v[133:134], v133
	v_add_u32_e32 v130, -1, v130
	s_add_i32 s12, s12, 8
	s_add_i32 s14, s14, 8
	v_cmp_eq_u32_e32 vcc, 0, v130
	s_or_b64 s[6:7], vcc, s[6:7]
	s_waitcnt vmcnt(0) lgkmcnt(0)
	v_fma_f64 v[125:126], v[131:132], v[133:134], v[125:126]
	s_andn2_b64 exec, exec, s[6:7]
	s_cbranch_execnz .LBB125_603
; %bb.604:
	s_or_b64 exec, exec, s[6:7]
.LBB125_605:
	s_or_b64 exec, exec, s[8:9]
	v_mov_b32_e32 v130, 0
	ds_read_b64 v[130:131], v130
	s_waitcnt lgkmcnt(0)
	v_mul_f64 v[125:126], v[125:126], v[130:131]
	buffer_store_dword v126, off, s[0:3], 0 offset:4
	buffer_store_dword v125, off, s[0:3], 0
.LBB125_606:
	s_or_b64 exec, exec, s[4:5]
	s_mov_b64 s[4:5], 0
.LBB125_607:
	s_and_b64 vcc, exec, s[4:5]
	s_cbranch_vccz .LBB125_1209
; %bb.608:
	buffer_load_dword v125, off, s[0:3], 0 offset:8
	buffer_load_dword v126, off, s[0:3], 0 offset:12
	v_cmp_eq_u32_e64 s[6:7], 0, v0
	s_waitcnt vmcnt(0)
	ds_write_b64 v128, v[125:126]
	s_waitcnt lgkmcnt(0)
	; wave barrier
	s_and_saveexec_b64 s[4:5], s[6:7]
	s_cbranch_execz .LBB125_614
; %bb.609:
	s_and_b64 vcc, exec, s[10:11]
	s_cbranch_vccz .LBB125_611
; %bb.610:
	buffer_load_dword v125, v129, s[0:3], 0 offen
	buffer_load_dword v126, v129, s[0:3], 0 offen offset:4
	ds_read_b64 v[130:131], v128
	s_waitcnt vmcnt(0) lgkmcnt(0)
	v_mul_f64 v[125:126], v[125:126], v[130:131]
	s_cbranch_execz .LBB125_612
	s_branch .LBB125_613
.LBB125_611:
                                        ; implicit-def: $vgpr125_vgpr126
.LBB125_612:
	ds_read_b64 v[125:126], v128
.LBB125_613:
	v_mov_b32_e32 v130, 0
	ds_read_b64 v[130:131], v130 offset:8
	s_waitcnt lgkmcnt(0)
	v_mul_f64 v[125:126], v[125:126], v[130:131]
	buffer_store_dword v126, off, s[0:3], 0 offset:12
	buffer_store_dword v125, off, s[0:3], 0 offset:8
.LBB125_614:
	s_or_b64 exec, exec, s[4:5]
	buffer_load_dword v125, off, s[0:3], 0 offset:16
	buffer_load_dword v126, off, s[0:3], 0 offset:20
	v_cndmask_b32_e64 v130, 0, 1, s[10:11]
	v_cmp_gt_u32_e32 vcc, 2, v0
	v_cmp_ne_u32_e64 s[4:5], 1, v130
	s_waitcnt vmcnt(0)
	ds_write_b64 v128, v[125:126]
	s_waitcnt lgkmcnt(0)
	; wave barrier
	s_and_saveexec_b64 s[8:9], vcc
	s_cbranch_execz .LBB125_620
; %bb.615:
	s_and_b64 vcc, exec, s[4:5]
	s_cbranch_vccnz .LBB125_617
; %bb.616:
	buffer_load_dword v125, v129, s[0:3], 0 offen
	buffer_load_dword v126, v129, s[0:3], 0 offen offset:4
	ds_read_b64 v[130:131], v128
	s_waitcnt vmcnt(0) lgkmcnt(0)
	v_mul_f64 v[125:126], v[125:126], v[130:131]
	s_cbranch_execz .LBB125_618
	s_branch .LBB125_619
.LBB125_617:
                                        ; implicit-def: $vgpr125_vgpr126
.LBB125_618:
	ds_read_b64 v[125:126], v128
.LBB125_619:
	buffer_load_dword v134, off, s[0:3], 0 offset:8
	buffer_load_dword v135, off, s[0:3], 0 offset:12
	v_mov_b32_e32 v130, 0
	ds_read2_b64 v[130:133], v130 offset0:2 offset1:63
	s_waitcnt vmcnt(0) lgkmcnt(0)
	v_fma_f64 v[132:133], v[134:135], v[132:133], v[125:126]
	v_cndmask_b32_e64 v126, v126, v133, s[6:7]
	v_cndmask_b32_e64 v125, v125, v132, s[6:7]
	v_mul_f64 v[125:126], v[125:126], v[130:131]
	buffer_store_dword v126, off, s[0:3], 0 offset:20
	buffer_store_dword v125, off, s[0:3], 0 offset:16
.LBB125_620:
	s_or_b64 exec, exec, s[8:9]
	buffer_load_dword v125, off, s[0:3], 0 offset:24
	buffer_load_dword v126, off, s[0:3], 0 offset:28
	v_cmp_gt_u32_e32 vcc, 3, v0
	s_waitcnt vmcnt(0)
	ds_write_b64 v128, v[125:126]
	s_waitcnt lgkmcnt(0)
	; wave barrier
	s_and_saveexec_b64 s[8:9], vcc
	s_cbranch_execz .LBB125_628
; %bb.621:
	s_and_b64 vcc, exec, s[4:5]
	s_cbranch_vccnz .LBB125_623
; %bb.622:
	buffer_load_dword v125, v129, s[0:3], 0 offen
	buffer_load_dword v126, v129, s[0:3], 0 offen offset:4
	ds_read_b64 v[130:131], v128
	s_waitcnt vmcnt(0) lgkmcnt(0)
	v_mul_f64 v[125:126], v[125:126], v[130:131]
	s_cbranch_execz .LBB125_624
	s_branch .LBB125_625
.LBB125_623:
                                        ; implicit-def: $vgpr125_vgpr126
.LBB125_624:
	ds_read_b64 v[125:126], v128
.LBB125_625:
	v_cmp_ne_u32_e32 vcc, 2, v0
	s_and_saveexec_b64 s[10:11], vcc
	s_cbranch_execz .LBB125_627
; %bb.626:
	buffer_load_dword v130, v129, s[0:3], 0 offen offset:8
	buffer_load_dword v131, v129, s[0:3], 0 offen offset:12
	buffer_load_dword v132, off, s[0:3], 0 offset:16
	buffer_load_dword v133, off, s[0:3], 0 offset:20
	ds_read_b64 v[134:135], v128 offset:8
	v_mov_b32_e32 v136, 0
	ds_read_b64 v[136:137], v136 offset:512
	s_waitcnt vmcnt(2) lgkmcnt(1)
	v_fma_f64 v[125:126], v[130:131], v[134:135], v[125:126]
	s_waitcnt vmcnt(0) lgkmcnt(0)
	v_fma_f64 v[130:131], v[132:133], v[136:137], v[125:126]
	v_cndmask_b32_e64 v126, v126, v131, s[6:7]
	v_cndmask_b32_e64 v125, v125, v130, s[6:7]
.LBB125_627:
	s_or_b64 exec, exec, s[10:11]
	v_mov_b32_e32 v130, 0
	ds_read_b64 v[130:131], v130 offset:24
	s_waitcnt lgkmcnt(0)
	v_mul_f64 v[125:126], v[125:126], v[130:131]
	buffer_store_dword v126, off, s[0:3], 0 offset:28
	buffer_store_dword v125, off, s[0:3], 0 offset:24
.LBB125_628:
	s_or_b64 exec, exec, s[8:9]
	buffer_load_dword v125, off, s[0:3], 0 offset:32
	buffer_load_dword v126, off, s[0:3], 0 offset:36
	v_cmp_gt_u32_e32 vcc, 4, v0
	s_waitcnt vmcnt(0)
	ds_write_b64 v128, v[125:126]
	s_waitcnt lgkmcnt(0)
	; wave barrier
	s_and_saveexec_b64 s[6:7], vcc
	s_cbranch_execz .LBB125_638
; %bb.629:
	s_and_b64 vcc, exec, s[4:5]
	s_cbranch_vccnz .LBB125_631
; %bb.630:
	buffer_load_dword v125, v129, s[0:3], 0 offen
	buffer_load_dword v126, v129, s[0:3], 0 offen offset:4
	ds_read_b64 v[130:131], v128
	s_waitcnt vmcnt(0) lgkmcnt(0)
	v_mul_f64 v[125:126], v[125:126], v[130:131]
	s_cbranch_execz .LBB125_632
	s_branch .LBB125_633
.LBB125_631:
                                        ; implicit-def: $vgpr125_vgpr126
.LBB125_632:
	ds_read_b64 v[125:126], v128
.LBB125_633:
	v_cmp_ne_u32_e32 vcc, 3, v0
	s_and_saveexec_b64 s[8:9], vcc
	s_cbranch_execz .LBB125_637
; %bb.634:
	s_mov_b32 s10, 0
	v_add_u32_e32 v130, 0x1f8, v127
	v_add3_u32 v131, v127, s10, 8
	s_mov_b64 s[10:11], 0
	v_mov_b32_e32 v132, v0
.LBB125_635:                            ; =>This Inner Loop Header: Depth=1
	buffer_load_dword v133, v131, s[0:3], 0 offen
	buffer_load_dword v134, v131, s[0:3], 0 offen offset:4
	ds_read_b64 v[135:136], v130
	v_add_u32_e32 v132, 1, v132
	v_cmp_lt_u32_e32 vcc, 2, v132
	v_add_u32_e32 v130, 8, v130
	s_or_b64 s[10:11], vcc, s[10:11]
	v_add_u32_e32 v131, 8, v131
	s_waitcnt vmcnt(0) lgkmcnt(0)
	v_fma_f64 v[125:126], v[133:134], v[135:136], v[125:126]
	s_andn2_b64 exec, exec, s[10:11]
	s_cbranch_execnz .LBB125_635
; %bb.636:
	s_or_b64 exec, exec, s[10:11]
.LBB125_637:
	s_or_b64 exec, exec, s[8:9]
	v_mov_b32_e32 v130, 0
	ds_read_b64 v[130:131], v130 offset:32
	s_waitcnt lgkmcnt(0)
	v_mul_f64 v[125:126], v[125:126], v[130:131]
	buffer_store_dword v126, off, s[0:3], 0 offset:36
	buffer_store_dword v125, off, s[0:3], 0 offset:32
.LBB125_638:
	s_or_b64 exec, exec, s[6:7]
	buffer_load_dword v125, off, s[0:3], 0 offset:40
	buffer_load_dword v126, off, s[0:3], 0 offset:44
	v_cmp_gt_u32_e32 vcc, 5, v0
	s_waitcnt vmcnt(0)
	ds_write_b64 v128, v[125:126]
	s_waitcnt lgkmcnt(0)
	; wave barrier
	s_and_saveexec_b64 s[6:7], vcc
	s_cbranch_execz .LBB125_648
; %bb.639:
	s_and_b64 vcc, exec, s[4:5]
	s_cbranch_vccnz .LBB125_641
; %bb.640:
	buffer_load_dword v125, v129, s[0:3], 0 offen
	buffer_load_dword v126, v129, s[0:3], 0 offen offset:4
	ds_read_b64 v[130:131], v128
	s_waitcnt vmcnt(0) lgkmcnt(0)
	v_mul_f64 v[125:126], v[125:126], v[130:131]
	s_cbranch_execz .LBB125_642
	s_branch .LBB125_643
.LBB125_641:
                                        ; implicit-def: $vgpr125_vgpr126
.LBB125_642:
	ds_read_b64 v[125:126], v128
.LBB125_643:
	v_cmp_ne_u32_e32 vcc, 4, v0
	s_and_saveexec_b64 s[8:9], vcc
	s_cbranch_execz .LBB125_647
; %bb.644:
	s_mov_b32 s10, 0
	v_add_u32_e32 v130, 0x1f8, v127
	v_add3_u32 v131, v127, s10, 8
	s_mov_b64 s[10:11], 0
	v_mov_b32_e32 v132, v0
.LBB125_645:                            ; =>This Inner Loop Header: Depth=1
	buffer_load_dword v133, v131, s[0:3], 0 offen
	buffer_load_dword v134, v131, s[0:3], 0 offen offset:4
	ds_read_b64 v[135:136], v130
	v_add_u32_e32 v132, 1, v132
	v_cmp_lt_u32_e32 vcc, 3, v132
	v_add_u32_e32 v130, 8, v130
	s_or_b64 s[10:11], vcc, s[10:11]
	v_add_u32_e32 v131, 8, v131
	s_waitcnt vmcnt(0) lgkmcnt(0)
	v_fma_f64 v[125:126], v[133:134], v[135:136], v[125:126]
	s_andn2_b64 exec, exec, s[10:11]
	s_cbranch_execnz .LBB125_645
; %bb.646:
	s_or_b64 exec, exec, s[10:11]
.LBB125_647:
	s_or_b64 exec, exec, s[8:9]
	v_mov_b32_e32 v130, 0
	ds_read_b64 v[130:131], v130 offset:40
	s_waitcnt lgkmcnt(0)
	v_mul_f64 v[125:126], v[125:126], v[130:131]
	buffer_store_dword v126, off, s[0:3], 0 offset:44
	buffer_store_dword v125, off, s[0:3], 0 offset:40
.LBB125_648:
	s_or_b64 exec, exec, s[6:7]
	buffer_load_dword v125, off, s[0:3], 0 offset:48
	buffer_load_dword v126, off, s[0:3], 0 offset:52
	v_cmp_gt_u32_e32 vcc, 6, v0
	s_waitcnt vmcnt(0)
	ds_write_b64 v128, v[125:126]
	s_waitcnt lgkmcnt(0)
	; wave barrier
	s_and_saveexec_b64 s[6:7], vcc
	s_cbranch_execz .LBB125_658
; %bb.649:
	s_and_b64 vcc, exec, s[4:5]
	s_cbranch_vccnz .LBB125_651
; %bb.650:
	buffer_load_dword v125, v129, s[0:3], 0 offen
	buffer_load_dword v126, v129, s[0:3], 0 offen offset:4
	ds_read_b64 v[130:131], v128
	s_waitcnt vmcnt(0) lgkmcnt(0)
	v_mul_f64 v[125:126], v[125:126], v[130:131]
	s_cbranch_execz .LBB125_652
	s_branch .LBB125_653
.LBB125_651:
                                        ; implicit-def: $vgpr125_vgpr126
.LBB125_652:
	ds_read_b64 v[125:126], v128
.LBB125_653:
	v_cmp_ne_u32_e32 vcc, 5, v0
	s_and_saveexec_b64 s[8:9], vcc
	s_cbranch_execz .LBB125_657
; %bb.654:
	s_mov_b32 s10, 0
	v_add_u32_e32 v130, 0x1f8, v127
	v_add3_u32 v131, v127, s10, 8
	s_mov_b64 s[10:11], 0
	v_mov_b32_e32 v132, v0
.LBB125_655:                            ; =>This Inner Loop Header: Depth=1
	buffer_load_dword v133, v131, s[0:3], 0 offen
	buffer_load_dword v134, v131, s[0:3], 0 offen offset:4
	ds_read_b64 v[135:136], v130
	v_add_u32_e32 v132, 1, v132
	v_cmp_lt_u32_e32 vcc, 4, v132
	v_add_u32_e32 v130, 8, v130
	s_or_b64 s[10:11], vcc, s[10:11]
	v_add_u32_e32 v131, 8, v131
	s_waitcnt vmcnt(0) lgkmcnt(0)
	v_fma_f64 v[125:126], v[133:134], v[135:136], v[125:126]
	s_andn2_b64 exec, exec, s[10:11]
	s_cbranch_execnz .LBB125_655
; %bb.656:
	s_or_b64 exec, exec, s[10:11]
.LBB125_657:
	s_or_b64 exec, exec, s[8:9]
	v_mov_b32_e32 v130, 0
	ds_read_b64 v[130:131], v130 offset:48
	s_waitcnt lgkmcnt(0)
	v_mul_f64 v[125:126], v[125:126], v[130:131]
	buffer_store_dword v126, off, s[0:3], 0 offset:52
	buffer_store_dword v125, off, s[0:3], 0 offset:48
.LBB125_658:
	s_or_b64 exec, exec, s[6:7]
	buffer_load_dword v125, off, s[0:3], 0 offset:56
	buffer_load_dword v126, off, s[0:3], 0 offset:60
	v_cmp_gt_u32_e32 vcc, 7, v0
	s_waitcnt vmcnt(0)
	ds_write_b64 v128, v[125:126]
	s_waitcnt lgkmcnt(0)
	; wave barrier
	s_and_saveexec_b64 s[6:7], vcc
	s_cbranch_execz .LBB125_668
; %bb.659:
	s_and_b64 vcc, exec, s[4:5]
	s_cbranch_vccnz .LBB125_661
; %bb.660:
	buffer_load_dword v125, v129, s[0:3], 0 offen
	buffer_load_dword v126, v129, s[0:3], 0 offen offset:4
	ds_read_b64 v[130:131], v128
	s_waitcnt vmcnt(0) lgkmcnt(0)
	v_mul_f64 v[125:126], v[125:126], v[130:131]
	s_cbranch_execz .LBB125_662
	s_branch .LBB125_663
.LBB125_661:
                                        ; implicit-def: $vgpr125_vgpr126
.LBB125_662:
	ds_read_b64 v[125:126], v128
.LBB125_663:
	v_cmp_ne_u32_e32 vcc, 6, v0
	s_and_saveexec_b64 s[8:9], vcc
	s_cbranch_execz .LBB125_667
; %bb.664:
	s_mov_b32 s10, 0
	v_add_u32_e32 v130, 0x1f8, v127
	v_add3_u32 v131, v127, s10, 8
	s_mov_b64 s[10:11], 0
	v_mov_b32_e32 v132, v0
.LBB125_665:                            ; =>This Inner Loop Header: Depth=1
	buffer_load_dword v133, v131, s[0:3], 0 offen
	buffer_load_dword v134, v131, s[0:3], 0 offen offset:4
	ds_read_b64 v[135:136], v130
	v_add_u32_e32 v132, 1, v132
	v_cmp_lt_u32_e32 vcc, 5, v132
	v_add_u32_e32 v130, 8, v130
	s_or_b64 s[10:11], vcc, s[10:11]
	v_add_u32_e32 v131, 8, v131
	s_waitcnt vmcnt(0) lgkmcnt(0)
	v_fma_f64 v[125:126], v[133:134], v[135:136], v[125:126]
	s_andn2_b64 exec, exec, s[10:11]
	s_cbranch_execnz .LBB125_665
; %bb.666:
	s_or_b64 exec, exec, s[10:11]
.LBB125_667:
	s_or_b64 exec, exec, s[8:9]
	v_mov_b32_e32 v130, 0
	ds_read_b64 v[130:131], v130 offset:56
	s_waitcnt lgkmcnt(0)
	v_mul_f64 v[125:126], v[125:126], v[130:131]
	buffer_store_dword v126, off, s[0:3], 0 offset:60
	buffer_store_dword v125, off, s[0:3], 0 offset:56
.LBB125_668:
	s_or_b64 exec, exec, s[6:7]
	buffer_load_dword v125, off, s[0:3], 0 offset:64
	buffer_load_dword v126, off, s[0:3], 0 offset:68
	v_cmp_gt_u32_e32 vcc, 8, v0
	s_waitcnt vmcnt(0)
	ds_write_b64 v128, v[125:126]
	s_waitcnt lgkmcnt(0)
	; wave barrier
	s_and_saveexec_b64 s[6:7], vcc
	s_cbranch_execz .LBB125_678
; %bb.669:
	s_and_b64 vcc, exec, s[4:5]
	s_cbranch_vccnz .LBB125_671
; %bb.670:
	buffer_load_dword v125, v129, s[0:3], 0 offen
	buffer_load_dword v126, v129, s[0:3], 0 offen offset:4
	ds_read_b64 v[130:131], v128
	s_waitcnt vmcnt(0) lgkmcnt(0)
	v_mul_f64 v[125:126], v[125:126], v[130:131]
	s_cbranch_execz .LBB125_672
	s_branch .LBB125_673
.LBB125_671:
                                        ; implicit-def: $vgpr125_vgpr126
.LBB125_672:
	ds_read_b64 v[125:126], v128
.LBB125_673:
	v_cmp_ne_u32_e32 vcc, 7, v0
	s_and_saveexec_b64 s[8:9], vcc
	s_cbranch_execz .LBB125_677
; %bb.674:
	s_mov_b32 s10, 0
	v_add_u32_e32 v130, 0x1f8, v127
	v_add3_u32 v131, v127, s10, 8
	s_mov_b64 s[10:11], 0
	v_mov_b32_e32 v132, v0
.LBB125_675:                            ; =>This Inner Loop Header: Depth=1
	buffer_load_dword v133, v131, s[0:3], 0 offen
	buffer_load_dword v134, v131, s[0:3], 0 offen offset:4
	ds_read_b64 v[135:136], v130
	v_add_u32_e32 v132, 1, v132
	v_cmp_lt_u32_e32 vcc, 6, v132
	v_add_u32_e32 v130, 8, v130
	s_or_b64 s[10:11], vcc, s[10:11]
	v_add_u32_e32 v131, 8, v131
	s_waitcnt vmcnt(0) lgkmcnt(0)
	v_fma_f64 v[125:126], v[133:134], v[135:136], v[125:126]
	s_andn2_b64 exec, exec, s[10:11]
	s_cbranch_execnz .LBB125_675
; %bb.676:
	s_or_b64 exec, exec, s[10:11]
.LBB125_677:
	s_or_b64 exec, exec, s[8:9]
	v_mov_b32_e32 v130, 0
	ds_read_b64 v[130:131], v130 offset:64
	s_waitcnt lgkmcnt(0)
	v_mul_f64 v[125:126], v[125:126], v[130:131]
	buffer_store_dword v126, off, s[0:3], 0 offset:68
	buffer_store_dword v125, off, s[0:3], 0 offset:64
.LBB125_678:
	s_or_b64 exec, exec, s[6:7]
	buffer_load_dword v125, off, s[0:3], 0 offset:72
	buffer_load_dword v126, off, s[0:3], 0 offset:76
	v_cmp_gt_u32_e32 vcc, 9, v0
	s_waitcnt vmcnt(0)
	ds_write_b64 v128, v[125:126]
	s_waitcnt lgkmcnt(0)
	; wave barrier
	s_and_saveexec_b64 s[6:7], vcc
	s_cbranch_execz .LBB125_688
; %bb.679:
	s_and_b64 vcc, exec, s[4:5]
	s_cbranch_vccnz .LBB125_681
; %bb.680:
	buffer_load_dword v125, v129, s[0:3], 0 offen
	buffer_load_dword v126, v129, s[0:3], 0 offen offset:4
	ds_read_b64 v[130:131], v128
	s_waitcnt vmcnt(0) lgkmcnt(0)
	v_mul_f64 v[125:126], v[125:126], v[130:131]
	s_cbranch_execz .LBB125_682
	s_branch .LBB125_683
.LBB125_681:
                                        ; implicit-def: $vgpr125_vgpr126
.LBB125_682:
	ds_read_b64 v[125:126], v128
.LBB125_683:
	v_cmp_ne_u32_e32 vcc, 8, v0
	s_and_saveexec_b64 s[8:9], vcc
	s_cbranch_execz .LBB125_687
; %bb.684:
	s_mov_b32 s10, 0
	v_add_u32_e32 v130, 0x1f8, v127
	v_add3_u32 v131, v127, s10, 8
	s_mov_b64 s[10:11], 0
	v_mov_b32_e32 v132, v0
.LBB125_685:                            ; =>This Inner Loop Header: Depth=1
	buffer_load_dword v133, v131, s[0:3], 0 offen
	buffer_load_dword v134, v131, s[0:3], 0 offen offset:4
	ds_read_b64 v[135:136], v130
	v_add_u32_e32 v132, 1, v132
	v_cmp_lt_u32_e32 vcc, 7, v132
	v_add_u32_e32 v130, 8, v130
	s_or_b64 s[10:11], vcc, s[10:11]
	v_add_u32_e32 v131, 8, v131
	s_waitcnt vmcnt(0) lgkmcnt(0)
	v_fma_f64 v[125:126], v[133:134], v[135:136], v[125:126]
	s_andn2_b64 exec, exec, s[10:11]
	s_cbranch_execnz .LBB125_685
; %bb.686:
	s_or_b64 exec, exec, s[10:11]
.LBB125_687:
	s_or_b64 exec, exec, s[8:9]
	v_mov_b32_e32 v130, 0
	ds_read_b64 v[130:131], v130 offset:72
	s_waitcnt lgkmcnt(0)
	v_mul_f64 v[125:126], v[125:126], v[130:131]
	buffer_store_dword v126, off, s[0:3], 0 offset:76
	buffer_store_dword v125, off, s[0:3], 0 offset:72
.LBB125_688:
	s_or_b64 exec, exec, s[6:7]
	buffer_load_dword v125, off, s[0:3], 0 offset:80
	buffer_load_dword v126, off, s[0:3], 0 offset:84
	v_cmp_gt_u32_e32 vcc, 10, v0
	s_waitcnt vmcnt(0)
	ds_write_b64 v128, v[125:126]
	s_waitcnt lgkmcnt(0)
	; wave barrier
	s_and_saveexec_b64 s[6:7], vcc
	s_cbranch_execz .LBB125_698
; %bb.689:
	s_and_b64 vcc, exec, s[4:5]
	s_cbranch_vccnz .LBB125_691
; %bb.690:
	buffer_load_dword v125, v129, s[0:3], 0 offen
	buffer_load_dword v126, v129, s[0:3], 0 offen offset:4
	ds_read_b64 v[130:131], v128
	s_waitcnt vmcnt(0) lgkmcnt(0)
	v_mul_f64 v[125:126], v[125:126], v[130:131]
	s_cbranch_execz .LBB125_692
	s_branch .LBB125_693
.LBB125_691:
                                        ; implicit-def: $vgpr125_vgpr126
.LBB125_692:
	ds_read_b64 v[125:126], v128
.LBB125_693:
	v_cmp_ne_u32_e32 vcc, 9, v0
	s_and_saveexec_b64 s[8:9], vcc
	s_cbranch_execz .LBB125_697
; %bb.694:
	s_mov_b32 s10, 0
	v_add_u32_e32 v130, 0x1f8, v127
	v_add3_u32 v131, v127, s10, 8
	s_mov_b64 s[10:11], 0
	v_mov_b32_e32 v132, v0
.LBB125_695:                            ; =>This Inner Loop Header: Depth=1
	buffer_load_dword v133, v131, s[0:3], 0 offen
	buffer_load_dword v134, v131, s[0:3], 0 offen offset:4
	ds_read_b64 v[135:136], v130
	v_add_u32_e32 v132, 1, v132
	v_cmp_lt_u32_e32 vcc, 8, v132
	v_add_u32_e32 v130, 8, v130
	s_or_b64 s[10:11], vcc, s[10:11]
	v_add_u32_e32 v131, 8, v131
	s_waitcnt vmcnt(0) lgkmcnt(0)
	v_fma_f64 v[125:126], v[133:134], v[135:136], v[125:126]
	s_andn2_b64 exec, exec, s[10:11]
	s_cbranch_execnz .LBB125_695
; %bb.696:
	s_or_b64 exec, exec, s[10:11]
.LBB125_697:
	s_or_b64 exec, exec, s[8:9]
	v_mov_b32_e32 v130, 0
	ds_read_b64 v[130:131], v130 offset:80
	s_waitcnt lgkmcnt(0)
	v_mul_f64 v[125:126], v[125:126], v[130:131]
	buffer_store_dword v126, off, s[0:3], 0 offset:84
	buffer_store_dword v125, off, s[0:3], 0 offset:80
.LBB125_698:
	s_or_b64 exec, exec, s[6:7]
	buffer_load_dword v125, off, s[0:3], 0 offset:88
	buffer_load_dword v126, off, s[0:3], 0 offset:92
	v_cmp_gt_u32_e32 vcc, 11, v0
	s_waitcnt vmcnt(0)
	ds_write_b64 v128, v[125:126]
	s_waitcnt lgkmcnt(0)
	; wave barrier
	s_and_saveexec_b64 s[6:7], vcc
	s_cbranch_execz .LBB125_708
; %bb.699:
	s_and_b64 vcc, exec, s[4:5]
	s_cbranch_vccnz .LBB125_701
; %bb.700:
	buffer_load_dword v125, v129, s[0:3], 0 offen
	buffer_load_dword v126, v129, s[0:3], 0 offen offset:4
	ds_read_b64 v[130:131], v128
	s_waitcnt vmcnt(0) lgkmcnt(0)
	v_mul_f64 v[125:126], v[125:126], v[130:131]
	s_cbranch_execz .LBB125_702
	s_branch .LBB125_703
.LBB125_701:
                                        ; implicit-def: $vgpr125_vgpr126
.LBB125_702:
	ds_read_b64 v[125:126], v128
.LBB125_703:
	v_cmp_ne_u32_e32 vcc, 10, v0
	s_and_saveexec_b64 s[8:9], vcc
	s_cbranch_execz .LBB125_707
; %bb.704:
	s_mov_b32 s10, 0
	v_add_u32_e32 v130, 0x1f8, v127
	v_add3_u32 v131, v127, s10, 8
	s_mov_b64 s[10:11], 0
	v_mov_b32_e32 v132, v0
.LBB125_705:                            ; =>This Inner Loop Header: Depth=1
	buffer_load_dword v133, v131, s[0:3], 0 offen
	buffer_load_dword v134, v131, s[0:3], 0 offen offset:4
	ds_read_b64 v[135:136], v130
	v_add_u32_e32 v132, 1, v132
	v_cmp_lt_u32_e32 vcc, 9, v132
	v_add_u32_e32 v130, 8, v130
	s_or_b64 s[10:11], vcc, s[10:11]
	v_add_u32_e32 v131, 8, v131
	s_waitcnt vmcnt(0) lgkmcnt(0)
	v_fma_f64 v[125:126], v[133:134], v[135:136], v[125:126]
	s_andn2_b64 exec, exec, s[10:11]
	s_cbranch_execnz .LBB125_705
; %bb.706:
	s_or_b64 exec, exec, s[10:11]
.LBB125_707:
	s_or_b64 exec, exec, s[8:9]
	v_mov_b32_e32 v130, 0
	ds_read_b64 v[130:131], v130 offset:88
	s_waitcnt lgkmcnt(0)
	v_mul_f64 v[125:126], v[125:126], v[130:131]
	buffer_store_dword v126, off, s[0:3], 0 offset:92
	buffer_store_dword v125, off, s[0:3], 0 offset:88
.LBB125_708:
	s_or_b64 exec, exec, s[6:7]
	buffer_load_dword v125, off, s[0:3], 0 offset:96
	buffer_load_dword v126, off, s[0:3], 0 offset:100
	v_cmp_gt_u32_e32 vcc, 12, v0
	s_waitcnt vmcnt(0)
	ds_write_b64 v128, v[125:126]
	s_waitcnt lgkmcnt(0)
	; wave barrier
	s_and_saveexec_b64 s[6:7], vcc
	s_cbranch_execz .LBB125_718
; %bb.709:
	s_and_b64 vcc, exec, s[4:5]
	s_cbranch_vccnz .LBB125_711
; %bb.710:
	buffer_load_dword v125, v129, s[0:3], 0 offen
	buffer_load_dword v126, v129, s[0:3], 0 offen offset:4
	ds_read_b64 v[130:131], v128
	s_waitcnt vmcnt(0) lgkmcnt(0)
	v_mul_f64 v[125:126], v[125:126], v[130:131]
	s_cbranch_execz .LBB125_712
	s_branch .LBB125_713
.LBB125_711:
                                        ; implicit-def: $vgpr125_vgpr126
.LBB125_712:
	ds_read_b64 v[125:126], v128
.LBB125_713:
	v_cmp_ne_u32_e32 vcc, 11, v0
	s_and_saveexec_b64 s[8:9], vcc
	s_cbranch_execz .LBB125_717
; %bb.714:
	s_mov_b32 s10, 0
	v_add_u32_e32 v130, 0x1f8, v127
	v_add3_u32 v131, v127, s10, 8
	s_mov_b64 s[10:11], 0
	v_mov_b32_e32 v132, v0
.LBB125_715:                            ; =>This Inner Loop Header: Depth=1
	buffer_load_dword v133, v131, s[0:3], 0 offen
	buffer_load_dword v134, v131, s[0:3], 0 offen offset:4
	ds_read_b64 v[135:136], v130
	v_add_u32_e32 v132, 1, v132
	v_cmp_lt_u32_e32 vcc, 10, v132
	v_add_u32_e32 v130, 8, v130
	s_or_b64 s[10:11], vcc, s[10:11]
	v_add_u32_e32 v131, 8, v131
	s_waitcnt vmcnt(0) lgkmcnt(0)
	v_fma_f64 v[125:126], v[133:134], v[135:136], v[125:126]
	s_andn2_b64 exec, exec, s[10:11]
	s_cbranch_execnz .LBB125_715
; %bb.716:
	s_or_b64 exec, exec, s[10:11]
.LBB125_717:
	s_or_b64 exec, exec, s[8:9]
	v_mov_b32_e32 v130, 0
	ds_read_b64 v[130:131], v130 offset:96
	s_waitcnt lgkmcnt(0)
	v_mul_f64 v[125:126], v[125:126], v[130:131]
	buffer_store_dword v126, off, s[0:3], 0 offset:100
	buffer_store_dword v125, off, s[0:3], 0 offset:96
.LBB125_718:
	s_or_b64 exec, exec, s[6:7]
	buffer_load_dword v125, off, s[0:3], 0 offset:104
	buffer_load_dword v126, off, s[0:3], 0 offset:108
	v_cmp_gt_u32_e32 vcc, 13, v0
	s_waitcnt vmcnt(0)
	ds_write_b64 v128, v[125:126]
	s_waitcnt lgkmcnt(0)
	; wave barrier
	s_and_saveexec_b64 s[6:7], vcc
	s_cbranch_execz .LBB125_728
; %bb.719:
	s_and_b64 vcc, exec, s[4:5]
	s_cbranch_vccnz .LBB125_721
; %bb.720:
	buffer_load_dword v125, v129, s[0:3], 0 offen
	buffer_load_dword v126, v129, s[0:3], 0 offen offset:4
	ds_read_b64 v[130:131], v128
	s_waitcnt vmcnt(0) lgkmcnt(0)
	v_mul_f64 v[125:126], v[125:126], v[130:131]
	s_cbranch_execz .LBB125_722
	s_branch .LBB125_723
.LBB125_721:
                                        ; implicit-def: $vgpr125_vgpr126
.LBB125_722:
	ds_read_b64 v[125:126], v128
.LBB125_723:
	v_cmp_ne_u32_e32 vcc, 12, v0
	s_and_saveexec_b64 s[8:9], vcc
	s_cbranch_execz .LBB125_727
; %bb.724:
	s_mov_b32 s10, 0
	v_add_u32_e32 v130, 0x1f8, v127
	v_add3_u32 v131, v127, s10, 8
	s_mov_b64 s[10:11], 0
	v_mov_b32_e32 v132, v0
.LBB125_725:                            ; =>This Inner Loop Header: Depth=1
	buffer_load_dword v133, v131, s[0:3], 0 offen
	buffer_load_dword v134, v131, s[0:3], 0 offen offset:4
	ds_read_b64 v[135:136], v130
	v_add_u32_e32 v132, 1, v132
	v_cmp_lt_u32_e32 vcc, 11, v132
	v_add_u32_e32 v130, 8, v130
	s_or_b64 s[10:11], vcc, s[10:11]
	v_add_u32_e32 v131, 8, v131
	s_waitcnt vmcnt(0) lgkmcnt(0)
	v_fma_f64 v[125:126], v[133:134], v[135:136], v[125:126]
	s_andn2_b64 exec, exec, s[10:11]
	s_cbranch_execnz .LBB125_725
; %bb.726:
	s_or_b64 exec, exec, s[10:11]
.LBB125_727:
	s_or_b64 exec, exec, s[8:9]
	v_mov_b32_e32 v130, 0
	ds_read_b64 v[130:131], v130 offset:104
	s_waitcnt lgkmcnt(0)
	v_mul_f64 v[125:126], v[125:126], v[130:131]
	buffer_store_dword v126, off, s[0:3], 0 offset:108
	buffer_store_dword v125, off, s[0:3], 0 offset:104
.LBB125_728:
	s_or_b64 exec, exec, s[6:7]
	buffer_load_dword v125, off, s[0:3], 0 offset:112
	buffer_load_dword v126, off, s[0:3], 0 offset:116
	v_cmp_gt_u32_e32 vcc, 14, v0
	s_waitcnt vmcnt(0)
	ds_write_b64 v128, v[125:126]
	s_waitcnt lgkmcnt(0)
	; wave barrier
	s_and_saveexec_b64 s[6:7], vcc
	s_cbranch_execz .LBB125_738
; %bb.729:
	s_and_b64 vcc, exec, s[4:5]
	s_cbranch_vccnz .LBB125_731
; %bb.730:
	buffer_load_dword v125, v129, s[0:3], 0 offen
	buffer_load_dword v126, v129, s[0:3], 0 offen offset:4
	ds_read_b64 v[130:131], v128
	s_waitcnt vmcnt(0) lgkmcnt(0)
	v_mul_f64 v[125:126], v[125:126], v[130:131]
	s_cbranch_execz .LBB125_732
	s_branch .LBB125_733
.LBB125_731:
                                        ; implicit-def: $vgpr125_vgpr126
.LBB125_732:
	ds_read_b64 v[125:126], v128
.LBB125_733:
	v_cmp_ne_u32_e32 vcc, 13, v0
	s_and_saveexec_b64 s[8:9], vcc
	s_cbranch_execz .LBB125_737
; %bb.734:
	s_mov_b32 s10, 0
	v_add_u32_e32 v130, 0x1f8, v127
	v_add3_u32 v131, v127, s10, 8
	s_mov_b64 s[10:11], 0
	v_mov_b32_e32 v132, v0
.LBB125_735:                            ; =>This Inner Loop Header: Depth=1
	buffer_load_dword v133, v131, s[0:3], 0 offen
	buffer_load_dword v134, v131, s[0:3], 0 offen offset:4
	ds_read_b64 v[135:136], v130
	v_add_u32_e32 v132, 1, v132
	v_cmp_lt_u32_e32 vcc, 12, v132
	v_add_u32_e32 v130, 8, v130
	s_or_b64 s[10:11], vcc, s[10:11]
	v_add_u32_e32 v131, 8, v131
	s_waitcnt vmcnt(0) lgkmcnt(0)
	v_fma_f64 v[125:126], v[133:134], v[135:136], v[125:126]
	s_andn2_b64 exec, exec, s[10:11]
	s_cbranch_execnz .LBB125_735
; %bb.736:
	s_or_b64 exec, exec, s[10:11]
.LBB125_737:
	s_or_b64 exec, exec, s[8:9]
	v_mov_b32_e32 v130, 0
	ds_read_b64 v[130:131], v130 offset:112
	s_waitcnt lgkmcnt(0)
	v_mul_f64 v[125:126], v[125:126], v[130:131]
	buffer_store_dword v126, off, s[0:3], 0 offset:116
	buffer_store_dword v125, off, s[0:3], 0 offset:112
.LBB125_738:
	s_or_b64 exec, exec, s[6:7]
	buffer_load_dword v125, off, s[0:3], 0 offset:120
	buffer_load_dword v126, off, s[0:3], 0 offset:124
	v_cmp_gt_u32_e32 vcc, 15, v0
	s_waitcnt vmcnt(0)
	ds_write_b64 v128, v[125:126]
	s_waitcnt lgkmcnt(0)
	; wave barrier
	s_and_saveexec_b64 s[6:7], vcc
	s_cbranch_execz .LBB125_748
; %bb.739:
	s_and_b64 vcc, exec, s[4:5]
	s_cbranch_vccnz .LBB125_741
; %bb.740:
	buffer_load_dword v125, v129, s[0:3], 0 offen
	buffer_load_dword v126, v129, s[0:3], 0 offen offset:4
	ds_read_b64 v[130:131], v128
	s_waitcnt vmcnt(0) lgkmcnt(0)
	v_mul_f64 v[125:126], v[125:126], v[130:131]
	s_cbranch_execz .LBB125_742
	s_branch .LBB125_743
.LBB125_741:
                                        ; implicit-def: $vgpr125_vgpr126
.LBB125_742:
	ds_read_b64 v[125:126], v128
.LBB125_743:
	v_cmp_ne_u32_e32 vcc, 14, v0
	s_and_saveexec_b64 s[8:9], vcc
	s_cbranch_execz .LBB125_747
; %bb.744:
	s_mov_b32 s10, 0
	v_add_u32_e32 v130, 0x1f8, v127
	v_add3_u32 v131, v127, s10, 8
	s_mov_b64 s[10:11], 0
	v_mov_b32_e32 v132, v0
.LBB125_745:                            ; =>This Inner Loop Header: Depth=1
	buffer_load_dword v133, v131, s[0:3], 0 offen
	buffer_load_dword v134, v131, s[0:3], 0 offen offset:4
	ds_read_b64 v[135:136], v130
	v_add_u32_e32 v132, 1, v132
	v_cmp_lt_u32_e32 vcc, 13, v132
	v_add_u32_e32 v130, 8, v130
	s_or_b64 s[10:11], vcc, s[10:11]
	v_add_u32_e32 v131, 8, v131
	s_waitcnt vmcnt(0) lgkmcnt(0)
	v_fma_f64 v[125:126], v[133:134], v[135:136], v[125:126]
	s_andn2_b64 exec, exec, s[10:11]
	s_cbranch_execnz .LBB125_745
; %bb.746:
	s_or_b64 exec, exec, s[10:11]
.LBB125_747:
	s_or_b64 exec, exec, s[8:9]
	v_mov_b32_e32 v130, 0
	ds_read_b64 v[130:131], v130 offset:120
	s_waitcnt lgkmcnt(0)
	v_mul_f64 v[125:126], v[125:126], v[130:131]
	buffer_store_dword v126, off, s[0:3], 0 offset:124
	buffer_store_dword v125, off, s[0:3], 0 offset:120
.LBB125_748:
	s_or_b64 exec, exec, s[6:7]
	buffer_load_dword v125, off, s[0:3], 0 offset:128
	buffer_load_dword v126, off, s[0:3], 0 offset:132
	v_cmp_gt_u32_e32 vcc, 16, v0
	s_waitcnt vmcnt(0)
	ds_write_b64 v128, v[125:126]
	s_waitcnt lgkmcnt(0)
	; wave barrier
	s_and_saveexec_b64 s[6:7], vcc
	s_cbranch_execz .LBB125_758
; %bb.749:
	s_and_b64 vcc, exec, s[4:5]
	s_cbranch_vccnz .LBB125_751
; %bb.750:
	buffer_load_dword v125, v129, s[0:3], 0 offen
	buffer_load_dword v126, v129, s[0:3], 0 offen offset:4
	ds_read_b64 v[130:131], v128
	s_waitcnt vmcnt(0) lgkmcnt(0)
	v_mul_f64 v[125:126], v[125:126], v[130:131]
	s_cbranch_execz .LBB125_752
	s_branch .LBB125_753
.LBB125_751:
                                        ; implicit-def: $vgpr125_vgpr126
.LBB125_752:
	ds_read_b64 v[125:126], v128
.LBB125_753:
	v_cmp_ne_u32_e32 vcc, 15, v0
	s_and_saveexec_b64 s[8:9], vcc
	s_cbranch_execz .LBB125_757
; %bb.754:
	s_mov_b32 s10, 0
	v_add_u32_e32 v130, 0x1f8, v127
	v_add3_u32 v131, v127, s10, 8
	s_mov_b64 s[10:11], 0
	v_mov_b32_e32 v132, v0
.LBB125_755:                            ; =>This Inner Loop Header: Depth=1
	buffer_load_dword v133, v131, s[0:3], 0 offen
	buffer_load_dword v134, v131, s[0:3], 0 offen offset:4
	ds_read_b64 v[135:136], v130
	v_add_u32_e32 v132, 1, v132
	v_cmp_lt_u32_e32 vcc, 14, v132
	v_add_u32_e32 v130, 8, v130
	s_or_b64 s[10:11], vcc, s[10:11]
	v_add_u32_e32 v131, 8, v131
	s_waitcnt vmcnt(0) lgkmcnt(0)
	v_fma_f64 v[125:126], v[133:134], v[135:136], v[125:126]
	s_andn2_b64 exec, exec, s[10:11]
	s_cbranch_execnz .LBB125_755
; %bb.756:
	s_or_b64 exec, exec, s[10:11]
.LBB125_757:
	s_or_b64 exec, exec, s[8:9]
	v_mov_b32_e32 v130, 0
	ds_read_b64 v[130:131], v130 offset:128
	s_waitcnt lgkmcnt(0)
	v_mul_f64 v[125:126], v[125:126], v[130:131]
	buffer_store_dword v126, off, s[0:3], 0 offset:132
	buffer_store_dword v125, off, s[0:3], 0 offset:128
.LBB125_758:
	s_or_b64 exec, exec, s[6:7]
	buffer_load_dword v125, off, s[0:3], 0 offset:136
	buffer_load_dword v126, off, s[0:3], 0 offset:140
	v_cmp_gt_u32_e32 vcc, 17, v0
	s_waitcnt vmcnt(0)
	ds_write_b64 v128, v[125:126]
	s_waitcnt lgkmcnt(0)
	; wave barrier
	s_and_saveexec_b64 s[6:7], vcc
	s_cbranch_execz .LBB125_768
; %bb.759:
	s_and_b64 vcc, exec, s[4:5]
	s_cbranch_vccnz .LBB125_761
; %bb.760:
	buffer_load_dword v125, v129, s[0:3], 0 offen
	buffer_load_dword v126, v129, s[0:3], 0 offen offset:4
	ds_read_b64 v[130:131], v128
	s_waitcnt vmcnt(0) lgkmcnt(0)
	v_mul_f64 v[125:126], v[125:126], v[130:131]
	s_cbranch_execz .LBB125_762
	s_branch .LBB125_763
.LBB125_761:
                                        ; implicit-def: $vgpr125_vgpr126
.LBB125_762:
	ds_read_b64 v[125:126], v128
.LBB125_763:
	v_cmp_ne_u32_e32 vcc, 16, v0
	s_and_saveexec_b64 s[8:9], vcc
	s_cbranch_execz .LBB125_767
; %bb.764:
	s_mov_b32 s10, 0
	v_add_u32_e32 v130, 0x1f8, v127
	v_add3_u32 v131, v127, s10, 8
	s_mov_b64 s[10:11], 0
	v_mov_b32_e32 v132, v0
.LBB125_765:                            ; =>This Inner Loop Header: Depth=1
	buffer_load_dword v133, v131, s[0:3], 0 offen
	buffer_load_dword v134, v131, s[0:3], 0 offen offset:4
	ds_read_b64 v[135:136], v130
	v_add_u32_e32 v132, 1, v132
	v_cmp_lt_u32_e32 vcc, 15, v132
	v_add_u32_e32 v130, 8, v130
	s_or_b64 s[10:11], vcc, s[10:11]
	v_add_u32_e32 v131, 8, v131
	s_waitcnt vmcnt(0) lgkmcnt(0)
	v_fma_f64 v[125:126], v[133:134], v[135:136], v[125:126]
	s_andn2_b64 exec, exec, s[10:11]
	s_cbranch_execnz .LBB125_765
; %bb.766:
	s_or_b64 exec, exec, s[10:11]
.LBB125_767:
	s_or_b64 exec, exec, s[8:9]
	v_mov_b32_e32 v130, 0
	ds_read_b64 v[130:131], v130 offset:136
	s_waitcnt lgkmcnt(0)
	v_mul_f64 v[125:126], v[125:126], v[130:131]
	buffer_store_dword v126, off, s[0:3], 0 offset:140
	buffer_store_dword v125, off, s[0:3], 0 offset:136
.LBB125_768:
	s_or_b64 exec, exec, s[6:7]
	buffer_load_dword v125, off, s[0:3], 0 offset:144
	buffer_load_dword v126, off, s[0:3], 0 offset:148
	v_cmp_gt_u32_e32 vcc, 18, v0
	s_waitcnt vmcnt(0)
	ds_write_b64 v128, v[125:126]
	s_waitcnt lgkmcnt(0)
	; wave barrier
	s_and_saveexec_b64 s[6:7], vcc
	s_cbranch_execz .LBB125_778
; %bb.769:
	s_and_b64 vcc, exec, s[4:5]
	s_cbranch_vccnz .LBB125_771
; %bb.770:
	buffer_load_dword v125, v129, s[0:3], 0 offen
	buffer_load_dword v126, v129, s[0:3], 0 offen offset:4
	ds_read_b64 v[130:131], v128
	s_waitcnt vmcnt(0) lgkmcnt(0)
	v_mul_f64 v[125:126], v[125:126], v[130:131]
	s_cbranch_execz .LBB125_772
	s_branch .LBB125_773
.LBB125_771:
                                        ; implicit-def: $vgpr125_vgpr126
.LBB125_772:
	ds_read_b64 v[125:126], v128
.LBB125_773:
	v_cmp_ne_u32_e32 vcc, 17, v0
	s_and_saveexec_b64 s[8:9], vcc
	s_cbranch_execz .LBB125_777
; %bb.774:
	s_mov_b32 s10, 0
	v_add_u32_e32 v130, 0x1f8, v127
	v_add3_u32 v131, v127, s10, 8
	s_mov_b64 s[10:11], 0
	v_mov_b32_e32 v132, v0
.LBB125_775:                            ; =>This Inner Loop Header: Depth=1
	buffer_load_dword v133, v131, s[0:3], 0 offen
	buffer_load_dword v134, v131, s[0:3], 0 offen offset:4
	ds_read_b64 v[135:136], v130
	v_add_u32_e32 v132, 1, v132
	v_cmp_lt_u32_e32 vcc, 16, v132
	v_add_u32_e32 v130, 8, v130
	s_or_b64 s[10:11], vcc, s[10:11]
	v_add_u32_e32 v131, 8, v131
	s_waitcnt vmcnt(0) lgkmcnt(0)
	v_fma_f64 v[125:126], v[133:134], v[135:136], v[125:126]
	s_andn2_b64 exec, exec, s[10:11]
	s_cbranch_execnz .LBB125_775
; %bb.776:
	s_or_b64 exec, exec, s[10:11]
.LBB125_777:
	s_or_b64 exec, exec, s[8:9]
	v_mov_b32_e32 v130, 0
	ds_read_b64 v[130:131], v130 offset:144
	s_waitcnt lgkmcnt(0)
	v_mul_f64 v[125:126], v[125:126], v[130:131]
	buffer_store_dword v126, off, s[0:3], 0 offset:148
	buffer_store_dword v125, off, s[0:3], 0 offset:144
.LBB125_778:
	s_or_b64 exec, exec, s[6:7]
	buffer_load_dword v125, off, s[0:3], 0 offset:152
	buffer_load_dword v126, off, s[0:3], 0 offset:156
	v_cmp_gt_u32_e32 vcc, 19, v0
	s_waitcnt vmcnt(0)
	ds_write_b64 v128, v[125:126]
	s_waitcnt lgkmcnt(0)
	; wave barrier
	s_and_saveexec_b64 s[6:7], vcc
	s_cbranch_execz .LBB125_788
; %bb.779:
	s_and_b64 vcc, exec, s[4:5]
	s_cbranch_vccnz .LBB125_781
; %bb.780:
	buffer_load_dword v125, v129, s[0:3], 0 offen
	buffer_load_dword v126, v129, s[0:3], 0 offen offset:4
	ds_read_b64 v[130:131], v128
	s_waitcnt vmcnt(0) lgkmcnt(0)
	v_mul_f64 v[125:126], v[125:126], v[130:131]
	s_cbranch_execz .LBB125_782
	s_branch .LBB125_783
.LBB125_781:
                                        ; implicit-def: $vgpr125_vgpr126
.LBB125_782:
	ds_read_b64 v[125:126], v128
.LBB125_783:
	v_cmp_ne_u32_e32 vcc, 18, v0
	s_and_saveexec_b64 s[8:9], vcc
	s_cbranch_execz .LBB125_787
; %bb.784:
	s_mov_b32 s10, 0
	v_add_u32_e32 v130, 0x1f8, v127
	v_add3_u32 v131, v127, s10, 8
	s_mov_b64 s[10:11], 0
	v_mov_b32_e32 v132, v0
.LBB125_785:                            ; =>This Inner Loop Header: Depth=1
	buffer_load_dword v133, v131, s[0:3], 0 offen
	buffer_load_dword v134, v131, s[0:3], 0 offen offset:4
	ds_read_b64 v[135:136], v130
	v_add_u32_e32 v132, 1, v132
	v_cmp_lt_u32_e32 vcc, 17, v132
	v_add_u32_e32 v130, 8, v130
	s_or_b64 s[10:11], vcc, s[10:11]
	v_add_u32_e32 v131, 8, v131
	s_waitcnt vmcnt(0) lgkmcnt(0)
	v_fma_f64 v[125:126], v[133:134], v[135:136], v[125:126]
	s_andn2_b64 exec, exec, s[10:11]
	s_cbranch_execnz .LBB125_785
; %bb.786:
	s_or_b64 exec, exec, s[10:11]
.LBB125_787:
	s_or_b64 exec, exec, s[8:9]
	v_mov_b32_e32 v130, 0
	ds_read_b64 v[130:131], v130 offset:152
	s_waitcnt lgkmcnt(0)
	v_mul_f64 v[125:126], v[125:126], v[130:131]
	buffer_store_dword v126, off, s[0:3], 0 offset:156
	buffer_store_dword v125, off, s[0:3], 0 offset:152
.LBB125_788:
	s_or_b64 exec, exec, s[6:7]
	buffer_load_dword v125, off, s[0:3], 0 offset:160
	buffer_load_dword v126, off, s[0:3], 0 offset:164
	v_cmp_gt_u32_e32 vcc, 20, v0
	s_waitcnt vmcnt(0)
	ds_write_b64 v128, v[125:126]
	s_waitcnt lgkmcnt(0)
	; wave barrier
	s_and_saveexec_b64 s[6:7], vcc
	s_cbranch_execz .LBB125_798
; %bb.789:
	s_and_b64 vcc, exec, s[4:5]
	s_cbranch_vccnz .LBB125_791
; %bb.790:
	buffer_load_dword v125, v129, s[0:3], 0 offen
	buffer_load_dword v126, v129, s[0:3], 0 offen offset:4
	ds_read_b64 v[130:131], v128
	s_waitcnt vmcnt(0) lgkmcnt(0)
	v_mul_f64 v[125:126], v[125:126], v[130:131]
	s_cbranch_execz .LBB125_792
	s_branch .LBB125_793
.LBB125_791:
                                        ; implicit-def: $vgpr125_vgpr126
.LBB125_792:
	ds_read_b64 v[125:126], v128
.LBB125_793:
	v_cmp_ne_u32_e32 vcc, 19, v0
	s_and_saveexec_b64 s[8:9], vcc
	s_cbranch_execz .LBB125_797
; %bb.794:
	s_mov_b32 s10, 0
	v_add_u32_e32 v130, 0x1f8, v127
	v_add3_u32 v131, v127, s10, 8
	s_mov_b64 s[10:11], 0
	v_mov_b32_e32 v132, v0
.LBB125_795:                            ; =>This Inner Loop Header: Depth=1
	buffer_load_dword v133, v131, s[0:3], 0 offen
	buffer_load_dword v134, v131, s[0:3], 0 offen offset:4
	ds_read_b64 v[135:136], v130
	v_add_u32_e32 v132, 1, v132
	v_cmp_lt_u32_e32 vcc, 18, v132
	v_add_u32_e32 v130, 8, v130
	s_or_b64 s[10:11], vcc, s[10:11]
	v_add_u32_e32 v131, 8, v131
	s_waitcnt vmcnt(0) lgkmcnt(0)
	v_fma_f64 v[125:126], v[133:134], v[135:136], v[125:126]
	s_andn2_b64 exec, exec, s[10:11]
	s_cbranch_execnz .LBB125_795
; %bb.796:
	s_or_b64 exec, exec, s[10:11]
.LBB125_797:
	s_or_b64 exec, exec, s[8:9]
	v_mov_b32_e32 v130, 0
	ds_read_b64 v[130:131], v130 offset:160
	s_waitcnt lgkmcnt(0)
	v_mul_f64 v[125:126], v[125:126], v[130:131]
	buffer_store_dword v126, off, s[0:3], 0 offset:164
	buffer_store_dword v125, off, s[0:3], 0 offset:160
.LBB125_798:
	s_or_b64 exec, exec, s[6:7]
	buffer_load_dword v125, off, s[0:3], 0 offset:168
	buffer_load_dword v126, off, s[0:3], 0 offset:172
	v_cmp_gt_u32_e32 vcc, 21, v0
	s_waitcnt vmcnt(0)
	ds_write_b64 v128, v[125:126]
	s_waitcnt lgkmcnt(0)
	; wave barrier
	s_and_saveexec_b64 s[6:7], vcc
	s_cbranch_execz .LBB125_808
; %bb.799:
	s_and_b64 vcc, exec, s[4:5]
	s_cbranch_vccnz .LBB125_801
; %bb.800:
	buffer_load_dword v125, v129, s[0:3], 0 offen
	buffer_load_dword v126, v129, s[0:3], 0 offen offset:4
	ds_read_b64 v[130:131], v128
	s_waitcnt vmcnt(0) lgkmcnt(0)
	v_mul_f64 v[125:126], v[125:126], v[130:131]
	s_cbranch_execz .LBB125_802
	s_branch .LBB125_803
.LBB125_801:
                                        ; implicit-def: $vgpr125_vgpr126
.LBB125_802:
	ds_read_b64 v[125:126], v128
.LBB125_803:
	v_cmp_ne_u32_e32 vcc, 20, v0
	s_and_saveexec_b64 s[8:9], vcc
	s_cbranch_execz .LBB125_807
; %bb.804:
	s_mov_b32 s10, 0
	v_add_u32_e32 v130, 0x1f8, v127
	v_add3_u32 v131, v127, s10, 8
	s_mov_b64 s[10:11], 0
	v_mov_b32_e32 v132, v0
.LBB125_805:                            ; =>This Inner Loop Header: Depth=1
	buffer_load_dword v133, v131, s[0:3], 0 offen
	buffer_load_dword v134, v131, s[0:3], 0 offen offset:4
	ds_read_b64 v[135:136], v130
	v_add_u32_e32 v132, 1, v132
	v_cmp_lt_u32_e32 vcc, 19, v132
	v_add_u32_e32 v130, 8, v130
	s_or_b64 s[10:11], vcc, s[10:11]
	v_add_u32_e32 v131, 8, v131
	s_waitcnt vmcnt(0) lgkmcnt(0)
	v_fma_f64 v[125:126], v[133:134], v[135:136], v[125:126]
	s_andn2_b64 exec, exec, s[10:11]
	s_cbranch_execnz .LBB125_805
; %bb.806:
	s_or_b64 exec, exec, s[10:11]
.LBB125_807:
	s_or_b64 exec, exec, s[8:9]
	v_mov_b32_e32 v130, 0
	ds_read_b64 v[130:131], v130 offset:168
	s_waitcnt lgkmcnt(0)
	v_mul_f64 v[125:126], v[125:126], v[130:131]
	buffer_store_dword v126, off, s[0:3], 0 offset:172
	buffer_store_dword v125, off, s[0:3], 0 offset:168
.LBB125_808:
	s_or_b64 exec, exec, s[6:7]
	buffer_load_dword v125, off, s[0:3], 0 offset:176
	buffer_load_dword v126, off, s[0:3], 0 offset:180
	v_cmp_gt_u32_e32 vcc, 22, v0
	s_waitcnt vmcnt(0)
	ds_write_b64 v128, v[125:126]
	s_waitcnt lgkmcnt(0)
	; wave barrier
	s_and_saveexec_b64 s[6:7], vcc
	s_cbranch_execz .LBB125_818
; %bb.809:
	s_and_b64 vcc, exec, s[4:5]
	s_cbranch_vccnz .LBB125_811
; %bb.810:
	buffer_load_dword v125, v129, s[0:3], 0 offen
	buffer_load_dword v126, v129, s[0:3], 0 offen offset:4
	ds_read_b64 v[130:131], v128
	s_waitcnt vmcnt(0) lgkmcnt(0)
	v_mul_f64 v[125:126], v[125:126], v[130:131]
	s_cbranch_execz .LBB125_812
	s_branch .LBB125_813
.LBB125_811:
                                        ; implicit-def: $vgpr125_vgpr126
.LBB125_812:
	ds_read_b64 v[125:126], v128
.LBB125_813:
	v_cmp_ne_u32_e32 vcc, 21, v0
	s_and_saveexec_b64 s[8:9], vcc
	s_cbranch_execz .LBB125_817
; %bb.814:
	s_mov_b32 s10, 0
	v_add_u32_e32 v130, 0x1f8, v127
	v_add3_u32 v131, v127, s10, 8
	s_mov_b64 s[10:11], 0
	v_mov_b32_e32 v132, v0
.LBB125_815:                            ; =>This Inner Loop Header: Depth=1
	buffer_load_dword v133, v131, s[0:3], 0 offen
	buffer_load_dword v134, v131, s[0:3], 0 offen offset:4
	ds_read_b64 v[135:136], v130
	v_add_u32_e32 v132, 1, v132
	v_cmp_lt_u32_e32 vcc, 20, v132
	v_add_u32_e32 v130, 8, v130
	s_or_b64 s[10:11], vcc, s[10:11]
	v_add_u32_e32 v131, 8, v131
	s_waitcnt vmcnt(0) lgkmcnt(0)
	v_fma_f64 v[125:126], v[133:134], v[135:136], v[125:126]
	s_andn2_b64 exec, exec, s[10:11]
	s_cbranch_execnz .LBB125_815
; %bb.816:
	s_or_b64 exec, exec, s[10:11]
.LBB125_817:
	s_or_b64 exec, exec, s[8:9]
	v_mov_b32_e32 v130, 0
	ds_read_b64 v[130:131], v130 offset:176
	s_waitcnt lgkmcnt(0)
	v_mul_f64 v[125:126], v[125:126], v[130:131]
	buffer_store_dword v126, off, s[0:3], 0 offset:180
	buffer_store_dword v125, off, s[0:3], 0 offset:176
.LBB125_818:
	s_or_b64 exec, exec, s[6:7]
	buffer_load_dword v125, off, s[0:3], 0 offset:184
	buffer_load_dword v126, off, s[0:3], 0 offset:188
	v_cmp_gt_u32_e32 vcc, 23, v0
	s_waitcnt vmcnt(0)
	ds_write_b64 v128, v[125:126]
	s_waitcnt lgkmcnt(0)
	; wave barrier
	s_and_saveexec_b64 s[6:7], vcc
	s_cbranch_execz .LBB125_828
; %bb.819:
	s_and_b64 vcc, exec, s[4:5]
	s_cbranch_vccnz .LBB125_821
; %bb.820:
	buffer_load_dword v125, v129, s[0:3], 0 offen
	buffer_load_dword v126, v129, s[0:3], 0 offen offset:4
	ds_read_b64 v[130:131], v128
	s_waitcnt vmcnt(0) lgkmcnt(0)
	v_mul_f64 v[125:126], v[125:126], v[130:131]
	s_cbranch_execz .LBB125_822
	s_branch .LBB125_823
.LBB125_821:
                                        ; implicit-def: $vgpr125_vgpr126
.LBB125_822:
	ds_read_b64 v[125:126], v128
.LBB125_823:
	v_cmp_ne_u32_e32 vcc, 22, v0
	s_and_saveexec_b64 s[8:9], vcc
	s_cbranch_execz .LBB125_827
; %bb.824:
	s_mov_b32 s10, 0
	v_add_u32_e32 v130, 0x1f8, v127
	v_add3_u32 v131, v127, s10, 8
	s_mov_b64 s[10:11], 0
	v_mov_b32_e32 v132, v0
.LBB125_825:                            ; =>This Inner Loop Header: Depth=1
	buffer_load_dword v133, v131, s[0:3], 0 offen
	buffer_load_dword v134, v131, s[0:3], 0 offen offset:4
	ds_read_b64 v[135:136], v130
	v_add_u32_e32 v132, 1, v132
	v_cmp_lt_u32_e32 vcc, 21, v132
	v_add_u32_e32 v130, 8, v130
	s_or_b64 s[10:11], vcc, s[10:11]
	v_add_u32_e32 v131, 8, v131
	s_waitcnt vmcnt(0) lgkmcnt(0)
	v_fma_f64 v[125:126], v[133:134], v[135:136], v[125:126]
	s_andn2_b64 exec, exec, s[10:11]
	s_cbranch_execnz .LBB125_825
; %bb.826:
	s_or_b64 exec, exec, s[10:11]
.LBB125_827:
	s_or_b64 exec, exec, s[8:9]
	v_mov_b32_e32 v130, 0
	ds_read_b64 v[130:131], v130 offset:184
	s_waitcnt lgkmcnt(0)
	v_mul_f64 v[125:126], v[125:126], v[130:131]
	buffer_store_dword v126, off, s[0:3], 0 offset:188
	buffer_store_dword v125, off, s[0:3], 0 offset:184
.LBB125_828:
	s_or_b64 exec, exec, s[6:7]
	buffer_load_dword v125, off, s[0:3], 0 offset:192
	buffer_load_dword v126, off, s[0:3], 0 offset:196
	v_cmp_gt_u32_e32 vcc, 24, v0
	s_waitcnt vmcnt(0)
	ds_write_b64 v128, v[125:126]
	s_waitcnt lgkmcnt(0)
	; wave barrier
	s_and_saveexec_b64 s[6:7], vcc
	s_cbranch_execz .LBB125_838
; %bb.829:
	s_and_b64 vcc, exec, s[4:5]
	s_cbranch_vccnz .LBB125_831
; %bb.830:
	buffer_load_dword v125, v129, s[0:3], 0 offen
	buffer_load_dword v126, v129, s[0:3], 0 offen offset:4
	ds_read_b64 v[130:131], v128
	s_waitcnt vmcnt(0) lgkmcnt(0)
	v_mul_f64 v[125:126], v[125:126], v[130:131]
	s_cbranch_execz .LBB125_832
	s_branch .LBB125_833
.LBB125_831:
                                        ; implicit-def: $vgpr125_vgpr126
.LBB125_832:
	ds_read_b64 v[125:126], v128
.LBB125_833:
	v_cmp_ne_u32_e32 vcc, 23, v0
	s_and_saveexec_b64 s[8:9], vcc
	s_cbranch_execz .LBB125_837
; %bb.834:
	s_mov_b32 s10, 0
	v_add_u32_e32 v130, 0x1f8, v127
	v_add3_u32 v131, v127, s10, 8
	s_mov_b64 s[10:11], 0
	v_mov_b32_e32 v132, v0
.LBB125_835:                            ; =>This Inner Loop Header: Depth=1
	buffer_load_dword v133, v131, s[0:3], 0 offen
	buffer_load_dword v134, v131, s[0:3], 0 offen offset:4
	ds_read_b64 v[135:136], v130
	v_add_u32_e32 v132, 1, v132
	v_cmp_lt_u32_e32 vcc, 22, v132
	v_add_u32_e32 v130, 8, v130
	s_or_b64 s[10:11], vcc, s[10:11]
	v_add_u32_e32 v131, 8, v131
	s_waitcnt vmcnt(0) lgkmcnt(0)
	v_fma_f64 v[125:126], v[133:134], v[135:136], v[125:126]
	s_andn2_b64 exec, exec, s[10:11]
	s_cbranch_execnz .LBB125_835
; %bb.836:
	s_or_b64 exec, exec, s[10:11]
.LBB125_837:
	s_or_b64 exec, exec, s[8:9]
	v_mov_b32_e32 v130, 0
	ds_read_b64 v[130:131], v130 offset:192
	s_waitcnt lgkmcnt(0)
	v_mul_f64 v[125:126], v[125:126], v[130:131]
	buffer_store_dword v126, off, s[0:3], 0 offset:196
	buffer_store_dword v125, off, s[0:3], 0 offset:192
.LBB125_838:
	s_or_b64 exec, exec, s[6:7]
	buffer_load_dword v125, off, s[0:3], 0 offset:200
	buffer_load_dword v126, off, s[0:3], 0 offset:204
	v_cmp_gt_u32_e32 vcc, 25, v0
	s_waitcnt vmcnt(0)
	ds_write_b64 v128, v[125:126]
	s_waitcnt lgkmcnt(0)
	; wave barrier
	s_and_saveexec_b64 s[6:7], vcc
	s_cbranch_execz .LBB125_848
; %bb.839:
	s_and_b64 vcc, exec, s[4:5]
	s_cbranch_vccnz .LBB125_841
; %bb.840:
	buffer_load_dword v125, v129, s[0:3], 0 offen
	buffer_load_dword v126, v129, s[0:3], 0 offen offset:4
	ds_read_b64 v[130:131], v128
	s_waitcnt vmcnt(0) lgkmcnt(0)
	v_mul_f64 v[125:126], v[125:126], v[130:131]
	s_cbranch_execz .LBB125_842
	s_branch .LBB125_843
.LBB125_841:
                                        ; implicit-def: $vgpr125_vgpr126
.LBB125_842:
	ds_read_b64 v[125:126], v128
.LBB125_843:
	v_cmp_ne_u32_e32 vcc, 24, v0
	s_and_saveexec_b64 s[8:9], vcc
	s_cbranch_execz .LBB125_847
; %bb.844:
	s_mov_b32 s10, 0
	v_add_u32_e32 v130, 0x1f8, v127
	v_add3_u32 v131, v127, s10, 8
	s_mov_b64 s[10:11], 0
	v_mov_b32_e32 v132, v0
.LBB125_845:                            ; =>This Inner Loop Header: Depth=1
	buffer_load_dword v133, v131, s[0:3], 0 offen
	buffer_load_dword v134, v131, s[0:3], 0 offen offset:4
	ds_read_b64 v[135:136], v130
	v_add_u32_e32 v132, 1, v132
	v_cmp_lt_u32_e32 vcc, 23, v132
	v_add_u32_e32 v130, 8, v130
	s_or_b64 s[10:11], vcc, s[10:11]
	v_add_u32_e32 v131, 8, v131
	s_waitcnt vmcnt(0) lgkmcnt(0)
	v_fma_f64 v[125:126], v[133:134], v[135:136], v[125:126]
	s_andn2_b64 exec, exec, s[10:11]
	s_cbranch_execnz .LBB125_845
; %bb.846:
	s_or_b64 exec, exec, s[10:11]
.LBB125_847:
	s_or_b64 exec, exec, s[8:9]
	v_mov_b32_e32 v130, 0
	ds_read_b64 v[130:131], v130 offset:200
	s_waitcnt lgkmcnt(0)
	v_mul_f64 v[125:126], v[125:126], v[130:131]
	buffer_store_dword v126, off, s[0:3], 0 offset:204
	buffer_store_dword v125, off, s[0:3], 0 offset:200
.LBB125_848:
	s_or_b64 exec, exec, s[6:7]
	buffer_load_dword v125, off, s[0:3], 0 offset:208
	buffer_load_dword v126, off, s[0:3], 0 offset:212
	v_cmp_gt_u32_e32 vcc, 26, v0
	s_waitcnt vmcnt(0)
	ds_write_b64 v128, v[125:126]
	s_waitcnt lgkmcnt(0)
	; wave barrier
	s_and_saveexec_b64 s[6:7], vcc
	s_cbranch_execz .LBB125_858
; %bb.849:
	s_and_b64 vcc, exec, s[4:5]
	s_cbranch_vccnz .LBB125_851
; %bb.850:
	buffer_load_dword v125, v129, s[0:3], 0 offen
	buffer_load_dword v126, v129, s[0:3], 0 offen offset:4
	ds_read_b64 v[130:131], v128
	s_waitcnt vmcnt(0) lgkmcnt(0)
	v_mul_f64 v[125:126], v[125:126], v[130:131]
	s_cbranch_execz .LBB125_852
	s_branch .LBB125_853
.LBB125_851:
                                        ; implicit-def: $vgpr125_vgpr126
.LBB125_852:
	ds_read_b64 v[125:126], v128
.LBB125_853:
	v_cmp_ne_u32_e32 vcc, 25, v0
	s_and_saveexec_b64 s[8:9], vcc
	s_cbranch_execz .LBB125_857
; %bb.854:
	s_mov_b32 s10, 0
	v_add_u32_e32 v130, 0x1f8, v127
	v_add3_u32 v131, v127, s10, 8
	s_mov_b64 s[10:11], 0
	v_mov_b32_e32 v132, v0
.LBB125_855:                            ; =>This Inner Loop Header: Depth=1
	buffer_load_dword v133, v131, s[0:3], 0 offen
	buffer_load_dword v134, v131, s[0:3], 0 offen offset:4
	ds_read_b64 v[135:136], v130
	v_add_u32_e32 v132, 1, v132
	v_cmp_lt_u32_e32 vcc, 24, v132
	v_add_u32_e32 v130, 8, v130
	s_or_b64 s[10:11], vcc, s[10:11]
	v_add_u32_e32 v131, 8, v131
	s_waitcnt vmcnt(0) lgkmcnt(0)
	v_fma_f64 v[125:126], v[133:134], v[135:136], v[125:126]
	s_andn2_b64 exec, exec, s[10:11]
	s_cbranch_execnz .LBB125_855
; %bb.856:
	s_or_b64 exec, exec, s[10:11]
.LBB125_857:
	s_or_b64 exec, exec, s[8:9]
	v_mov_b32_e32 v130, 0
	ds_read_b64 v[130:131], v130 offset:208
	s_waitcnt lgkmcnt(0)
	v_mul_f64 v[125:126], v[125:126], v[130:131]
	buffer_store_dword v126, off, s[0:3], 0 offset:212
	buffer_store_dword v125, off, s[0:3], 0 offset:208
.LBB125_858:
	s_or_b64 exec, exec, s[6:7]
	buffer_load_dword v125, off, s[0:3], 0 offset:216
	buffer_load_dword v126, off, s[0:3], 0 offset:220
	v_cmp_gt_u32_e32 vcc, 27, v0
	s_waitcnt vmcnt(0)
	ds_write_b64 v128, v[125:126]
	s_waitcnt lgkmcnt(0)
	; wave barrier
	s_and_saveexec_b64 s[6:7], vcc
	s_cbranch_execz .LBB125_868
; %bb.859:
	s_and_b64 vcc, exec, s[4:5]
	s_cbranch_vccnz .LBB125_861
; %bb.860:
	buffer_load_dword v125, v129, s[0:3], 0 offen
	buffer_load_dword v126, v129, s[0:3], 0 offen offset:4
	ds_read_b64 v[130:131], v128
	s_waitcnt vmcnt(0) lgkmcnt(0)
	v_mul_f64 v[125:126], v[125:126], v[130:131]
	s_cbranch_execz .LBB125_862
	s_branch .LBB125_863
.LBB125_861:
                                        ; implicit-def: $vgpr125_vgpr126
.LBB125_862:
	ds_read_b64 v[125:126], v128
.LBB125_863:
	v_cmp_ne_u32_e32 vcc, 26, v0
	s_and_saveexec_b64 s[8:9], vcc
	s_cbranch_execz .LBB125_867
; %bb.864:
	s_mov_b32 s10, 0
	v_add_u32_e32 v130, 0x1f8, v127
	v_add3_u32 v131, v127, s10, 8
	s_mov_b64 s[10:11], 0
	v_mov_b32_e32 v132, v0
.LBB125_865:                            ; =>This Inner Loop Header: Depth=1
	buffer_load_dword v133, v131, s[0:3], 0 offen
	buffer_load_dword v134, v131, s[0:3], 0 offen offset:4
	ds_read_b64 v[135:136], v130
	v_add_u32_e32 v132, 1, v132
	v_cmp_lt_u32_e32 vcc, 25, v132
	v_add_u32_e32 v130, 8, v130
	s_or_b64 s[10:11], vcc, s[10:11]
	v_add_u32_e32 v131, 8, v131
	s_waitcnt vmcnt(0) lgkmcnt(0)
	v_fma_f64 v[125:126], v[133:134], v[135:136], v[125:126]
	s_andn2_b64 exec, exec, s[10:11]
	s_cbranch_execnz .LBB125_865
; %bb.866:
	s_or_b64 exec, exec, s[10:11]
.LBB125_867:
	s_or_b64 exec, exec, s[8:9]
	v_mov_b32_e32 v130, 0
	ds_read_b64 v[130:131], v130 offset:216
	s_waitcnt lgkmcnt(0)
	v_mul_f64 v[125:126], v[125:126], v[130:131]
	buffer_store_dword v126, off, s[0:3], 0 offset:220
	buffer_store_dword v125, off, s[0:3], 0 offset:216
.LBB125_868:
	s_or_b64 exec, exec, s[6:7]
	buffer_load_dword v125, off, s[0:3], 0 offset:224
	buffer_load_dword v126, off, s[0:3], 0 offset:228
	v_cmp_gt_u32_e32 vcc, 28, v0
	s_waitcnt vmcnt(0)
	ds_write_b64 v128, v[125:126]
	s_waitcnt lgkmcnt(0)
	; wave barrier
	s_and_saveexec_b64 s[6:7], vcc
	s_cbranch_execz .LBB125_878
; %bb.869:
	s_and_b64 vcc, exec, s[4:5]
	s_cbranch_vccnz .LBB125_871
; %bb.870:
	buffer_load_dword v125, v129, s[0:3], 0 offen
	buffer_load_dword v126, v129, s[0:3], 0 offen offset:4
	ds_read_b64 v[130:131], v128
	s_waitcnt vmcnt(0) lgkmcnt(0)
	v_mul_f64 v[125:126], v[125:126], v[130:131]
	s_cbranch_execz .LBB125_872
	s_branch .LBB125_873
.LBB125_871:
                                        ; implicit-def: $vgpr125_vgpr126
.LBB125_872:
	ds_read_b64 v[125:126], v128
.LBB125_873:
	v_cmp_ne_u32_e32 vcc, 27, v0
	s_and_saveexec_b64 s[8:9], vcc
	s_cbranch_execz .LBB125_877
; %bb.874:
	s_mov_b32 s10, 0
	v_add_u32_e32 v130, 0x1f8, v127
	v_add3_u32 v131, v127, s10, 8
	s_mov_b64 s[10:11], 0
	v_mov_b32_e32 v132, v0
.LBB125_875:                            ; =>This Inner Loop Header: Depth=1
	buffer_load_dword v133, v131, s[0:3], 0 offen
	buffer_load_dword v134, v131, s[0:3], 0 offen offset:4
	ds_read_b64 v[135:136], v130
	v_add_u32_e32 v132, 1, v132
	v_cmp_lt_u32_e32 vcc, 26, v132
	v_add_u32_e32 v130, 8, v130
	s_or_b64 s[10:11], vcc, s[10:11]
	v_add_u32_e32 v131, 8, v131
	s_waitcnt vmcnt(0) lgkmcnt(0)
	v_fma_f64 v[125:126], v[133:134], v[135:136], v[125:126]
	s_andn2_b64 exec, exec, s[10:11]
	s_cbranch_execnz .LBB125_875
; %bb.876:
	s_or_b64 exec, exec, s[10:11]
.LBB125_877:
	s_or_b64 exec, exec, s[8:9]
	v_mov_b32_e32 v130, 0
	ds_read_b64 v[130:131], v130 offset:224
	s_waitcnt lgkmcnt(0)
	v_mul_f64 v[125:126], v[125:126], v[130:131]
	buffer_store_dword v126, off, s[0:3], 0 offset:228
	buffer_store_dword v125, off, s[0:3], 0 offset:224
.LBB125_878:
	s_or_b64 exec, exec, s[6:7]
	buffer_load_dword v125, off, s[0:3], 0 offset:232
	buffer_load_dword v126, off, s[0:3], 0 offset:236
	v_cmp_gt_u32_e32 vcc, 29, v0
	s_waitcnt vmcnt(0)
	ds_write_b64 v128, v[125:126]
	s_waitcnt lgkmcnt(0)
	; wave barrier
	s_and_saveexec_b64 s[6:7], vcc
	s_cbranch_execz .LBB125_888
; %bb.879:
	s_and_b64 vcc, exec, s[4:5]
	s_cbranch_vccnz .LBB125_881
; %bb.880:
	buffer_load_dword v125, v129, s[0:3], 0 offen
	buffer_load_dword v126, v129, s[0:3], 0 offen offset:4
	ds_read_b64 v[130:131], v128
	s_waitcnt vmcnt(0) lgkmcnt(0)
	v_mul_f64 v[125:126], v[125:126], v[130:131]
	s_cbranch_execz .LBB125_882
	s_branch .LBB125_883
.LBB125_881:
                                        ; implicit-def: $vgpr125_vgpr126
.LBB125_882:
	ds_read_b64 v[125:126], v128
.LBB125_883:
	v_cmp_ne_u32_e32 vcc, 28, v0
	s_and_saveexec_b64 s[8:9], vcc
	s_cbranch_execz .LBB125_887
; %bb.884:
	s_mov_b32 s10, 0
	v_add_u32_e32 v130, 0x1f8, v127
	v_add3_u32 v131, v127, s10, 8
	s_mov_b64 s[10:11], 0
	v_mov_b32_e32 v132, v0
.LBB125_885:                            ; =>This Inner Loop Header: Depth=1
	buffer_load_dword v133, v131, s[0:3], 0 offen
	buffer_load_dword v134, v131, s[0:3], 0 offen offset:4
	ds_read_b64 v[135:136], v130
	v_add_u32_e32 v132, 1, v132
	v_cmp_lt_u32_e32 vcc, 27, v132
	v_add_u32_e32 v130, 8, v130
	s_or_b64 s[10:11], vcc, s[10:11]
	v_add_u32_e32 v131, 8, v131
	s_waitcnt vmcnt(0) lgkmcnt(0)
	v_fma_f64 v[125:126], v[133:134], v[135:136], v[125:126]
	s_andn2_b64 exec, exec, s[10:11]
	s_cbranch_execnz .LBB125_885
; %bb.886:
	s_or_b64 exec, exec, s[10:11]
.LBB125_887:
	s_or_b64 exec, exec, s[8:9]
	v_mov_b32_e32 v130, 0
	ds_read_b64 v[130:131], v130 offset:232
	s_waitcnt lgkmcnt(0)
	v_mul_f64 v[125:126], v[125:126], v[130:131]
	buffer_store_dword v126, off, s[0:3], 0 offset:236
	buffer_store_dword v125, off, s[0:3], 0 offset:232
.LBB125_888:
	s_or_b64 exec, exec, s[6:7]
	buffer_load_dword v125, off, s[0:3], 0 offset:240
	buffer_load_dword v126, off, s[0:3], 0 offset:244
	v_cmp_gt_u32_e32 vcc, 30, v0
	s_waitcnt vmcnt(0)
	ds_write_b64 v128, v[125:126]
	s_waitcnt lgkmcnt(0)
	; wave barrier
	s_and_saveexec_b64 s[6:7], vcc
	s_cbranch_execz .LBB125_898
; %bb.889:
	s_and_b64 vcc, exec, s[4:5]
	s_cbranch_vccnz .LBB125_891
; %bb.890:
	buffer_load_dword v125, v129, s[0:3], 0 offen
	buffer_load_dword v126, v129, s[0:3], 0 offen offset:4
	ds_read_b64 v[130:131], v128
	s_waitcnt vmcnt(0) lgkmcnt(0)
	v_mul_f64 v[125:126], v[125:126], v[130:131]
	s_cbranch_execz .LBB125_892
	s_branch .LBB125_893
.LBB125_891:
                                        ; implicit-def: $vgpr125_vgpr126
.LBB125_892:
	ds_read_b64 v[125:126], v128
.LBB125_893:
	v_cmp_ne_u32_e32 vcc, 29, v0
	s_and_saveexec_b64 s[8:9], vcc
	s_cbranch_execz .LBB125_897
; %bb.894:
	s_mov_b32 s10, 0
	v_add_u32_e32 v130, 0x1f8, v127
	v_add3_u32 v131, v127, s10, 8
	s_mov_b64 s[10:11], 0
	v_mov_b32_e32 v132, v0
.LBB125_895:                            ; =>This Inner Loop Header: Depth=1
	buffer_load_dword v133, v131, s[0:3], 0 offen
	buffer_load_dword v134, v131, s[0:3], 0 offen offset:4
	ds_read_b64 v[135:136], v130
	v_add_u32_e32 v132, 1, v132
	v_cmp_lt_u32_e32 vcc, 28, v132
	v_add_u32_e32 v130, 8, v130
	s_or_b64 s[10:11], vcc, s[10:11]
	v_add_u32_e32 v131, 8, v131
	s_waitcnt vmcnt(0) lgkmcnt(0)
	v_fma_f64 v[125:126], v[133:134], v[135:136], v[125:126]
	s_andn2_b64 exec, exec, s[10:11]
	s_cbranch_execnz .LBB125_895
; %bb.896:
	s_or_b64 exec, exec, s[10:11]
.LBB125_897:
	s_or_b64 exec, exec, s[8:9]
	v_mov_b32_e32 v130, 0
	ds_read_b64 v[130:131], v130 offset:240
	s_waitcnt lgkmcnt(0)
	v_mul_f64 v[125:126], v[125:126], v[130:131]
	buffer_store_dword v126, off, s[0:3], 0 offset:244
	buffer_store_dword v125, off, s[0:3], 0 offset:240
.LBB125_898:
	s_or_b64 exec, exec, s[6:7]
	buffer_load_dword v125, off, s[0:3], 0 offset:248
	buffer_load_dword v126, off, s[0:3], 0 offset:252
	v_cmp_gt_u32_e32 vcc, 31, v0
	s_waitcnt vmcnt(0)
	ds_write_b64 v128, v[125:126]
	s_waitcnt lgkmcnt(0)
	; wave barrier
	s_and_saveexec_b64 s[6:7], vcc
	s_cbranch_execz .LBB125_908
; %bb.899:
	s_and_b64 vcc, exec, s[4:5]
	s_cbranch_vccnz .LBB125_901
; %bb.900:
	buffer_load_dword v125, v129, s[0:3], 0 offen
	buffer_load_dword v126, v129, s[0:3], 0 offen offset:4
	ds_read_b64 v[130:131], v128
	s_waitcnt vmcnt(0) lgkmcnt(0)
	v_mul_f64 v[125:126], v[125:126], v[130:131]
	s_cbranch_execz .LBB125_902
	s_branch .LBB125_903
.LBB125_901:
                                        ; implicit-def: $vgpr125_vgpr126
.LBB125_902:
	ds_read_b64 v[125:126], v128
.LBB125_903:
	v_cmp_ne_u32_e32 vcc, 30, v0
	s_and_saveexec_b64 s[8:9], vcc
	s_cbranch_execz .LBB125_907
; %bb.904:
	s_mov_b32 s10, 0
	v_add_u32_e32 v130, 0x1f8, v127
	v_add3_u32 v131, v127, s10, 8
	s_mov_b64 s[10:11], 0
	v_mov_b32_e32 v132, v0
.LBB125_905:                            ; =>This Inner Loop Header: Depth=1
	buffer_load_dword v133, v131, s[0:3], 0 offen
	buffer_load_dword v134, v131, s[0:3], 0 offen offset:4
	ds_read_b64 v[135:136], v130
	v_add_u32_e32 v132, 1, v132
	v_cmp_lt_u32_e32 vcc, 29, v132
	v_add_u32_e32 v130, 8, v130
	s_or_b64 s[10:11], vcc, s[10:11]
	v_add_u32_e32 v131, 8, v131
	s_waitcnt vmcnt(0) lgkmcnt(0)
	v_fma_f64 v[125:126], v[133:134], v[135:136], v[125:126]
	s_andn2_b64 exec, exec, s[10:11]
	s_cbranch_execnz .LBB125_905
; %bb.906:
	s_or_b64 exec, exec, s[10:11]
.LBB125_907:
	s_or_b64 exec, exec, s[8:9]
	v_mov_b32_e32 v130, 0
	ds_read_b64 v[130:131], v130 offset:248
	s_waitcnt lgkmcnt(0)
	v_mul_f64 v[125:126], v[125:126], v[130:131]
	buffer_store_dword v126, off, s[0:3], 0 offset:252
	buffer_store_dword v125, off, s[0:3], 0 offset:248
.LBB125_908:
	s_or_b64 exec, exec, s[6:7]
	buffer_load_dword v125, off, s[0:3], 0 offset:256
	buffer_load_dword v126, off, s[0:3], 0 offset:260
	v_cmp_gt_u32_e32 vcc, 32, v0
	s_waitcnt vmcnt(0)
	ds_write_b64 v128, v[125:126]
	s_waitcnt lgkmcnt(0)
	; wave barrier
	s_and_saveexec_b64 s[6:7], vcc
	s_cbranch_execz .LBB125_918
; %bb.909:
	s_and_b64 vcc, exec, s[4:5]
	s_cbranch_vccnz .LBB125_911
; %bb.910:
	buffer_load_dword v125, v129, s[0:3], 0 offen
	buffer_load_dword v126, v129, s[0:3], 0 offen offset:4
	ds_read_b64 v[130:131], v128
	s_waitcnt vmcnt(0) lgkmcnt(0)
	v_mul_f64 v[125:126], v[125:126], v[130:131]
	s_cbranch_execz .LBB125_912
	s_branch .LBB125_913
.LBB125_911:
                                        ; implicit-def: $vgpr125_vgpr126
.LBB125_912:
	ds_read_b64 v[125:126], v128
.LBB125_913:
	v_cmp_ne_u32_e32 vcc, 31, v0
	s_and_saveexec_b64 s[8:9], vcc
	s_cbranch_execz .LBB125_917
; %bb.914:
	s_mov_b32 s10, 0
	v_add_u32_e32 v130, 0x1f8, v127
	v_add3_u32 v131, v127, s10, 8
	s_mov_b64 s[10:11], 0
	v_mov_b32_e32 v132, v0
.LBB125_915:                            ; =>This Inner Loop Header: Depth=1
	buffer_load_dword v133, v131, s[0:3], 0 offen
	buffer_load_dword v134, v131, s[0:3], 0 offen offset:4
	ds_read_b64 v[135:136], v130
	v_add_u32_e32 v132, 1, v132
	v_cmp_lt_u32_e32 vcc, 30, v132
	v_add_u32_e32 v130, 8, v130
	s_or_b64 s[10:11], vcc, s[10:11]
	v_add_u32_e32 v131, 8, v131
	s_waitcnt vmcnt(0) lgkmcnt(0)
	v_fma_f64 v[125:126], v[133:134], v[135:136], v[125:126]
	s_andn2_b64 exec, exec, s[10:11]
	s_cbranch_execnz .LBB125_915
; %bb.916:
	s_or_b64 exec, exec, s[10:11]
.LBB125_917:
	s_or_b64 exec, exec, s[8:9]
	v_mov_b32_e32 v130, 0
	ds_read_b64 v[130:131], v130 offset:256
	s_waitcnt lgkmcnt(0)
	v_mul_f64 v[125:126], v[125:126], v[130:131]
	buffer_store_dword v126, off, s[0:3], 0 offset:260
	buffer_store_dword v125, off, s[0:3], 0 offset:256
.LBB125_918:
	s_or_b64 exec, exec, s[6:7]
	buffer_load_dword v125, off, s[0:3], 0 offset:264
	buffer_load_dword v126, off, s[0:3], 0 offset:268
	v_cmp_gt_u32_e32 vcc, 33, v0
	s_waitcnt vmcnt(0)
	ds_write_b64 v128, v[125:126]
	s_waitcnt lgkmcnt(0)
	; wave barrier
	s_and_saveexec_b64 s[6:7], vcc
	s_cbranch_execz .LBB125_928
; %bb.919:
	s_and_b64 vcc, exec, s[4:5]
	s_cbranch_vccnz .LBB125_921
; %bb.920:
	buffer_load_dword v125, v129, s[0:3], 0 offen
	buffer_load_dword v126, v129, s[0:3], 0 offen offset:4
	ds_read_b64 v[130:131], v128
	s_waitcnt vmcnt(0) lgkmcnt(0)
	v_mul_f64 v[125:126], v[125:126], v[130:131]
	s_cbranch_execz .LBB125_922
	s_branch .LBB125_923
.LBB125_921:
                                        ; implicit-def: $vgpr125_vgpr126
.LBB125_922:
	ds_read_b64 v[125:126], v128
.LBB125_923:
	v_cmp_ne_u32_e32 vcc, 32, v0
	s_and_saveexec_b64 s[8:9], vcc
	s_cbranch_execz .LBB125_927
; %bb.924:
	s_mov_b32 s10, 0
	v_add_u32_e32 v130, 0x1f8, v127
	v_add3_u32 v131, v127, s10, 8
	s_mov_b64 s[10:11], 0
	v_mov_b32_e32 v132, v0
.LBB125_925:                            ; =>This Inner Loop Header: Depth=1
	buffer_load_dword v133, v131, s[0:3], 0 offen
	buffer_load_dword v134, v131, s[0:3], 0 offen offset:4
	ds_read_b64 v[135:136], v130
	v_add_u32_e32 v132, 1, v132
	v_cmp_lt_u32_e32 vcc, 31, v132
	v_add_u32_e32 v130, 8, v130
	s_or_b64 s[10:11], vcc, s[10:11]
	v_add_u32_e32 v131, 8, v131
	s_waitcnt vmcnt(0) lgkmcnt(0)
	v_fma_f64 v[125:126], v[133:134], v[135:136], v[125:126]
	s_andn2_b64 exec, exec, s[10:11]
	s_cbranch_execnz .LBB125_925
; %bb.926:
	s_or_b64 exec, exec, s[10:11]
.LBB125_927:
	s_or_b64 exec, exec, s[8:9]
	v_mov_b32_e32 v130, 0
	ds_read_b64 v[130:131], v130 offset:264
	s_waitcnt lgkmcnt(0)
	v_mul_f64 v[125:126], v[125:126], v[130:131]
	buffer_store_dword v126, off, s[0:3], 0 offset:268
	buffer_store_dword v125, off, s[0:3], 0 offset:264
.LBB125_928:
	s_or_b64 exec, exec, s[6:7]
	buffer_load_dword v125, off, s[0:3], 0 offset:272
	buffer_load_dword v126, off, s[0:3], 0 offset:276
	v_cmp_gt_u32_e32 vcc, 34, v0
	s_waitcnt vmcnt(0)
	ds_write_b64 v128, v[125:126]
	s_waitcnt lgkmcnt(0)
	; wave barrier
	s_and_saveexec_b64 s[6:7], vcc
	s_cbranch_execz .LBB125_938
; %bb.929:
	s_and_b64 vcc, exec, s[4:5]
	s_cbranch_vccnz .LBB125_931
; %bb.930:
	buffer_load_dword v125, v129, s[0:3], 0 offen
	buffer_load_dword v126, v129, s[0:3], 0 offen offset:4
	ds_read_b64 v[130:131], v128
	s_waitcnt vmcnt(0) lgkmcnt(0)
	v_mul_f64 v[125:126], v[125:126], v[130:131]
	s_cbranch_execz .LBB125_932
	s_branch .LBB125_933
.LBB125_931:
                                        ; implicit-def: $vgpr125_vgpr126
.LBB125_932:
	ds_read_b64 v[125:126], v128
.LBB125_933:
	v_cmp_ne_u32_e32 vcc, 33, v0
	s_and_saveexec_b64 s[8:9], vcc
	s_cbranch_execz .LBB125_937
; %bb.934:
	s_mov_b32 s10, 0
	v_add_u32_e32 v130, 0x1f8, v127
	v_add3_u32 v131, v127, s10, 8
	s_mov_b64 s[10:11], 0
	v_mov_b32_e32 v132, v0
.LBB125_935:                            ; =>This Inner Loop Header: Depth=1
	buffer_load_dword v133, v131, s[0:3], 0 offen
	buffer_load_dword v134, v131, s[0:3], 0 offen offset:4
	ds_read_b64 v[135:136], v130
	v_add_u32_e32 v132, 1, v132
	v_cmp_lt_u32_e32 vcc, 32, v132
	v_add_u32_e32 v130, 8, v130
	s_or_b64 s[10:11], vcc, s[10:11]
	v_add_u32_e32 v131, 8, v131
	s_waitcnt vmcnt(0) lgkmcnt(0)
	v_fma_f64 v[125:126], v[133:134], v[135:136], v[125:126]
	s_andn2_b64 exec, exec, s[10:11]
	s_cbranch_execnz .LBB125_935
; %bb.936:
	s_or_b64 exec, exec, s[10:11]
.LBB125_937:
	s_or_b64 exec, exec, s[8:9]
	v_mov_b32_e32 v130, 0
	ds_read_b64 v[130:131], v130 offset:272
	s_waitcnt lgkmcnt(0)
	v_mul_f64 v[125:126], v[125:126], v[130:131]
	buffer_store_dword v126, off, s[0:3], 0 offset:276
	buffer_store_dword v125, off, s[0:3], 0 offset:272
.LBB125_938:
	s_or_b64 exec, exec, s[6:7]
	buffer_load_dword v125, off, s[0:3], 0 offset:280
	buffer_load_dword v126, off, s[0:3], 0 offset:284
	v_cmp_gt_u32_e32 vcc, 35, v0
	s_waitcnt vmcnt(0)
	ds_write_b64 v128, v[125:126]
	s_waitcnt lgkmcnt(0)
	; wave barrier
	s_and_saveexec_b64 s[6:7], vcc
	s_cbranch_execz .LBB125_948
; %bb.939:
	s_and_b64 vcc, exec, s[4:5]
	s_cbranch_vccnz .LBB125_941
; %bb.940:
	buffer_load_dword v125, v129, s[0:3], 0 offen
	buffer_load_dword v126, v129, s[0:3], 0 offen offset:4
	ds_read_b64 v[130:131], v128
	s_waitcnt vmcnt(0) lgkmcnt(0)
	v_mul_f64 v[125:126], v[125:126], v[130:131]
	s_cbranch_execz .LBB125_942
	s_branch .LBB125_943
.LBB125_941:
                                        ; implicit-def: $vgpr125_vgpr126
.LBB125_942:
	ds_read_b64 v[125:126], v128
.LBB125_943:
	v_cmp_ne_u32_e32 vcc, 34, v0
	s_and_saveexec_b64 s[8:9], vcc
	s_cbranch_execz .LBB125_947
; %bb.944:
	s_mov_b32 s10, 0
	v_add_u32_e32 v130, 0x1f8, v127
	v_add3_u32 v131, v127, s10, 8
	s_mov_b64 s[10:11], 0
	v_mov_b32_e32 v132, v0
.LBB125_945:                            ; =>This Inner Loop Header: Depth=1
	buffer_load_dword v133, v131, s[0:3], 0 offen
	buffer_load_dword v134, v131, s[0:3], 0 offen offset:4
	ds_read_b64 v[135:136], v130
	v_add_u32_e32 v132, 1, v132
	v_cmp_lt_u32_e32 vcc, 33, v132
	v_add_u32_e32 v130, 8, v130
	s_or_b64 s[10:11], vcc, s[10:11]
	v_add_u32_e32 v131, 8, v131
	s_waitcnt vmcnt(0) lgkmcnt(0)
	v_fma_f64 v[125:126], v[133:134], v[135:136], v[125:126]
	s_andn2_b64 exec, exec, s[10:11]
	s_cbranch_execnz .LBB125_945
; %bb.946:
	s_or_b64 exec, exec, s[10:11]
.LBB125_947:
	s_or_b64 exec, exec, s[8:9]
	v_mov_b32_e32 v130, 0
	ds_read_b64 v[130:131], v130 offset:280
	s_waitcnt lgkmcnt(0)
	v_mul_f64 v[125:126], v[125:126], v[130:131]
	buffer_store_dword v126, off, s[0:3], 0 offset:284
	buffer_store_dword v125, off, s[0:3], 0 offset:280
.LBB125_948:
	s_or_b64 exec, exec, s[6:7]
	buffer_load_dword v125, off, s[0:3], 0 offset:288
	buffer_load_dword v126, off, s[0:3], 0 offset:292
	v_cmp_gt_u32_e32 vcc, 36, v0
	s_waitcnt vmcnt(0)
	ds_write_b64 v128, v[125:126]
	s_waitcnt lgkmcnt(0)
	; wave barrier
	s_and_saveexec_b64 s[6:7], vcc
	s_cbranch_execz .LBB125_958
; %bb.949:
	s_and_b64 vcc, exec, s[4:5]
	s_cbranch_vccnz .LBB125_951
; %bb.950:
	buffer_load_dword v125, v129, s[0:3], 0 offen
	buffer_load_dword v126, v129, s[0:3], 0 offen offset:4
	ds_read_b64 v[130:131], v128
	s_waitcnt vmcnt(0) lgkmcnt(0)
	v_mul_f64 v[125:126], v[125:126], v[130:131]
	s_cbranch_execz .LBB125_952
	s_branch .LBB125_953
.LBB125_951:
                                        ; implicit-def: $vgpr125_vgpr126
.LBB125_952:
	ds_read_b64 v[125:126], v128
.LBB125_953:
	v_cmp_ne_u32_e32 vcc, 35, v0
	s_and_saveexec_b64 s[8:9], vcc
	s_cbranch_execz .LBB125_957
; %bb.954:
	s_mov_b32 s10, 0
	v_add_u32_e32 v130, 0x1f8, v127
	v_add3_u32 v131, v127, s10, 8
	s_mov_b64 s[10:11], 0
	v_mov_b32_e32 v132, v0
.LBB125_955:                            ; =>This Inner Loop Header: Depth=1
	buffer_load_dword v133, v131, s[0:3], 0 offen
	buffer_load_dword v134, v131, s[0:3], 0 offen offset:4
	ds_read_b64 v[135:136], v130
	v_add_u32_e32 v132, 1, v132
	v_cmp_lt_u32_e32 vcc, 34, v132
	v_add_u32_e32 v130, 8, v130
	s_or_b64 s[10:11], vcc, s[10:11]
	v_add_u32_e32 v131, 8, v131
	s_waitcnt vmcnt(0) lgkmcnt(0)
	v_fma_f64 v[125:126], v[133:134], v[135:136], v[125:126]
	s_andn2_b64 exec, exec, s[10:11]
	s_cbranch_execnz .LBB125_955
; %bb.956:
	s_or_b64 exec, exec, s[10:11]
.LBB125_957:
	s_or_b64 exec, exec, s[8:9]
	v_mov_b32_e32 v130, 0
	ds_read_b64 v[130:131], v130 offset:288
	s_waitcnt lgkmcnt(0)
	v_mul_f64 v[125:126], v[125:126], v[130:131]
	buffer_store_dword v126, off, s[0:3], 0 offset:292
	buffer_store_dword v125, off, s[0:3], 0 offset:288
.LBB125_958:
	s_or_b64 exec, exec, s[6:7]
	buffer_load_dword v125, off, s[0:3], 0 offset:296
	buffer_load_dword v126, off, s[0:3], 0 offset:300
	v_cmp_gt_u32_e32 vcc, 37, v0
	s_waitcnt vmcnt(0)
	ds_write_b64 v128, v[125:126]
	s_waitcnt lgkmcnt(0)
	; wave barrier
	s_and_saveexec_b64 s[6:7], vcc
	s_cbranch_execz .LBB125_968
; %bb.959:
	s_and_b64 vcc, exec, s[4:5]
	s_cbranch_vccnz .LBB125_961
; %bb.960:
	buffer_load_dword v125, v129, s[0:3], 0 offen
	buffer_load_dword v126, v129, s[0:3], 0 offen offset:4
	ds_read_b64 v[130:131], v128
	s_waitcnt vmcnt(0) lgkmcnt(0)
	v_mul_f64 v[125:126], v[125:126], v[130:131]
	s_cbranch_execz .LBB125_962
	s_branch .LBB125_963
.LBB125_961:
                                        ; implicit-def: $vgpr125_vgpr126
.LBB125_962:
	ds_read_b64 v[125:126], v128
.LBB125_963:
	v_cmp_ne_u32_e32 vcc, 36, v0
	s_and_saveexec_b64 s[8:9], vcc
	s_cbranch_execz .LBB125_967
; %bb.964:
	s_mov_b32 s10, 0
	v_add_u32_e32 v130, 0x1f8, v127
	v_add3_u32 v131, v127, s10, 8
	s_mov_b64 s[10:11], 0
	v_mov_b32_e32 v132, v0
.LBB125_965:                            ; =>This Inner Loop Header: Depth=1
	buffer_load_dword v133, v131, s[0:3], 0 offen
	buffer_load_dword v134, v131, s[0:3], 0 offen offset:4
	ds_read_b64 v[135:136], v130
	v_add_u32_e32 v132, 1, v132
	v_cmp_lt_u32_e32 vcc, 35, v132
	v_add_u32_e32 v130, 8, v130
	s_or_b64 s[10:11], vcc, s[10:11]
	v_add_u32_e32 v131, 8, v131
	s_waitcnt vmcnt(0) lgkmcnt(0)
	v_fma_f64 v[125:126], v[133:134], v[135:136], v[125:126]
	s_andn2_b64 exec, exec, s[10:11]
	s_cbranch_execnz .LBB125_965
; %bb.966:
	s_or_b64 exec, exec, s[10:11]
.LBB125_967:
	s_or_b64 exec, exec, s[8:9]
	v_mov_b32_e32 v130, 0
	ds_read_b64 v[130:131], v130 offset:296
	s_waitcnt lgkmcnt(0)
	v_mul_f64 v[125:126], v[125:126], v[130:131]
	buffer_store_dword v126, off, s[0:3], 0 offset:300
	buffer_store_dword v125, off, s[0:3], 0 offset:296
.LBB125_968:
	s_or_b64 exec, exec, s[6:7]
	buffer_load_dword v125, off, s[0:3], 0 offset:304
	buffer_load_dword v126, off, s[0:3], 0 offset:308
	v_cmp_gt_u32_e32 vcc, 38, v0
	s_waitcnt vmcnt(0)
	ds_write_b64 v128, v[125:126]
	s_waitcnt lgkmcnt(0)
	; wave barrier
	s_and_saveexec_b64 s[6:7], vcc
	s_cbranch_execz .LBB125_978
; %bb.969:
	s_and_b64 vcc, exec, s[4:5]
	s_cbranch_vccnz .LBB125_971
; %bb.970:
	buffer_load_dword v125, v129, s[0:3], 0 offen
	buffer_load_dword v126, v129, s[0:3], 0 offen offset:4
	ds_read_b64 v[130:131], v128
	s_waitcnt vmcnt(0) lgkmcnt(0)
	v_mul_f64 v[125:126], v[125:126], v[130:131]
	s_cbranch_execz .LBB125_972
	s_branch .LBB125_973
.LBB125_971:
                                        ; implicit-def: $vgpr125_vgpr126
.LBB125_972:
	ds_read_b64 v[125:126], v128
.LBB125_973:
	v_cmp_ne_u32_e32 vcc, 37, v0
	s_and_saveexec_b64 s[8:9], vcc
	s_cbranch_execz .LBB125_977
; %bb.974:
	s_mov_b32 s10, 0
	v_add_u32_e32 v130, 0x1f8, v127
	v_add3_u32 v131, v127, s10, 8
	s_mov_b64 s[10:11], 0
	v_mov_b32_e32 v132, v0
.LBB125_975:                            ; =>This Inner Loop Header: Depth=1
	buffer_load_dword v133, v131, s[0:3], 0 offen
	buffer_load_dword v134, v131, s[0:3], 0 offen offset:4
	ds_read_b64 v[135:136], v130
	v_add_u32_e32 v132, 1, v132
	v_cmp_lt_u32_e32 vcc, 36, v132
	v_add_u32_e32 v130, 8, v130
	s_or_b64 s[10:11], vcc, s[10:11]
	v_add_u32_e32 v131, 8, v131
	s_waitcnt vmcnt(0) lgkmcnt(0)
	v_fma_f64 v[125:126], v[133:134], v[135:136], v[125:126]
	s_andn2_b64 exec, exec, s[10:11]
	s_cbranch_execnz .LBB125_975
; %bb.976:
	s_or_b64 exec, exec, s[10:11]
.LBB125_977:
	s_or_b64 exec, exec, s[8:9]
	v_mov_b32_e32 v130, 0
	ds_read_b64 v[130:131], v130 offset:304
	s_waitcnt lgkmcnt(0)
	v_mul_f64 v[125:126], v[125:126], v[130:131]
	buffer_store_dword v126, off, s[0:3], 0 offset:308
	buffer_store_dword v125, off, s[0:3], 0 offset:304
.LBB125_978:
	s_or_b64 exec, exec, s[6:7]
	buffer_load_dword v125, off, s[0:3], 0 offset:312
	buffer_load_dword v126, off, s[0:3], 0 offset:316
	v_cmp_gt_u32_e32 vcc, 39, v0
	s_waitcnt vmcnt(0)
	ds_write_b64 v128, v[125:126]
	s_waitcnt lgkmcnt(0)
	; wave barrier
	s_and_saveexec_b64 s[6:7], vcc
	s_cbranch_execz .LBB125_988
; %bb.979:
	s_and_b64 vcc, exec, s[4:5]
	s_cbranch_vccnz .LBB125_981
; %bb.980:
	buffer_load_dword v125, v129, s[0:3], 0 offen
	buffer_load_dword v126, v129, s[0:3], 0 offen offset:4
	ds_read_b64 v[130:131], v128
	s_waitcnt vmcnt(0) lgkmcnt(0)
	v_mul_f64 v[125:126], v[125:126], v[130:131]
	s_cbranch_execz .LBB125_982
	s_branch .LBB125_983
.LBB125_981:
                                        ; implicit-def: $vgpr125_vgpr126
.LBB125_982:
	ds_read_b64 v[125:126], v128
.LBB125_983:
	v_cmp_ne_u32_e32 vcc, 38, v0
	s_and_saveexec_b64 s[8:9], vcc
	s_cbranch_execz .LBB125_987
; %bb.984:
	s_mov_b32 s10, 0
	v_add_u32_e32 v130, 0x1f8, v127
	v_add3_u32 v131, v127, s10, 8
	s_mov_b64 s[10:11], 0
	v_mov_b32_e32 v132, v0
.LBB125_985:                            ; =>This Inner Loop Header: Depth=1
	buffer_load_dword v133, v131, s[0:3], 0 offen
	buffer_load_dword v134, v131, s[0:3], 0 offen offset:4
	ds_read_b64 v[135:136], v130
	v_add_u32_e32 v132, 1, v132
	v_cmp_lt_u32_e32 vcc, 37, v132
	v_add_u32_e32 v130, 8, v130
	s_or_b64 s[10:11], vcc, s[10:11]
	v_add_u32_e32 v131, 8, v131
	s_waitcnt vmcnt(0) lgkmcnt(0)
	v_fma_f64 v[125:126], v[133:134], v[135:136], v[125:126]
	s_andn2_b64 exec, exec, s[10:11]
	s_cbranch_execnz .LBB125_985
; %bb.986:
	s_or_b64 exec, exec, s[10:11]
.LBB125_987:
	s_or_b64 exec, exec, s[8:9]
	v_mov_b32_e32 v130, 0
	ds_read_b64 v[130:131], v130 offset:312
	s_waitcnt lgkmcnt(0)
	v_mul_f64 v[125:126], v[125:126], v[130:131]
	buffer_store_dword v126, off, s[0:3], 0 offset:316
	buffer_store_dword v125, off, s[0:3], 0 offset:312
.LBB125_988:
	s_or_b64 exec, exec, s[6:7]
	buffer_load_dword v125, off, s[0:3], 0 offset:320
	buffer_load_dword v126, off, s[0:3], 0 offset:324
	v_cmp_gt_u32_e32 vcc, 40, v0
	s_waitcnt vmcnt(0)
	ds_write_b64 v128, v[125:126]
	s_waitcnt lgkmcnt(0)
	; wave barrier
	s_and_saveexec_b64 s[6:7], vcc
	s_cbranch_execz .LBB125_998
; %bb.989:
	s_and_b64 vcc, exec, s[4:5]
	s_cbranch_vccnz .LBB125_991
; %bb.990:
	buffer_load_dword v125, v129, s[0:3], 0 offen
	buffer_load_dword v126, v129, s[0:3], 0 offen offset:4
	ds_read_b64 v[130:131], v128
	s_waitcnt vmcnt(0) lgkmcnt(0)
	v_mul_f64 v[125:126], v[125:126], v[130:131]
	s_cbranch_execz .LBB125_992
	s_branch .LBB125_993
.LBB125_991:
                                        ; implicit-def: $vgpr125_vgpr126
.LBB125_992:
	ds_read_b64 v[125:126], v128
.LBB125_993:
	v_cmp_ne_u32_e32 vcc, 39, v0
	s_and_saveexec_b64 s[8:9], vcc
	s_cbranch_execz .LBB125_997
; %bb.994:
	s_mov_b32 s10, 0
	v_add_u32_e32 v130, 0x1f8, v127
	v_add3_u32 v131, v127, s10, 8
	s_mov_b64 s[10:11], 0
	v_mov_b32_e32 v132, v0
.LBB125_995:                            ; =>This Inner Loop Header: Depth=1
	buffer_load_dword v133, v131, s[0:3], 0 offen
	buffer_load_dword v134, v131, s[0:3], 0 offen offset:4
	ds_read_b64 v[135:136], v130
	v_add_u32_e32 v132, 1, v132
	v_cmp_lt_u32_e32 vcc, 38, v132
	v_add_u32_e32 v130, 8, v130
	s_or_b64 s[10:11], vcc, s[10:11]
	v_add_u32_e32 v131, 8, v131
	s_waitcnt vmcnt(0) lgkmcnt(0)
	v_fma_f64 v[125:126], v[133:134], v[135:136], v[125:126]
	s_andn2_b64 exec, exec, s[10:11]
	s_cbranch_execnz .LBB125_995
; %bb.996:
	s_or_b64 exec, exec, s[10:11]
.LBB125_997:
	s_or_b64 exec, exec, s[8:9]
	v_mov_b32_e32 v130, 0
	ds_read_b64 v[130:131], v130 offset:320
	s_waitcnt lgkmcnt(0)
	v_mul_f64 v[125:126], v[125:126], v[130:131]
	buffer_store_dword v126, off, s[0:3], 0 offset:324
	buffer_store_dword v125, off, s[0:3], 0 offset:320
.LBB125_998:
	s_or_b64 exec, exec, s[6:7]
	buffer_load_dword v125, off, s[0:3], 0 offset:328
	buffer_load_dword v126, off, s[0:3], 0 offset:332
	v_cmp_gt_u32_e32 vcc, 41, v0
	s_waitcnt vmcnt(0)
	ds_write_b64 v128, v[125:126]
	s_waitcnt lgkmcnt(0)
	; wave barrier
	s_and_saveexec_b64 s[6:7], vcc
	s_cbranch_execz .LBB125_1008
; %bb.999:
	s_and_b64 vcc, exec, s[4:5]
	s_cbranch_vccnz .LBB125_1001
; %bb.1000:
	buffer_load_dword v125, v129, s[0:3], 0 offen
	buffer_load_dword v126, v129, s[0:3], 0 offen offset:4
	ds_read_b64 v[130:131], v128
	s_waitcnt vmcnt(0) lgkmcnt(0)
	v_mul_f64 v[125:126], v[125:126], v[130:131]
	s_cbranch_execz .LBB125_1002
	s_branch .LBB125_1003
.LBB125_1001:
                                        ; implicit-def: $vgpr125_vgpr126
.LBB125_1002:
	ds_read_b64 v[125:126], v128
.LBB125_1003:
	v_cmp_ne_u32_e32 vcc, 40, v0
	s_and_saveexec_b64 s[8:9], vcc
	s_cbranch_execz .LBB125_1007
; %bb.1004:
	s_mov_b32 s10, 0
	v_add_u32_e32 v130, 0x1f8, v127
	v_add3_u32 v131, v127, s10, 8
	s_mov_b64 s[10:11], 0
	v_mov_b32_e32 v132, v0
.LBB125_1005:                           ; =>This Inner Loop Header: Depth=1
	buffer_load_dword v133, v131, s[0:3], 0 offen
	buffer_load_dword v134, v131, s[0:3], 0 offen offset:4
	ds_read_b64 v[135:136], v130
	v_add_u32_e32 v132, 1, v132
	v_cmp_lt_u32_e32 vcc, 39, v132
	v_add_u32_e32 v130, 8, v130
	s_or_b64 s[10:11], vcc, s[10:11]
	v_add_u32_e32 v131, 8, v131
	s_waitcnt vmcnt(0) lgkmcnt(0)
	v_fma_f64 v[125:126], v[133:134], v[135:136], v[125:126]
	s_andn2_b64 exec, exec, s[10:11]
	s_cbranch_execnz .LBB125_1005
; %bb.1006:
	s_or_b64 exec, exec, s[10:11]
.LBB125_1007:
	s_or_b64 exec, exec, s[8:9]
	v_mov_b32_e32 v130, 0
	ds_read_b64 v[130:131], v130 offset:328
	s_waitcnt lgkmcnt(0)
	v_mul_f64 v[125:126], v[125:126], v[130:131]
	buffer_store_dword v126, off, s[0:3], 0 offset:332
	buffer_store_dword v125, off, s[0:3], 0 offset:328
.LBB125_1008:
	s_or_b64 exec, exec, s[6:7]
	buffer_load_dword v125, off, s[0:3], 0 offset:336
	buffer_load_dword v126, off, s[0:3], 0 offset:340
	v_cmp_gt_u32_e32 vcc, 42, v0
	s_waitcnt vmcnt(0)
	ds_write_b64 v128, v[125:126]
	s_waitcnt lgkmcnt(0)
	; wave barrier
	s_and_saveexec_b64 s[6:7], vcc
	s_cbranch_execz .LBB125_1018
; %bb.1009:
	s_and_b64 vcc, exec, s[4:5]
	s_cbranch_vccnz .LBB125_1011
; %bb.1010:
	buffer_load_dword v125, v129, s[0:3], 0 offen
	buffer_load_dword v126, v129, s[0:3], 0 offen offset:4
	ds_read_b64 v[130:131], v128
	s_waitcnt vmcnt(0) lgkmcnt(0)
	v_mul_f64 v[125:126], v[125:126], v[130:131]
	s_cbranch_execz .LBB125_1012
	s_branch .LBB125_1013
.LBB125_1011:
                                        ; implicit-def: $vgpr125_vgpr126
.LBB125_1012:
	ds_read_b64 v[125:126], v128
.LBB125_1013:
	v_cmp_ne_u32_e32 vcc, 41, v0
	s_and_saveexec_b64 s[8:9], vcc
	s_cbranch_execz .LBB125_1017
; %bb.1014:
	s_mov_b32 s10, 0
	v_add_u32_e32 v130, 0x1f8, v127
	v_add3_u32 v131, v127, s10, 8
	s_mov_b64 s[10:11], 0
	v_mov_b32_e32 v132, v0
.LBB125_1015:                           ; =>This Inner Loop Header: Depth=1
	buffer_load_dword v133, v131, s[0:3], 0 offen
	buffer_load_dword v134, v131, s[0:3], 0 offen offset:4
	ds_read_b64 v[135:136], v130
	v_add_u32_e32 v132, 1, v132
	v_cmp_lt_u32_e32 vcc, 40, v132
	v_add_u32_e32 v130, 8, v130
	s_or_b64 s[10:11], vcc, s[10:11]
	v_add_u32_e32 v131, 8, v131
	s_waitcnt vmcnt(0) lgkmcnt(0)
	v_fma_f64 v[125:126], v[133:134], v[135:136], v[125:126]
	s_andn2_b64 exec, exec, s[10:11]
	s_cbranch_execnz .LBB125_1015
; %bb.1016:
	s_or_b64 exec, exec, s[10:11]
.LBB125_1017:
	s_or_b64 exec, exec, s[8:9]
	v_mov_b32_e32 v130, 0
	ds_read_b64 v[130:131], v130 offset:336
	s_waitcnt lgkmcnt(0)
	v_mul_f64 v[125:126], v[125:126], v[130:131]
	buffer_store_dword v126, off, s[0:3], 0 offset:340
	buffer_store_dword v125, off, s[0:3], 0 offset:336
.LBB125_1018:
	;; [unrolled: 59-line block ×19, first 2 shown]
	s_or_b64 exec, exec, s[6:7]
	buffer_load_dword v125, off, s[0:3], 0 offset:480
	buffer_load_dword v126, off, s[0:3], 0 offset:484
	v_cmp_gt_u32_e64 s[6:7], 60, v0
	s_waitcnt vmcnt(0)
	ds_write_b64 v128, v[125:126]
	s_waitcnt lgkmcnt(0)
	; wave barrier
	s_and_saveexec_b64 s[8:9], s[6:7]
	s_cbranch_execz .LBB125_1198
; %bb.1189:
	s_and_b64 vcc, exec, s[4:5]
	s_cbranch_vccnz .LBB125_1191
; %bb.1190:
	buffer_load_dword v125, v129, s[0:3], 0 offen
	buffer_load_dword v126, v129, s[0:3], 0 offen offset:4
	ds_read_b64 v[130:131], v128
	s_waitcnt vmcnt(0) lgkmcnt(0)
	v_mul_f64 v[125:126], v[125:126], v[130:131]
	s_cbranch_execz .LBB125_1192
	s_branch .LBB125_1193
.LBB125_1191:
                                        ; implicit-def: $vgpr125_vgpr126
.LBB125_1192:
	ds_read_b64 v[125:126], v128
.LBB125_1193:
	v_cmp_ne_u32_e32 vcc, 59, v0
	s_and_saveexec_b64 s[10:11], vcc
	s_cbranch_execz .LBB125_1197
; %bb.1194:
	s_mov_b32 s12, 0
	v_add_u32_e32 v130, 0x1f8, v127
	v_add3_u32 v131, v127, s12, 8
	s_mov_b64 s[12:13], 0
	v_mov_b32_e32 v132, v0
.LBB125_1195:                           ; =>This Inner Loop Header: Depth=1
	buffer_load_dword v133, v131, s[0:3], 0 offen
	buffer_load_dword v134, v131, s[0:3], 0 offen offset:4
	ds_read_b64 v[135:136], v130
	v_add_u32_e32 v132, 1, v132
	v_cmp_lt_u32_e32 vcc, 58, v132
	v_add_u32_e32 v130, 8, v130
	s_or_b64 s[12:13], vcc, s[12:13]
	v_add_u32_e32 v131, 8, v131
	s_waitcnt vmcnt(0) lgkmcnt(0)
	v_fma_f64 v[125:126], v[133:134], v[135:136], v[125:126]
	s_andn2_b64 exec, exec, s[12:13]
	s_cbranch_execnz .LBB125_1195
; %bb.1196:
	s_or_b64 exec, exec, s[12:13]
.LBB125_1197:
	s_or_b64 exec, exec, s[10:11]
	v_mov_b32_e32 v130, 0
	ds_read_b64 v[130:131], v130 offset:480
	s_waitcnt lgkmcnt(0)
	v_mul_f64 v[125:126], v[125:126], v[130:131]
	buffer_store_dword v126, off, s[0:3], 0 offset:484
	buffer_store_dword v125, off, s[0:3], 0 offset:480
.LBB125_1198:
	s_or_b64 exec, exec, s[8:9]
	buffer_load_dword v125, off, s[0:3], 0 offset:488
	buffer_load_dword v126, off, s[0:3], 0 offset:492
	v_cmp_ne_u32_e32 vcc, 61, v0
	s_waitcnt vmcnt(0)
	ds_write_b64 v128, v[125:126]
	s_waitcnt lgkmcnt(0)
	; wave barrier
	s_and_saveexec_b64 s[8:9], vcc
	s_cbranch_execz .LBB125_1208
; %bb.1199:
	s_and_b64 vcc, exec, s[4:5]
	s_cbranch_vccnz .LBB125_1201
; %bb.1200:
	buffer_load_dword v125, v129, s[0:3], 0 offen
	buffer_load_dword v126, v129, s[0:3], 0 offen offset:4
	ds_read_b64 v[129:130], v128
	s_waitcnt vmcnt(0) lgkmcnt(0)
	v_mul_f64 v[125:126], v[125:126], v[129:130]
	s_cbranch_execz .LBB125_1202
	s_branch .LBB125_1203
.LBB125_1201:
                                        ; implicit-def: $vgpr125_vgpr126
.LBB125_1202:
	ds_read_b64 v[125:126], v128
.LBB125_1203:
	s_and_saveexec_b64 s[4:5], s[6:7]
	s_cbranch_execz .LBB125_1207
; %bb.1204:
	s_mov_b32 s6, 0
	v_add_u32_e32 v128, 0x1f8, v127
	v_add3_u32 v127, v127, s6, 8
	s_mov_b64 s[6:7], 0
.LBB125_1205:                           ; =>This Inner Loop Header: Depth=1
	buffer_load_dword v129, v127, s[0:3], 0 offen
	buffer_load_dword v130, v127, s[0:3], 0 offen offset:4
	ds_read_b64 v[131:132], v128
	v_add_u32_e32 v0, 1, v0
	v_cmp_lt_u32_e32 vcc, 59, v0
	v_add_u32_e32 v128, 8, v128
	s_or_b64 s[6:7], vcc, s[6:7]
	v_add_u32_e32 v127, 8, v127
	s_waitcnt vmcnt(0) lgkmcnt(0)
	v_fma_f64 v[125:126], v[129:130], v[131:132], v[125:126]
	s_andn2_b64 exec, exec, s[6:7]
	s_cbranch_execnz .LBB125_1205
; %bb.1206:
	s_or_b64 exec, exec, s[6:7]
.LBB125_1207:
	s_or_b64 exec, exec, s[4:5]
	v_mov_b32_e32 v0, 0
	ds_read_b64 v[127:128], v0 offset:488
	s_waitcnt lgkmcnt(0)
	v_mul_f64 v[125:126], v[125:126], v[127:128]
	buffer_store_dword v126, off, s[0:3], 0 offset:492
	buffer_store_dword v125, off, s[0:3], 0 offset:488
.LBB125_1208:
	s_or_b64 exec, exec, s[8:9]
.LBB125_1209:
	buffer_load_dword v125, off, s[0:3], 0
	buffer_load_dword v126, off, s[0:3], 0 offset:4
	s_waitcnt vmcnt(0)
	flat_store_dwordx2 v[1:2], v[125:126]
	buffer_load_dword v0, off, s[0:3], 0 offset:8
	s_nop 0
	buffer_load_dword v1, off, s[0:3], 0 offset:12
	s_waitcnt vmcnt(0)
	flat_store_dwordx2 v[3:4], v[0:1]
	buffer_load_dword v0, off, s[0:3], 0 offset:16
	s_nop 0
	;; [unrolled: 5-line block ×61, first 2 shown]
	buffer_load_dword v1, off, s[0:3], 0 offset:492
	s_waitcnt vmcnt(0)
	flat_store_dwordx2 v[123:124], v[0:1]
.LBB125_1210:
	s_endpgm
	.section	.rodata,"a",@progbits
	.p2align	6, 0x0
	.amdhsa_kernel _ZN9rocsolver6v33100L18trti2_kernel_smallILi62EdPKPdEEv13rocblas_fill_17rocblas_diagonal_T1_iil
		.amdhsa_group_segment_fixed_size 992
		.amdhsa_private_segment_fixed_size 512
		.amdhsa_kernarg_size 32
		.amdhsa_user_sgpr_count 6
		.amdhsa_user_sgpr_private_segment_buffer 1
		.amdhsa_user_sgpr_dispatch_ptr 0
		.amdhsa_user_sgpr_queue_ptr 0
		.amdhsa_user_sgpr_kernarg_segment_ptr 1
		.amdhsa_user_sgpr_dispatch_id 0
		.amdhsa_user_sgpr_flat_scratch_init 0
		.amdhsa_user_sgpr_private_segment_size 0
		.amdhsa_uses_dynamic_stack 0
		.amdhsa_system_sgpr_private_segment_wavefront_offset 1
		.amdhsa_system_sgpr_workgroup_id_x 1
		.amdhsa_system_sgpr_workgroup_id_y 0
		.amdhsa_system_sgpr_workgroup_id_z 0
		.amdhsa_system_sgpr_workgroup_info 0
		.amdhsa_system_vgpr_workitem_id 0
		.amdhsa_next_free_vgpr 138
		.amdhsa_next_free_sgpr 75
		.amdhsa_reserve_vcc 1
		.amdhsa_reserve_flat_scratch 0
		.amdhsa_float_round_mode_32 0
		.amdhsa_float_round_mode_16_64 0
		.amdhsa_float_denorm_mode_32 3
		.amdhsa_float_denorm_mode_16_64 3
		.amdhsa_dx10_clamp 1
		.amdhsa_ieee_mode 1
		.amdhsa_fp16_overflow 0
		.amdhsa_exception_fp_ieee_invalid_op 0
		.amdhsa_exception_fp_denorm_src 0
		.amdhsa_exception_fp_ieee_div_zero 0
		.amdhsa_exception_fp_ieee_overflow 0
		.amdhsa_exception_fp_ieee_underflow 0
		.amdhsa_exception_fp_ieee_inexact 0
		.amdhsa_exception_int_div_zero 0
	.end_amdhsa_kernel
	.section	.text._ZN9rocsolver6v33100L18trti2_kernel_smallILi62EdPKPdEEv13rocblas_fill_17rocblas_diagonal_T1_iil,"axG",@progbits,_ZN9rocsolver6v33100L18trti2_kernel_smallILi62EdPKPdEEv13rocblas_fill_17rocblas_diagonal_T1_iil,comdat
.Lfunc_end125:
	.size	_ZN9rocsolver6v33100L18trti2_kernel_smallILi62EdPKPdEEv13rocblas_fill_17rocblas_diagonal_T1_iil, .Lfunc_end125-_ZN9rocsolver6v33100L18trti2_kernel_smallILi62EdPKPdEEv13rocblas_fill_17rocblas_diagonal_T1_iil
                                        ; -- End function
	.set _ZN9rocsolver6v33100L18trti2_kernel_smallILi62EdPKPdEEv13rocblas_fill_17rocblas_diagonal_T1_iil.num_vgpr, 138
	.set _ZN9rocsolver6v33100L18trti2_kernel_smallILi62EdPKPdEEv13rocblas_fill_17rocblas_diagonal_T1_iil.num_agpr, 0
	.set _ZN9rocsolver6v33100L18trti2_kernel_smallILi62EdPKPdEEv13rocblas_fill_17rocblas_diagonal_T1_iil.numbered_sgpr, 75
	.set _ZN9rocsolver6v33100L18trti2_kernel_smallILi62EdPKPdEEv13rocblas_fill_17rocblas_diagonal_T1_iil.num_named_barrier, 0
	.set _ZN9rocsolver6v33100L18trti2_kernel_smallILi62EdPKPdEEv13rocblas_fill_17rocblas_diagonal_T1_iil.private_seg_size, 512
	.set _ZN9rocsolver6v33100L18trti2_kernel_smallILi62EdPKPdEEv13rocblas_fill_17rocblas_diagonal_T1_iil.uses_vcc, 1
	.set _ZN9rocsolver6v33100L18trti2_kernel_smallILi62EdPKPdEEv13rocblas_fill_17rocblas_diagonal_T1_iil.uses_flat_scratch, 0
	.set _ZN9rocsolver6v33100L18trti2_kernel_smallILi62EdPKPdEEv13rocblas_fill_17rocblas_diagonal_T1_iil.has_dyn_sized_stack, 0
	.set _ZN9rocsolver6v33100L18trti2_kernel_smallILi62EdPKPdEEv13rocblas_fill_17rocblas_diagonal_T1_iil.has_recursion, 0
	.set _ZN9rocsolver6v33100L18trti2_kernel_smallILi62EdPKPdEEv13rocblas_fill_17rocblas_diagonal_T1_iil.has_indirect_call, 0
	.section	.AMDGPU.csdata,"",@progbits
; Kernel info:
; codeLenInByte = 37120
; TotalNumSgprs: 79
; NumVgprs: 138
; ScratchSize: 512
; MemoryBound: 0
; FloatMode: 240
; IeeeMode: 1
; LDSByteSize: 992 bytes/workgroup (compile time only)
; SGPRBlocks: 9
; VGPRBlocks: 34
; NumSGPRsForWavesPerEU: 79
; NumVGPRsForWavesPerEU: 138
; Occupancy: 1
; WaveLimiterHint : 1
; COMPUTE_PGM_RSRC2:SCRATCH_EN: 1
; COMPUTE_PGM_RSRC2:USER_SGPR: 6
; COMPUTE_PGM_RSRC2:TRAP_HANDLER: 0
; COMPUTE_PGM_RSRC2:TGID_X_EN: 1
; COMPUTE_PGM_RSRC2:TGID_Y_EN: 0
; COMPUTE_PGM_RSRC2:TGID_Z_EN: 0
; COMPUTE_PGM_RSRC2:TIDIG_COMP_CNT: 0
	.section	.text._ZN9rocsolver6v33100L18trti2_kernel_smallILi63EdPKPdEEv13rocblas_fill_17rocblas_diagonal_T1_iil,"axG",@progbits,_ZN9rocsolver6v33100L18trti2_kernel_smallILi63EdPKPdEEv13rocblas_fill_17rocblas_diagonal_T1_iil,comdat
	.globl	_ZN9rocsolver6v33100L18trti2_kernel_smallILi63EdPKPdEEv13rocblas_fill_17rocblas_diagonal_T1_iil ; -- Begin function _ZN9rocsolver6v33100L18trti2_kernel_smallILi63EdPKPdEEv13rocblas_fill_17rocblas_diagonal_T1_iil
	.p2align	8
	.type	_ZN9rocsolver6v33100L18trti2_kernel_smallILi63EdPKPdEEv13rocblas_fill_17rocblas_diagonal_T1_iil,@function
_ZN9rocsolver6v33100L18trti2_kernel_smallILi63EdPKPdEEv13rocblas_fill_17rocblas_diagonal_T1_iil: ; @_ZN9rocsolver6v33100L18trti2_kernel_smallILi63EdPKPdEEv13rocblas_fill_17rocblas_diagonal_T1_iil
; %bb.0:
	s_add_u32 s0, s0, s7
	s_addc_u32 s1, s1, 0
	v_cmp_gt_u32_e32 vcc, 63, v0
	s_and_saveexec_b64 s[8:9], vcc
	s_cbranch_execz .LBB126_1230
; %bb.1:
	s_load_dwordx2 s[12:13], s[4:5], 0x10
	s_load_dwordx4 s[8:11], s[4:5], 0x0
	s_ashr_i32 s7, s6, 31
	s_lshl_b64 s[6:7], s[6:7], 3
	v_lshlrev_b32_e32 v129, 3, v0
	s_waitcnt lgkmcnt(0)
	s_ashr_i32 s5, s12, 31
	s_add_u32 s6, s10, s6
	s_addc_u32 s7, s11, s7
	s_load_dwordx2 s[6:7], s[6:7], 0x0
	s_mov_b32 s4, s12
	s_lshl_b64 s[4:5], s[4:5], 3
	s_waitcnt lgkmcnt(0)
	s_add_u32 s4, s6, s4
	s_addc_u32 s5, s7, s5
	v_mov_b32_e32 v2, s5
	v_add_co_u32_e32 v1, vcc, s4, v129
	v_addc_co_u32_e32 v2, vcc, 0, v2, vcc
	flat_load_dwordx2 v[5:6], v[1:2]
	s_mov_b32 s6, s13
	s_ashr_i32 s7, s13, 31
	s_lshl_b64 s[6:7], s[6:7], 3
	v_mov_b32_e32 v4, s7
	v_add_co_u32_e32 v3, vcc, s6, v1
	v_addc_co_u32_e32 v4, vcc, v2, v4, vcc
	s_add_i32 s6, s13, s13
	v_add_u32_e32 v9, s6, v0
	v_ashrrev_i32_e32 v10, 31, v9
	v_mov_b32_e32 v11, s5
	v_add_u32_e32 v12, s13, v9
	v_ashrrev_i32_e32 v13, 31, v12
	v_mov_b32_e32 v14, s5
	v_mov_b32_e32 v15, s5
	;; [unrolled: 1-line block ×59, first 2 shown]
	s_cmpk_lg_i32 s9, 0x84
	s_cselect_b64 s[10:11], -1, 0
	s_cmpk_eq_i32 s9, 0x84
	s_waitcnt vmcnt(0) lgkmcnt(0)
	buffer_store_dword v6, off, s[0:3], 0 offset:4
	buffer_store_dword v5, off, s[0:3], 0
	flat_load_dwordx2 v[7:8], v[3:4]
	v_lshlrev_b64 v[5:6], 3, v[9:10]
	s_waitcnt vmcnt(0) lgkmcnt(0)
	buffer_store_dword v8, off, s[0:3], 0 offset:12
	buffer_store_dword v7, off, s[0:3], 0 offset:8
	v_add_co_u32_e32 v5, vcc, s4, v5
	v_addc_co_u32_e32 v6, vcc, v11, v6, vcc
	flat_load_dwordx2 v[10:11], v[5:6]
	v_lshlrev_b64 v[7:8], 3, v[12:13]
	s_waitcnt vmcnt(0) lgkmcnt(0)
	buffer_store_dword v11, off, s[0:3], 0 offset:20
	buffer_store_dword v10, off, s[0:3], 0 offset:16
	v_add_co_u32_e32 v7, vcc, s4, v7
	v_addc_co_u32_e32 v8, vcc, v14, v8, vcc
	flat_load_dwordx2 v[13:14], v[7:8]
	v_add_u32_e32 v11, s13, v12
	v_ashrrev_i32_e32 v12, 31, v11
	v_lshlrev_b64 v[9:10], 3, v[11:12]
	s_waitcnt vmcnt(0) lgkmcnt(0)
	buffer_store_dword v14, off, s[0:3], 0 offset:28
	buffer_store_dword v13, off, s[0:3], 0 offset:24
	v_add_co_u32_e32 v9, vcc, s4, v9
	v_addc_co_u32_e32 v10, vcc, v15, v10, vcc
	flat_load_dwordx2 v[13:14], v[9:10]
	v_add_u32_e32 v15, s13, v11
	v_ashrrev_i32_e32 v16, 31, v15
	v_lshlrev_b64 v[11:12], 3, v[15:16]
	v_add_u32_e32 v18, s13, v15
	v_add_co_u32_e32 v11, vcc, s4, v11
	v_addc_co_u32_e32 v12, vcc, v17, v12, vcc
	v_ashrrev_i32_e32 v19, 31, v18
	s_waitcnt vmcnt(0) lgkmcnt(0)
	buffer_store_dword v14, off, s[0:3], 0 offset:36
	buffer_store_dword v13, off, s[0:3], 0 offset:32
	flat_load_dwordx2 v[16:17], v[11:12]
	v_lshlrev_b64 v[13:14], 3, v[18:19]
	s_waitcnt vmcnt(0) lgkmcnt(0)
	buffer_store_dword v17, off, s[0:3], 0 offset:44
	buffer_store_dword v16, off, s[0:3], 0 offset:40
	v_add_co_u32_e32 v13, vcc, s4, v13
	v_addc_co_u32_e32 v14, vcc, v20, v14, vcc
	flat_load_dwordx2 v[19:20], v[13:14]
	v_add_u32_e32 v17, s13, v18
	v_ashrrev_i32_e32 v18, 31, v17
	v_lshlrev_b64 v[15:16], 3, v[17:18]
	s_waitcnt vmcnt(0) lgkmcnt(0)
	buffer_store_dword v20, off, s[0:3], 0 offset:52
	buffer_store_dword v19, off, s[0:3], 0 offset:48
	v_add_co_u32_e32 v15, vcc, s4, v15
	v_addc_co_u32_e32 v16, vcc, v21, v16, vcc
	flat_load_dwordx2 v[19:20], v[15:16]
	v_add_u32_e32 v21, s13, v17
	v_ashrrev_i32_e32 v22, 31, v21
	v_lshlrev_b64 v[17:18], 3, v[21:22]
	v_add_u32_e32 v24, s13, v21
	v_add_co_u32_e32 v17, vcc, s4, v17
	v_addc_co_u32_e32 v18, vcc, v23, v18, vcc
	v_ashrrev_i32_e32 v25, 31, v24
	s_waitcnt vmcnt(0) lgkmcnt(0)
	buffer_store_dword v20, off, s[0:3], 0 offset:60
	buffer_store_dword v19, off, s[0:3], 0 offset:56
	;; [unrolled: 27-line block ×7, first 2 shown]
	flat_load_dwordx2 v[52:53], v[47:48]
	v_lshlrev_b64 v[49:50], 3, v[54:55]
	s_waitcnt vmcnt(0) lgkmcnt(0)
	buffer_store_dword v53, off, s[0:3], 0 offset:188
	buffer_store_dword v52, off, s[0:3], 0 offset:184
	v_add_co_u32_e32 v49, vcc, s4, v49
	v_addc_co_u32_e32 v50, vcc, v56, v50, vcc
	flat_load_dwordx2 v[55:56], v[49:50]
	v_add_u32_e32 v53, s13, v54
	v_ashrrev_i32_e32 v54, 31, v53
	v_lshlrev_b64 v[51:52], 3, v[53:54]
	s_waitcnt vmcnt(0) lgkmcnt(0)
	buffer_store_dword v56, off, s[0:3], 0 offset:196
	buffer_store_dword v55, off, s[0:3], 0 offset:192
	v_add_co_u32_e32 v51, vcc, s4, v51
	v_addc_co_u32_e32 v52, vcc, v57, v52, vcc
	flat_load_dwordx2 v[55:56], v[51:52]
	v_add_u32_e32 v57, s13, v53
	v_ashrrev_i32_e32 v58, 31, v57
	v_lshlrev_b64 v[53:54], 3, v[57:58]
	v_add_u32_e32 v60, s13, v57
	v_add_co_u32_e32 v53, vcc, s4, v53
	v_addc_co_u32_e32 v54, vcc, v59, v54, vcc
	s_waitcnt vmcnt(0) lgkmcnt(0)
	buffer_store_dword v56, off, s[0:3], 0 offset:204
	buffer_store_dword v55, off, s[0:3], 0 offset:200
	flat_load_dwordx2 v[58:59], v[53:54]
	v_ashrrev_i32_e32 v61, 31, v60
	v_lshlrev_b64 v[55:56], 3, v[60:61]
	s_waitcnt vmcnt(0) lgkmcnt(0)
	buffer_store_dword v59, off, s[0:3], 0 offset:212
	buffer_store_dword v58, off, s[0:3], 0 offset:208
	v_add_co_u32_e32 v55, vcc, s4, v55
	v_addc_co_u32_e32 v56, vcc, v62, v56, vcc
	flat_load_dwordx2 v[61:62], v[55:56]
	v_add_u32_e32 v59, s13, v60
	v_ashrrev_i32_e32 v60, 31, v59
	v_lshlrev_b64 v[57:58], 3, v[59:60]
	s_waitcnt vmcnt(0) lgkmcnt(0)
	buffer_store_dword v62, off, s[0:3], 0 offset:220
	buffer_store_dword v61, off, s[0:3], 0 offset:216
	v_add_co_u32_e32 v57, vcc, s4, v57
	v_addc_co_u32_e32 v58, vcc, v63, v58, vcc
	flat_load_dwordx2 v[61:62], v[57:58]
	v_add_u32_e32 v63, s13, v59
	;; [unrolled: 9-line block ×35, first 2 shown]
	v_ashrrev_i32_e32 v126, 31, v125
	v_lshlrev_b64 v[125:126], 3, v[125:126]
	s_waitcnt vmcnt(0) lgkmcnt(0)
	buffer_store_dword v128, off, s[0:3], 0 offset:492
	buffer_store_dword v127, off, s[0:3], 0 offset:488
	v_add_co_u32_e32 v125, vcc, s4, v125
	v_addc_co_u32_e32 v126, vcc, v130, v126, vcc
	flat_load_dwordx2 v[130:131], v[125:126]
	v_mov_b32_e32 v127, 0
	v_mov_b32_e32 v128, 0xbff00000
	s_waitcnt vmcnt(0) lgkmcnt(0)
	buffer_store_dword v131, off, s[0:3], 0 offset:500
	buffer_store_dword v130, off, s[0:3], 0 offset:496
	s_cbranch_scc1 .LBB126_3
; %bb.2:
	v_mov_b32_e32 v127, 0
	v_lshl_add_u32 v138, v0, 3, v127
	buffer_load_dword v127, v138, s[0:3], 0 offen
	buffer_load_dword v128, v138, s[0:3], 0 offen offset:4
	s_waitcnt vmcnt(0)
	v_div_scale_f64 v[130:131], s[4:5], v[127:128], v[127:128], 1.0
	v_rcp_f64_e32 v[132:133], v[130:131]
	v_fma_f64 v[134:135], -v[130:131], v[132:133], 1.0
	v_fma_f64 v[132:133], v[132:133], v[134:135], v[132:133]
	v_div_scale_f64 v[134:135], vcc, 1.0, v[127:128], 1.0
	v_fma_f64 v[136:137], -v[130:131], v[132:133], 1.0
	v_fma_f64 v[132:133], v[132:133], v[136:137], v[132:133]
	v_mul_f64 v[136:137], v[134:135], v[132:133]
	v_fma_f64 v[130:131], -v[130:131], v[136:137], v[134:135]
	v_div_fmas_f64 v[130:131], v[130:131], v[132:133], v[136:137]
	v_div_fixup_f64 v[127:128], v[130:131], v[127:128], 1.0
	buffer_store_dword v127, v138, s[0:3], 0 offen
	buffer_store_dword v128, v138, s[0:3], 0 offen offset:4
	v_xor_b32_e32 v128, 0x80000000, v128
.LBB126_3:
	s_cmpk_eq_i32 s8, 0x79
	v_or_b32_e32 v130, 0x200, v129
	v_mov_b32_e32 v131, v129
	s_mov_b64 s[4:5], -1
	ds_write_b64 v129, v[127:128]
	s_cbranch_scc1 .LBB126_617
; %bb.4:
	buffer_load_dword v127, off, s[0:3], 0 offset:488
	buffer_load_dword v128, off, s[0:3], 0 offset:492
	s_movk_i32 s12, 0x48
	s_movk_i32 s13, 0x50
	;; [unrolled: 1-line block ×52, first 2 shown]
	v_cmp_eq_u32_e64 s[4:5], 62, v0
	s_waitcnt vmcnt(0)
	ds_write_b64 v130, v[127:128]
	s_waitcnt lgkmcnt(0)
	; wave barrier
	s_and_saveexec_b64 s[6:7], s[4:5]
	s_cbranch_execz .LBB126_10
; %bb.5:
	s_and_b64 vcc, exec, s[10:11]
	s_cbranch_vccz .LBB126_7
; %bb.6:
	buffer_load_dword v127, v131, s[0:3], 0 offen
	buffer_load_dword v128, v131, s[0:3], 0 offen offset:4
	ds_read_b64 v[132:133], v130
	s_waitcnt vmcnt(0) lgkmcnt(0)
	v_mul_f64 v[127:128], v[127:128], v[132:133]
	s_cbranch_execz .LBB126_8
	s_branch .LBB126_9
.LBB126_7:
                                        ; implicit-def: $vgpr127_vgpr128
.LBB126_8:
	ds_read_b64 v[127:128], v130
.LBB126_9:
	v_mov_b32_e32 v132, 0
	ds_read_b64 v[132:133], v132 offset:488
	s_waitcnt lgkmcnt(0)
	v_mul_f64 v[127:128], v[127:128], v[132:133]
	buffer_store_dword v128, off, s[0:3], 0 offset:492
	buffer_store_dword v127, off, s[0:3], 0 offset:488
.LBB126_10:
	s_or_b64 exec, exec, s[6:7]
	buffer_load_dword v127, off, s[0:3], 0 offset:480
	buffer_load_dword v128, off, s[0:3], 0 offset:484
	s_or_b32 s14, 0, 8
	s_mov_b32 s15, 16
	s_mov_b32 s16, 24
	;; [unrolled: 1-line block ×9, first 2 shown]
	v_cmp_lt_u32_e64 s[6:7], 60, v0
	s_waitcnt vmcnt(0)
	ds_write_b64 v130, v[127:128]
	s_waitcnt lgkmcnt(0)
	; wave barrier
	s_and_saveexec_b64 s[8:9], s[6:7]
	s_cbranch_execz .LBB126_16
; %bb.11:
	s_andn2_b64 vcc, exec, s[10:11]
	s_cbranch_vccnz .LBB126_13
; %bb.12:
	buffer_load_dword v127, v131, s[0:3], 0 offen
	buffer_load_dword v128, v131, s[0:3], 0 offen offset:4
	ds_read_b64 v[132:133], v130
	s_waitcnt vmcnt(0) lgkmcnt(0)
	v_mul_f64 v[127:128], v[127:128], v[132:133]
	s_cbranch_execz .LBB126_14
	s_branch .LBB126_15
.LBB126_13:
                                        ; implicit-def: $vgpr127_vgpr128
.LBB126_14:
	ds_read_b64 v[127:128], v130
.LBB126_15:
	buffer_load_dword v136, off, s[0:3], 0 offset:488
	buffer_load_dword v137, off, s[0:3], 0 offset:492
	v_mov_b32_e32 v132, 0
	ds_read2_b64 v[132:135], v132 offset0:60 offset1:125
	s_waitcnt vmcnt(0) lgkmcnt(0)
	v_fma_f64 v[134:135], v[136:137], v[134:135], v[127:128]
	v_cndmask_b32_e64 v128, v128, v135, s[4:5]
	v_cndmask_b32_e64 v127, v127, v134, s[4:5]
	v_mul_f64 v[127:128], v[127:128], v[132:133]
	buffer_store_dword v128, off, s[0:3], 0 offset:484
	buffer_store_dword v127, off, s[0:3], 0 offset:480
.LBB126_16:
	s_or_b64 exec, exec, s[8:9]
	buffer_load_dword v127, off, s[0:3], 0 offset:472
	buffer_load_dword v128, off, s[0:3], 0 offset:476
	v_cmp_lt_u32_e64 s[4:5], 59, v0
	s_waitcnt vmcnt(0)
	ds_write_b64 v130, v[127:128]
	s_waitcnt lgkmcnt(0)
	; wave barrier
	s_and_saveexec_b64 s[8:9], s[4:5]
	s_cbranch_execz .LBB126_26
; %bb.17:
	s_andn2_b64 vcc, exec, s[10:11]
	s_cbranch_vccnz .LBB126_19
; %bb.18:
	buffer_load_dword v127, v131, s[0:3], 0 offen
	buffer_load_dword v128, v131, s[0:3], 0 offen offset:4
	ds_read_b64 v[132:133], v130
	s_waitcnt vmcnt(0) lgkmcnt(0)
	v_mul_f64 v[127:128], v[127:128], v[132:133]
	s_cbranch_execz .LBB126_20
	s_branch .LBB126_21
.LBB126_19:
                                        ; implicit-def: $vgpr127_vgpr128
.LBB126_20:
	ds_read_b64 v[127:128], v130
.LBB126_21:
	s_and_saveexec_b64 s[12:13], s[6:7]
	s_cbranch_execz .LBB126_25
; %bb.22:
	v_subrev_u32_e32 v132, 60, v0
	s_movk_i32 s75, 0x3e0
	s_mov_b64 s[6:7], 0
.LBB126_23:                             ; =>This Inner Loop Header: Depth=1
	v_mov_b32_e32 v134, s74
	buffer_load_dword v133, v134, s[0:3], 0 offen
	s_nop 0
	buffer_load_dword v134, v134, s[0:3], 0 offen offset:4
	v_mov_b32_e32 v135, s75
	ds_read_b64 v[135:136], v135
	v_add_u32_e32 v132, -1, v132
	s_add_i32 s75, s75, 8
	s_add_i32 s74, s74, 8
	v_cmp_eq_u32_e32 vcc, 0, v132
	s_or_b64 s[6:7], vcc, s[6:7]
	s_waitcnt vmcnt(0) lgkmcnt(0)
	v_fma_f64 v[127:128], v[133:134], v[135:136], v[127:128]
	s_andn2_b64 exec, exec, s[6:7]
	s_cbranch_execnz .LBB126_23
; %bb.24:
	s_or_b64 exec, exec, s[6:7]
.LBB126_25:
	s_or_b64 exec, exec, s[12:13]
	v_mov_b32_e32 v132, 0
	ds_read_b64 v[132:133], v132 offset:472
	s_waitcnt lgkmcnt(0)
	v_mul_f64 v[127:128], v[127:128], v[132:133]
	buffer_store_dword v128, off, s[0:3], 0 offset:476
	buffer_store_dword v127, off, s[0:3], 0 offset:472
.LBB126_26:
	s_or_b64 exec, exec, s[8:9]
	buffer_load_dword v127, off, s[0:3], 0 offset:464
	buffer_load_dword v128, off, s[0:3], 0 offset:468
	v_cmp_lt_u32_e64 s[6:7], 58, v0
	s_waitcnt vmcnt(0)
	ds_write_b64 v130, v[127:128]
	s_waitcnt lgkmcnt(0)
	; wave barrier
	s_and_saveexec_b64 s[8:9], s[6:7]
	s_cbranch_execz .LBB126_36
; %bb.27:
	s_andn2_b64 vcc, exec, s[10:11]
	s_cbranch_vccnz .LBB126_29
; %bb.28:
	buffer_load_dword v127, v131, s[0:3], 0 offen
	buffer_load_dword v128, v131, s[0:3], 0 offen offset:4
	ds_read_b64 v[132:133], v130
	s_waitcnt vmcnt(0) lgkmcnt(0)
	v_mul_f64 v[127:128], v[127:128], v[132:133]
	s_cbranch_execz .LBB126_30
	s_branch .LBB126_31
.LBB126_29:
                                        ; implicit-def: $vgpr127_vgpr128
.LBB126_30:
	ds_read_b64 v[127:128], v130
.LBB126_31:
	s_and_saveexec_b64 s[12:13], s[4:5]
	s_cbranch_execz .LBB126_35
; %bb.32:
	v_subrev_u32_e32 v132, 59, v0
	s_movk_i32 s74, 0x3d8
	s_mov_b64 s[4:5], 0
.LBB126_33:                             ; =>This Inner Loop Header: Depth=1
	v_mov_b32_e32 v134, s73
	buffer_load_dword v133, v134, s[0:3], 0 offen
	s_nop 0
	buffer_load_dword v134, v134, s[0:3], 0 offen offset:4
	v_mov_b32_e32 v135, s74
	ds_read_b64 v[135:136], v135
	v_add_u32_e32 v132, -1, v132
	s_add_i32 s74, s74, 8
	s_add_i32 s73, s73, 8
	v_cmp_eq_u32_e32 vcc, 0, v132
	s_or_b64 s[4:5], vcc, s[4:5]
	s_waitcnt vmcnt(0) lgkmcnt(0)
	v_fma_f64 v[127:128], v[133:134], v[135:136], v[127:128]
	s_andn2_b64 exec, exec, s[4:5]
	s_cbranch_execnz .LBB126_33
; %bb.34:
	s_or_b64 exec, exec, s[4:5]
.LBB126_35:
	s_or_b64 exec, exec, s[12:13]
	v_mov_b32_e32 v132, 0
	ds_read_b64 v[132:133], v132 offset:464
	s_waitcnt lgkmcnt(0)
	v_mul_f64 v[127:128], v[127:128], v[132:133]
	buffer_store_dword v128, off, s[0:3], 0 offset:468
	buffer_store_dword v127, off, s[0:3], 0 offset:464
.LBB126_36:
	;; [unrolled: 59-line block ×8, first 2 shown]
	s_or_b64 exec, exec, s[8:9]
	buffer_load_dword v127, off, s[0:3], 0 offset:408
	buffer_load_dword v128, off, s[0:3], 0 offset:412
	v_cmp_lt_u32_e64 s[4:5], 51, v0
	s_waitcnt vmcnt(0)
	ds_write_b64 v130, v[127:128]
	s_waitcnt lgkmcnt(0)
	; wave barrier
	s_and_saveexec_b64 s[8:9], s[4:5]
	s_cbranch_execz .LBB126_106
; %bb.97:
	s_andn2_b64 vcc, exec, s[10:11]
	s_cbranch_vccnz .LBB126_99
; %bb.98:
	buffer_load_dword v127, v131, s[0:3], 0 offen
	buffer_load_dword v128, v131, s[0:3], 0 offen offset:4
	ds_read_b64 v[132:133], v130
	s_waitcnt vmcnt(0) lgkmcnt(0)
	v_mul_f64 v[127:128], v[127:128], v[132:133]
	s_cbranch_execz .LBB126_100
	s_branch .LBB126_101
.LBB126_99:
                                        ; implicit-def: $vgpr127_vgpr128
.LBB126_100:
	ds_read_b64 v[127:128], v130
.LBB126_101:
	s_and_saveexec_b64 s[12:13], s[6:7]
	s_cbranch_execz .LBB126_105
; %bb.102:
	v_subrev_u32_e32 v132, 52, v0
	s_movk_i32 s67, 0x3a0
	s_mov_b64 s[6:7], 0
.LBB126_103:                            ; =>This Inner Loop Header: Depth=1
	v_mov_b32_e32 v134, s66
	buffer_load_dword v133, v134, s[0:3], 0 offen
	s_nop 0
	buffer_load_dword v134, v134, s[0:3], 0 offen offset:4
	v_mov_b32_e32 v135, s67
	ds_read_b64 v[135:136], v135
	v_add_u32_e32 v132, -1, v132
	s_add_i32 s67, s67, 8
	s_add_i32 s66, s66, 8
	v_cmp_eq_u32_e32 vcc, 0, v132
	s_or_b64 s[6:7], vcc, s[6:7]
	s_waitcnt vmcnt(0) lgkmcnt(0)
	v_fma_f64 v[127:128], v[133:134], v[135:136], v[127:128]
	s_andn2_b64 exec, exec, s[6:7]
	s_cbranch_execnz .LBB126_103
; %bb.104:
	s_or_b64 exec, exec, s[6:7]
.LBB126_105:
	s_or_b64 exec, exec, s[12:13]
	v_mov_b32_e32 v132, 0
	ds_read_b64 v[132:133], v132 offset:408
	s_waitcnt lgkmcnt(0)
	v_mul_f64 v[127:128], v[127:128], v[132:133]
	buffer_store_dword v128, off, s[0:3], 0 offset:412
	buffer_store_dword v127, off, s[0:3], 0 offset:408
.LBB126_106:
	s_or_b64 exec, exec, s[8:9]
	buffer_load_dword v127, off, s[0:3], 0 offset:400
	buffer_load_dword v128, off, s[0:3], 0 offset:404
	v_cmp_lt_u32_e64 s[6:7], 50, v0
	s_waitcnt vmcnt(0)
	ds_write_b64 v130, v[127:128]
	s_waitcnt lgkmcnt(0)
	; wave barrier
	s_and_saveexec_b64 s[8:9], s[6:7]
	s_cbranch_execz .LBB126_116
; %bb.107:
	s_andn2_b64 vcc, exec, s[10:11]
	s_cbranch_vccnz .LBB126_109
; %bb.108:
	buffer_load_dword v127, v131, s[0:3], 0 offen
	buffer_load_dword v128, v131, s[0:3], 0 offen offset:4
	ds_read_b64 v[132:133], v130
	s_waitcnt vmcnt(0) lgkmcnt(0)
	v_mul_f64 v[127:128], v[127:128], v[132:133]
	s_cbranch_execz .LBB126_110
	s_branch .LBB126_111
.LBB126_109:
                                        ; implicit-def: $vgpr127_vgpr128
.LBB126_110:
	ds_read_b64 v[127:128], v130
.LBB126_111:
	s_and_saveexec_b64 s[12:13], s[4:5]
	s_cbranch_execz .LBB126_115
; %bb.112:
	v_subrev_u32_e32 v132, 51, v0
	s_movk_i32 s66, 0x398
	s_mov_b64 s[4:5], 0
.LBB126_113:                            ; =>This Inner Loop Header: Depth=1
	v_mov_b32_e32 v134, s65
	buffer_load_dword v133, v134, s[0:3], 0 offen
	s_nop 0
	buffer_load_dword v134, v134, s[0:3], 0 offen offset:4
	v_mov_b32_e32 v135, s66
	ds_read_b64 v[135:136], v135
	v_add_u32_e32 v132, -1, v132
	s_add_i32 s66, s66, 8
	s_add_i32 s65, s65, 8
	v_cmp_eq_u32_e32 vcc, 0, v132
	s_or_b64 s[4:5], vcc, s[4:5]
	s_waitcnt vmcnt(0) lgkmcnt(0)
	v_fma_f64 v[127:128], v[133:134], v[135:136], v[127:128]
	s_andn2_b64 exec, exec, s[4:5]
	s_cbranch_execnz .LBB126_113
; %bb.114:
	s_or_b64 exec, exec, s[4:5]
.LBB126_115:
	s_or_b64 exec, exec, s[12:13]
	v_mov_b32_e32 v132, 0
	ds_read_b64 v[132:133], v132 offset:400
	s_waitcnt lgkmcnt(0)
	v_mul_f64 v[127:128], v[127:128], v[132:133]
	buffer_store_dword v128, off, s[0:3], 0 offset:404
	buffer_store_dword v127, off, s[0:3], 0 offset:400
.LBB126_116:
	;; [unrolled: 59-line block ×36, first 2 shown]
	s_or_b64 exec, exec, s[8:9]
	buffer_load_dword v127, off, s[0:3], 0 offset:120
	buffer_load_dword v128, off, s[0:3], 0 offset:124
	v_cmp_lt_u32_e64 s[4:5], 15, v0
	s_waitcnt vmcnt(0)
	ds_write_b64 v130, v[127:128]
	s_waitcnt lgkmcnt(0)
	; wave barrier
	s_and_saveexec_b64 s[8:9], s[4:5]
	s_cbranch_execz .LBB126_466
; %bb.457:
	s_andn2_b64 vcc, exec, s[10:11]
	s_cbranch_vccnz .LBB126_459
; %bb.458:
	buffer_load_dword v127, v131, s[0:3], 0 offen
	buffer_load_dword v128, v131, s[0:3], 0 offen offset:4
	ds_read_b64 v[132:133], v130
	s_waitcnt vmcnt(0) lgkmcnt(0)
	v_mul_f64 v[127:128], v[127:128], v[132:133]
	s_cbranch_execz .LBB126_460
	s_branch .LBB126_461
.LBB126_459:
                                        ; implicit-def: $vgpr127_vgpr128
.LBB126_460:
	ds_read_b64 v[127:128], v130
.LBB126_461:
	s_and_saveexec_b64 s[12:13], s[6:7]
	s_cbranch_execz .LBB126_465
; %bb.462:
	v_add_u32_e32 v132, -16, v0
	s_movk_i32 s30, 0x280
	s_mov_b64 s[6:7], 0
.LBB126_463:                            ; =>This Inner Loop Header: Depth=1
	v_mov_b32_e32 v134, s29
	buffer_load_dword v133, v134, s[0:3], 0 offen
	s_nop 0
	buffer_load_dword v134, v134, s[0:3], 0 offen offset:4
	v_mov_b32_e32 v135, s30
	ds_read_b64 v[135:136], v135
	v_add_u32_e32 v132, -1, v132
	s_add_i32 s30, s30, 8
	s_add_i32 s29, s29, 8
	v_cmp_eq_u32_e32 vcc, 0, v132
	s_or_b64 s[6:7], vcc, s[6:7]
	s_waitcnt vmcnt(0) lgkmcnt(0)
	v_fma_f64 v[127:128], v[133:134], v[135:136], v[127:128]
	s_andn2_b64 exec, exec, s[6:7]
	s_cbranch_execnz .LBB126_463
; %bb.464:
	s_or_b64 exec, exec, s[6:7]
.LBB126_465:
	s_or_b64 exec, exec, s[12:13]
	v_mov_b32_e32 v132, 0
	ds_read_b64 v[132:133], v132 offset:120
	s_waitcnt lgkmcnt(0)
	v_mul_f64 v[127:128], v[127:128], v[132:133]
	buffer_store_dword v128, off, s[0:3], 0 offset:124
	buffer_store_dword v127, off, s[0:3], 0 offset:120
.LBB126_466:
	s_or_b64 exec, exec, s[8:9]
	buffer_load_dword v127, off, s[0:3], 0 offset:112
	buffer_load_dword v128, off, s[0:3], 0 offset:116
	v_cmp_lt_u32_e64 s[6:7], 14, v0
	s_waitcnt vmcnt(0)
	ds_write_b64 v130, v[127:128]
	s_waitcnt lgkmcnt(0)
	; wave barrier
	s_and_saveexec_b64 s[8:9], s[6:7]
	s_cbranch_execz .LBB126_476
; %bb.467:
	s_andn2_b64 vcc, exec, s[10:11]
	s_cbranch_vccnz .LBB126_469
; %bb.468:
	buffer_load_dword v127, v131, s[0:3], 0 offen
	buffer_load_dword v128, v131, s[0:3], 0 offen offset:4
	ds_read_b64 v[132:133], v130
	s_waitcnt vmcnt(0) lgkmcnt(0)
	v_mul_f64 v[127:128], v[127:128], v[132:133]
	s_cbranch_execz .LBB126_470
	s_branch .LBB126_471
.LBB126_469:
                                        ; implicit-def: $vgpr127_vgpr128
.LBB126_470:
	ds_read_b64 v[127:128], v130
.LBB126_471:
	s_and_saveexec_b64 s[12:13], s[4:5]
	s_cbranch_execz .LBB126_475
; %bb.472:
	v_add_u32_e32 v132, -15, v0
	s_movk_i32 s29, 0x278
	s_mov_b64 s[4:5], 0
.LBB126_473:                            ; =>This Inner Loop Header: Depth=1
	v_mov_b32_e32 v134, s28
	buffer_load_dword v133, v134, s[0:3], 0 offen
	s_nop 0
	buffer_load_dword v134, v134, s[0:3], 0 offen offset:4
	v_mov_b32_e32 v135, s29
	ds_read_b64 v[135:136], v135
	v_add_u32_e32 v132, -1, v132
	s_add_i32 s29, s29, 8
	s_add_i32 s28, s28, 8
	v_cmp_eq_u32_e32 vcc, 0, v132
	s_or_b64 s[4:5], vcc, s[4:5]
	s_waitcnt vmcnt(0) lgkmcnt(0)
	v_fma_f64 v[127:128], v[133:134], v[135:136], v[127:128]
	s_andn2_b64 exec, exec, s[4:5]
	s_cbranch_execnz .LBB126_473
; %bb.474:
	s_or_b64 exec, exec, s[4:5]
.LBB126_475:
	s_or_b64 exec, exec, s[12:13]
	v_mov_b32_e32 v132, 0
	ds_read_b64 v[132:133], v132 offset:112
	s_waitcnt lgkmcnt(0)
	v_mul_f64 v[127:128], v[127:128], v[132:133]
	buffer_store_dword v128, off, s[0:3], 0 offset:116
	buffer_store_dword v127, off, s[0:3], 0 offset:112
.LBB126_476:
	;; [unrolled: 59-line block ×15, first 2 shown]
	s_or_b64 exec, exec, s[8:9]
	buffer_load_dword v127, off, s[0:3], 0
	buffer_load_dword v128, off, s[0:3], 0 offset:4
	v_cmp_ne_u32_e32 vcc, 0, v0
	s_waitcnt vmcnt(0)
	ds_write_b64 v130, v[127:128]
	s_waitcnt lgkmcnt(0)
	; wave barrier
	s_and_saveexec_b64 s[6:7], vcc
	s_cbranch_execz .LBB126_616
; %bb.607:
	s_andn2_b64 vcc, exec, s[10:11]
	s_cbranch_vccnz .LBB126_609
; %bb.608:
	buffer_load_dword v127, v131, s[0:3], 0 offen
	buffer_load_dword v128, v131, s[0:3], 0 offen offset:4
	ds_read_b64 v[132:133], v130
	s_waitcnt vmcnt(0) lgkmcnt(0)
	v_mul_f64 v[127:128], v[127:128], v[132:133]
	s_cbranch_execz .LBB126_610
	s_branch .LBB126_611
.LBB126_609:
                                        ; implicit-def: $vgpr127_vgpr128
.LBB126_610:
	ds_read_b64 v[127:128], v130
.LBB126_611:
	s_and_saveexec_b64 s[8:9], s[4:5]
	s_cbranch_execz .LBB126_615
; %bb.612:
	v_add_u32_e32 v132, -1, v0
	s_movk_i32 s12, 0x208
	s_mov_b64 s[4:5], 0
.LBB126_613:                            ; =>This Inner Loop Header: Depth=1
	v_mov_b32_e32 v134, s14
	buffer_load_dword v133, v134, s[0:3], 0 offen
	s_nop 0
	buffer_load_dword v134, v134, s[0:3], 0 offen offset:4
	v_mov_b32_e32 v135, s12
	ds_read_b64 v[135:136], v135
	v_add_u32_e32 v132, -1, v132
	s_add_i32 s12, s12, 8
	s_add_i32 s14, s14, 8
	v_cmp_eq_u32_e32 vcc, 0, v132
	s_or_b64 s[4:5], vcc, s[4:5]
	s_waitcnt vmcnt(0) lgkmcnt(0)
	v_fma_f64 v[127:128], v[133:134], v[135:136], v[127:128]
	s_andn2_b64 exec, exec, s[4:5]
	s_cbranch_execnz .LBB126_613
; %bb.614:
	s_or_b64 exec, exec, s[4:5]
.LBB126_615:
	s_or_b64 exec, exec, s[8:9]
	v_mov_b32_e32 v132, 0
	ds_read_b64 v[132:133], v132
	s_waitcnt lgkmcnt(0)
	v_mul_f64 v[127:128], v[127:128], v[132:133]
	buffer_store_dword v128, off, s[0:3], 0 offset:4
	buffer_store_dword v127, off, s[0:3], 0
.LBB126_616:
	s_or_b64 exec, exec, s[6:7]
	s_mov_b64 s[4:5], 0
.LBB126_617:
	s_and_b64 vcc, exec, s[4:5]
	s_cbranch_vccz .LBB126_1229
; %bb.618:
	buffer_load_dword v127, off, s[0:3], 0 offset:8
	buffer_load_dword v128, off, s[0:3], 0 offset:12
	v_cmp_eq_u32_e64 s[6:7], 0, v0
	s_waitcnt vmcnt(0)
	ds_write_b64 v130, v[127:128]
	s_waitcnt lgkmcnt(0)
	; wave barrier
	s_and_saveexec_b64 s[4:5], s[6:7]
	s_cbranch_execz .LBB126_624
; %bb.619:
	s_and_b64 vcc, exec, s[10:11]
	s_cbranch_vccz .LBB126_621
; %bb.620:
	buffer_load_dword v127, v131, s[0:3], 0 offen
	buffer_load_dword v128, v131, s[0:3], 0 offen offset:4
	ds_read_b64 v[132:133], v130
	s_waitcnt vmcnt(0) lgkmcnt(0)
	v_mul_f64 v[127:128], v[127:128], v[132:133]
	s_cbranch_execz .LBB126_622
	s_branch .LBB126_623
.LBB126_621:
                                        ; implicit-def: $vgpr127_vgpr128
.LBB126_622:
	ds_read_b64 v[127:128], v130
.LBB126_623:
	v_mov_b32_e32 v132, 0
	ds_read_b64 v[132:133], v132 offset:8
	s_waitcnt lgkmcnt(0)
	v_mul_f64 v[127:128], v[127:128], v[132:133]
	buffer_store_dword v128, off, s[0:3], 0 offset:12
	buffer_store_dword v127, off, s[0:3], 0 offset:8
.LBB126_624:
	s_or_b64 exec, exec, s[4:5]
	buffer_load_dword v127, off, s[0:3], 0 offset:16
	buffer_load_dword v128, off, s[0:3], 0 offset:20
	v_cndmask_b32_e64 v132, 0, 1, s[10:11]
	v_cmp_gt_u32_e32 vcc, 2, v0
	v_cmp_ne_u32_e64 s[4:5], 1, v132
	s_waitcnt vmcnt(0)
	ds_write_b64 v130, v[127:128]
	s_waitcnt lgkmcnt(0)
	; wave barrier
	s_and_saveexec_b64 s[8:9], vcc
	s_cbranch_execz .LBB126_630
; %bb.625:
	s_and_b64 vcc, exec, s[4:5]
	s_cbranch_vccnz .LBB126_627
; %bb.626:
	buffer_load_dword v127, v131, s[0:3], 0 offen
	buffer_load_dword v128, v131, s[0:3], 0 offen offset:4
	ds_read_b64 v[132:133], v130
	s_waitcnt vmcnt(0) lgkmcnt(0)
	v_mul_f64 v[127:128], v[127:128], v[132:133]
	s_cbranch_execz .LBB126_628
	s_branch .LBB126_629
.LBB126_627:
                                        ; implicit-def: $vgpr127_vgpr128
.LBB126_628:
	ds_read_b64 v[127:128], v130
.LBB126_629:
	buffer_load_dword v136, off, s[0:3], 0 offset:8
	buffer_load_dword v137, off, s[0:3], 0 offset:12
	v_mov_b32_e32 v132, 0
	ds_read2_b64 v[132:135], v132 offset0:2 offset1:65
	s_waitcnt vmcnt(0) lgkmcnt(0)
	v_fma_f64 v[134:135], v[136:137], v[134:135], v[127:128]
	v_cndmask_b32_e64 v128, v128, v135, s[6:7]
	v_cndmask_b32_e64 v127, v127, v134, s[6:7]
	v_mul_f64 v[127:128], v[127:128], v[132:133]
	buffer_store_dword v128, off, s[0:3], 0 offset:20
	buffer_store_dword v127, off, s[0:3], 0 offset:16
.LBB126_630:
	s_or_b64 exec, exec, s[8:9]
	buffer_load_dword v127, off, s[0:3], 0 offset:24
	buffer_load_dword v128, off, s[0:3], 0 offset:28
	v_cmp_gt_u32_e32 vcc, 3, v0
	s_waitcnt vmcnt(0)
	ds_write_b64 v130, v[127:128]
	s_waitcnt lgkmcnt(0)
	; wave barrier
	s_and_saveexec_b64 s[8:9], vcc
	s_cbranch_execz .LBB126_638
; %bb.631:
	s_and_b64 vcc, exec, s[4:5]
	s_cbranch_vccnz .LBB126_633
; %bb.632:
	buffer_load_dword v127, v131, s[0:3], 0 offen
	buffer_load_dword v128, v131, s[0:3], 0 offen offset:4
	ds_read_b64 v[132:133], v130
	s_waitcnt vmcnt(0) lgkmcnt(0)
	v_mul_f64 v[127:128], v[127:128], v[132:133]
	s_cbranch_execz .LBB126_634
	s_branch .LBB126_635
.LBB126_633:
                                        ; implicit-def: $vgpr127_vgpr128
.LBB126_634:
	ds_read_b64 v[127:128], v130
.LBB126_635:
	v_cmp_ne_u32_e32 vcc, 2, v0
	s_and_saveexec_b64 s[10:11], vcc
	s_cbranch_execz .LBB126_637
; %bb.636:
	buffer_load_dword v132, v131, s[0:3], 0 offen offset:8
	buffer_load_dword v133, v131, s[0:3], 0 offen offset:12
	buffer_load_dword v134, off, s[0:3], 0 offset:16
	buffer_load_dword v135, off, s[0:3], 0 offset:20
	ds_read_b64 v[136:137], v130 offset:8
	v_mov_b32_e32 v138, 0
	ds_read_b64 v[138:139], v138 offset:528
	s_waitcnt vmcnt(2) lgkmcnt(1)
	v_fma_f64 v[127:128], v[132:133], v[136:137], v[127:128]
	s_waitcnt vmcnt(0) lgkmcnt(0)
	v_fma_f64 v[132:133], v[134:135], v[138:139], v[127:128]
	v_cndmask_b32_e64 v128, v128, v133, s[6:7]
	v_cndmask_b32_e64 v127, v127, v132, s[6:7]
.LBB126_637:
	s_or_b64 exec, exec, s[10:11]
	v_mov_b32_e32 v132, 0
	ds_read_b64 v[132:133], v132 offset:24
	s_waitcnt lgkmcnt(0)
	v_mul_f64 v[127:128], v[127:128], v[132:133]
	buffer_store_dword v128, off, s[0:3], 0 offset:28
	buffer_store_dword v127, off, s[0:3], 0 offset:24
.LBB126_638:
	s_or_b64 exec, exec, s[8:9]
	buffer_load_dword v127, off, s[0:3], 0 offset:32
	buffer_load_dword v128, off, s[0:3], 0 offset:36
	v_cmp_gt_u32_e32 vcc, 4, v0
	s_waitcnt vmcnt(0)
	ds_write_b64 v130, v[127:128]
	s_waitcnt lgkmcnt(0)
	; wave barrier
	s_and_saveexec_b64 s[6:7], vcc
	s_cbranch_execz .LBB126_648
; %bb.639:
	s_and_b64 vcc, exec, s[4:5]
	s_cbranch_vccnz .LBB126_641
; %bb.640:
	buffer_load_dword v127, v131, s[0:3], 0 offen
	buffer_load_dword v128, v131, s[0:3], 0 offen offset:4
	ds_read_b64 v[132:133], v130
	s_waitcnt vmcnt(0) lgkmcnt(0)
	v_mul_f64 v[127:128], v[127:128], v[132:133]
	s_cbranch_execz .LBB126_642
	s_branch .LBB126_643
.LBB126_641:
                                        ; implicit-def: $vgpr127_vgpr128
.LBB126_642:
	ds_read_b64 v[127:128], v130
.LBB126_643:
	v_cmp_ne_u32_e32 vcc, 3, v0
	s_and_saveexec_b64 s[8:9], vcc
	s_cbranch_execz .LBB126_647
; %bb.644:
	s_mov_b32 s10, 0
	v_add_u32_e32 v132, 0x208, v129
	v_add3_u32 v133, v129, s10, 8
	s_mov_b64 s[10:11], 0
	v_mov_b32_e32 v134, v0
.LBB126_645:                            ; =>This Inner Loop Header: Depth=1
	buffer_load_dword v135, v133, s[0:3], 0 offen
	buffer_load_dword v136, v133, s[0:3], 0 offen offset:4
	ds_read_b64 v[137:138], v132
	v_add_u32_e32 v134, 1, v134
	v_cmp_lt_u32_e32 vcc, 2, v134
	v_add_u32_e32 v132, 8, v132
	s_or_b64 s[10:11], vcc, s[10:11]
	v_add_u32_e32 v133, 8, v133
	s_waitcnt vmcnt(0) lgkmcnt(0)
	v_fma_f64 v[127:128], v[135:136], v[137:138], v[127:128]
	s_andn2_b64 exec, exec, s[10:11]
	s_cbranch_execnz .LBB126_645
; %bb.646:
	s_or_b64 exec, exec, s[10:11]
.LBB126_647:
	s_or_b64 exec, exec, s[8:9]
	v_mov_b32_e32 v132, 0
	ds_read_b64 v[132:133], v132 offset:32
	s_waitcnt lgkmcnt(0)
	v_mul_f64 v[127:128], v[127:128], v[132:133]
	buffer_store_dword v128, off, s[0:3], 0 offset:36
	buffer_store_dword v127, off, s[0:3], 0 offset:32
.LBB126_648:
	s_or_b64 exec, exec, s[6:7]
	buffer_load_dword v127, off, s[0:3], 0 offset:40
	buffer_load_dword v128, off, s[0:3], 0 offset:44
	v_cmp_gt_u32_e32 vcc, 5, v0
	s_waitcnt vmcnt(0)
	ds_write_b64 v130, v[127:128]
	s_waitcnt lgkmcnt(0)
	; wave barrier
	s_and_saveexec_b64 s[6:7], vcc
	s_cbranch_execz .LBB126_658
; %bb.649:
	s_and_b64 vcc, exec, s[4:5]
	s_cbranch_vccnz .LBB126_651
; %bb.650:
	buffer_load_dword v127, v131, s[0:3], 0 offen
	buffer_load_dword v128, v131, s[0:3], 0 offen offset:4
	ds_read_b64 v[132:133], v130
	s_waitcnt vmcnt(0) lgkmcnt(0)
	v_mul_f64 v[127:128], v[127:128], v[132:133]
	s_cbranch_execz .LBB126_652
	s_branch .LBB126_653
.LBB126_651:
                                        ; implicit-def: $vgpr127_vgpr128
.LBB126_652:
	ds_read_b64 v[127:128], v130
.LBB126_653:
	v_cmp_ne_u32_e32 vcc, 4, v0
	s_and_saveexec_b64 s[8:9], vcc
	s_cbranch_execz .LBB126_657
; %bb.654:
	s_mov_b32 s10, 0
	v_add_u32_e32 v132, 0x208, v129
	v_add3_u32 v133, v129, s10, 8
	s_mov_b64 s[10:11], 0
	v_mov_b32_e32 v134, v0
.LBB126_655:                            ; =>This Inner Loop Header: Depth=1
	buffer_load_dword v135, v133, s[0:3], 0 offen
	buffer_load_dword v136, v133, s[0:3], 0 offen offset:4
	ds_read_b64 v[137:138], v132
	v_add_u32_e32 v134, 1, v134
	v_cmp_lt_u32_e32 vcc, 3, v134
	v_add_u32_e32 v132, 8, v132
	s_or_b64 s[10:11], vcc, s[10:11]
	v_add_u32_e32 v133, 8, v133
	s_waitcnt vmcnt(0) lgkmcnt(0)
	v_fma_f64 v[127:128], v[135:136], v[137:138], v[127:128]
	s_andn2_b64 exec, exec, s[10:11]
	s_cbranch_execnz .LBB126_655
; %bb.656:
	s_or_b64 exec, exec, s[10:11]
.LBB126_657:
	s_or_b64 exec, exec, s[8:9]
	v_mov_b32_e32 v132, 0
	ds_read_b64 v[132:133], v132 offset:40
	s_waitcnt lgkmcnt(0)
	v_mul_f64 v[127:128], v[127:128], v[132:133]
	buffer_store_dword v128, off, s[0:3], 0 offset:44
	buffer_store_dword v127, off, s[0:3], 0 offset:40
.LBB126_658:
	;; [unrolled: 59-line block ×36, first 2 shown]
	s_or_b64 exec, exec, s[6:7]
	buffer_load_dword v127, off, s[0:3], 0 offset:320
	buffer_load_dword v128, off, s[0:3], 0 offset:324
	v_cmp_gt_u32_e32 vcc, 40, v0
	s_waitcnt vmcnt(0)
	ds_write_b64 v130, v[127:128]
	s_waitcnt lgkmcnt(0)
	; wave barrier
	s_and_saveexec_b64 s[6:7], vcc
	s_cbranch_execz .LBB126_1008
; %bb.999:
	s_and_b64 vcc, exec, s[4:5]
	s_cbranch_vccnz .LBB126_1001
; %bb.1000:
	buffer_load_dword v127, v131, s[0:3], 0 offen
	buffer_load_dword v128, v131, s[0:3], 0 offen offset:4
	ds_read_b64 v[132:133], v130
	s_waitcnt vmcnt(0) lgkmcnt(0)
	v_mul_f64 v[127:128], v[127:128], v[132:133]
	s_cbranch_execz .LBB126_1002
	s_branch .LBB126_1003
.LBB126_1001:
                                        ; implicit-def: $vgpr127_vgpr128
.LBB126_1002:
	ds_read_b64 v[127:128], v130
.LBB126_1003:
	v_cmp_ne_u32_e32 vcc, 39, v0
	s_and_saveexec_b64 s[8:9], vcc
	s_cbranch_execz .LBB126_1007
; %bb.1004:
	s_mov_b32 s10, 0
	v_add_u32_e32 v132, 0x208, v129
	v_add3_u32 v133, v129, s10, 8
	s_mov_b64 s[10:11], 0
	v_mov_b32_e32 v134, v0
.LBB126_1005:                           ; =>This Inner Loop Header: Depth=1
	buffer_load_dword v135, v133, s[0:3], 0 offen
	buffer_load_dword v136, v133, s[0:3], 0 offen offset:4
	ds_read_b64 v[137:138], v132
	v_add_u32_e32 v134, 1, v134
	v_cmp_lt_u32_e32 vcc, 38, v134
	v_add_u32_e32 v132, 8, v132
	s_or_b64 s[10:11], vcc, s[10:11]
	v_add_u32_e32 v133, 8, v133
	s_waitcnt vmcnt(0) lgkmcnt(0)
	v_fma_f64 v[127:128], v[135:136], v[137:138], v[127:128]
	s_andn2_b64 exec, exec, s[10:11]
	s_cbranch_execnz .LBB126_1005
; %bb.1006:
	s_or_b64 exec, exec, s[10:11]
.LBB126_1007:
	s_or_b64 exec, exec, s[8:9]
	v_mov_b32_e32 v132, 0
	ds_read_b64 v[132:133], v132 offset:320
	s_waitcnt lgkmcnt(0)
	v_mul_f64 v[127:128], v[127:128], v[132:133]
	buffer_store_dword v128, off, s[0:3], 0 offset:324
	buffer_store_dword v127, off, s[0:3], 0 offset:320
.LBB126_1008:
	s_or_b64 exec, exec, s[6:7]
	buffer_load_dword v127, off, s[0:3], 0 offset:328
	buffer_load_dword v128, off, s[0:3], 0 offset:332
	v_cmp_gt_u32_e32 vcc, 41, v0
	s_waitcnt vmcnt(0)
	ds_write_b64 v130, v[127:128]
	s_waitcnt lgkmcnt(0)
	; wave barrier
	s_and_saveexec_b64 s[6:7], vcc
	s_cbranch_execz .LBB126_1018
; %bb.1009:
	s_and_b64 vcc, exec, s[4:5]
	s_cbranch_vccnz .LBB126_1011
; %bb.1010:
	buffer_load_dword v127, v131, s[0:3], 0 offen
	buffer_load_dword v128, v131, s[0:3], 0 offen offset:4
	ds_read_b64 v[132:133], v130
	s_waitcnt vmcnt(0) lgkmcnt(0)
	v_mul_f64 v[127:128], v[127:128], v[132:133]
	s_cbranch_execz .LBB126_1012
	s_branch .LBB126_1013
.LBB126_1011:
                                        ; implicit-def: $vgpr127_vgpr128
.LBB126_1012:
	ds_read_b64 v[127:128], v130
.LBB126_1013:
	v_cmp_ne_u32_e32 vcc, 40, v0
	s_and_saveexec_b64 s[8:9], vcc
	s_cbranch_execz .LBB126_1017
; %bb.1014:
	s_mov_b32 s10, 0
	v_add_u32_e32 v132, 0x208, v129
	v_add3_u32 v133, v129, s10, 8
	s_mov_b64 s[10:11], 0
	v_mov_b32_e32 v134, v0
.LBB126_1015:                           ; =>This Inner Loop Header: Depth=1
	buffer_load_dword v135, v133, s[0:3], 0 offen
	buffer_load_dword v136, v133, s[0:3], 0 offen offset:4
	ds_read_b64 v[137:138], v132
	v_add_u32_e32 v134, 1, v134
	v_cmp_lt_u32_e32 vcc, 39, v134
	v_add_u32_e32 v132, 8, v132
	s_or_b64 s[10:11], vcc, s[10:11]
	v_add_u32_e32 v133, 8, v133
	s_waitcnt vmcnt(0) lgkmcnt(0)
	v_fma_f64 v[127:128], v[135:136], v[137:138], v[127:128]
	s_andn2_b64 exec, exec, s[10:11]
	s_cbranch_execnz .LBB126_1015
; %bb.1016:
	s_or_b64 exec, exec, s[10:11]
.LBB126_1017:
	s_or_b64 exec, exec, s[8:9]
	v_mov_b32_e32 v132, 0
	ds_read_b64 v[132:133], v132 offset:328
	s_waitcnt lgkmcnt(0)
	v_mul_f64 v[127:128], v[127:128], v[132:133]
	buffer_store_dword v128, off, s[0:3], 0 offset:332
	buffer_store_dword v127, off, s[0:3], 0 offset:328
.LBB126_1018:
	;; [unrolled: 59-line block ×21, first 2 shown]
	s_or_b64 exec, exec, s[6:7]
	buffer_load_dword v127, off, s[0:3], 0 offset:488
	buffer_load_dword v128, off, s[0:3], 0 offset:492
	v_cmp_gt_u32_e64 s[6:7], 61, v0
	s_waitcnt vmcnt(0)
	ds_write_b64 v130, v[127:128]
	s_waitcnt lgkmcnt(0)
	; wave barrier
	s_and_saveexec_b64 s[8:9], s[6:7]
	s_cbranch_execz .LBB126_1218
; %bb.1209:
	s_and_b64 vcc, exec, s[4:5]
	s_cbranch_vccnz .LBB126_1211
; %bb.1210:
	buffer_load_dword v127, v131, s[0:3], 0 offen
	buffer_load_dword v128, v131, s[0:3], 0 offen offset:4
	ds_read_b64 v[132:133], v130
	s_waitcnt vmcnt(0) lgkmcnt(0)
	v_mul_f64 v[127:128], v[127:128], v[132:133]
	s_cbranch_execz .LBB126_1212
	s_branch .LBB126_1213
.LBB126_1211:
                                        ; implicit-def: $vgpr127_vgpr128
.LBB126_1212:
	ds_read_b64 v[127:128], v130
.LBB126_1213:
	v_cmp_ne_u32_e32 vcc, 60, v0
	s_and_saveexec_b64 s[10:11], vcc
	s_cbranch_execz .LBB126_1217
; %bb.1214:
	s_mov_b32 s12, 0
	v_add_u32_e32 v132, 0x208, v129
	v_add3_u32 v133, v129, s12, 8
	s_mov_b64 s[12:13], 0
	v_mov_b32_e32 v134, v0
.LBB126_1215:                           ; =>This Inner Loop Header: Depth=1
	buffer_load_dword v135, v133, s[0:3], 0 offen
	buffer_load_dword v136, v133, s[0:3], 0 offen offset:4
	ds_read_b64 v[137:138], v132
	v_add_u32_e32 v134, 1, v134
	v_cmp_lt_u32_e32 vcc, 59, v134
	v_add_u32_e32 v132, 8, v132
	s_or_b64 s[12:13], vcc, s[12:13]
	v_add_u32_e32 v133, 8, v133
	s_waitcnt vmcnt(0) lgkmcnt(0)
	v_fma_f64 v[127:128], v[135:136], v[137:138], v[127:128]
	s_andn2_b64 exec, exec, s[12:13]
	s_cbranch_execnz .LBB126_1215
; %bb.1216:
	s_or_b64 exec, exec, s[12:13]
.LBB126_1217:
	s_or_b64 exec, exec, s[10:11]
	v_mov_b32_e32 v132, 0
	ds_read_b64 v[132:133], v132 offset:488
	s_waitcnt lgkmcnt(0)
	v_mul_f64 v[127:128], v[127:128], v[132:133]
	buffer_store_dword v128, off, s[0:3], 0 offset:492
	buffer_store_dword v127, off, s[0:3], 0 offset:488
.LBB126_1218:
	s_or_b64 exec, exec, s[8:9]
	buffer_load_dword v127, off, s[0:3], 0 offset:496
	buffer_load_dword v128, off, s[0:3], 0 offset:500
	v_cmp_ne_u32_e32 vcc, 62, v0
	s_waitcnt vmcnt(0)
	ds_write_b64 v130, v[127:128]
	s_waitcnt lgkmcnt(0)
	; wave barrier
	s_and_saveexec_b64 s[8:9], vcc
	s_cbranch_execz .LBB126_1228
; %bb.1219:
	s_and_b64 vcc, exec, s[4:5]
	s_cbranch_vccnz .LBB126_1221
; %bb.1220:
	buffer_load_dword v127, v131, s[0:3], 0 offen
	buffer_load_dword v128, v131, s[0:3], 0 offen offset:4
	ds_read_b64 v[131:132], v130
	s_waitcnt vmcnt(0) lgkmcnt(0)
	v_mul_f64 v[127:128], v[127:128], v[131:132]
	s_cbranch_execz .LBB126_1222
	s_branch .LBB126_1223
.LBB126_1221:
                                        ; implicit-def: $vgpr127_vgpr128
.LBB126_1222:
	ds_read_b64 v[127:128], v130
.LBB126_1223:
	s_and_saveexec_b64 s[4:5], s[6:7]
	s_cbranch_execz .LBB126_1227
; %bb.1224:
	s_mov_b32 s6, 0
	v_add_u32_e32 v130, 0x208, v129
	v_add3_u32 v129, v129, s6, 8
	s_mov_b64 s[6:7], 0
.LBB126_1225:                           ; =>This Inner Loop Header: Depth=1
	buffer_load_dword v131, v129, s[0:3], 0 offen
	buffer_load_dword v132, v129, s[0:3], 0 offen offset:4
	ds_read_b64 v[133:134], v130
	v_add_u32_e32 v0, 1, v0
	v_cmp_lt_u32_e32 vcc, 60, v0
	v_add_u32_e32 v130, 8, v130
	s_or_b64 s[6:7], vcc, s[6:7]
	v_add_u32_e32 v129, 8, v129
	s_waitcnt vmcnt(0) lgkmcnt(0)
	v_fma_f64 v[127:128], v[131:132], v[133:134], v[127:128]
	s_andn2_b64 exec, exec, s[6:7]
	s_cbranch_execnz .LBB126_1225
; %bb.1226:
	s_or_b64 exec, exec, s[6:7]
.LBB126_1227:
	s_or_b64 exec, exec, s[4:5]
	v_mov_b32_e32 v0, 0
	ds_read_b64 v[129:130], v0 offset:496
	s_waitcnt lgkmcnt(0)
	v_mul_f64 v[127:128], v[127:128], v[129:130]
	buffer_store_dword v128, off, s[0:3], 0 offset:500
	buffer_store_dword v127, off, s[0:3], 0 offset:496
.LBB126_1228:
	s_or_b64 exec, exec, s[8:9]
.LBB126_1229:
	buffer_load_dword v127, off, s[0:3], 0
	buffer_load_dword v128, off, s[0:3], 0 offset:4
	s_waitcnt vmcnt(0)
	flat_store_dwordx2 v[1:2], v[127:128]
	buffer_load_dword v0, off, s[0:3], 0 offset:8
	s_nop 0
	buffer_load_dword v1, off, s[0:3], 0 offset:12
	s_waitcnt vmcnt(0)
	flat_store_dwordx2 v[3:4], v[0:1]
	buffer_load_dword v0, off, s[0:3], 0 offset:16
	s_nop 0
	;; [unrolled: 5-line block ×62, first 2 shown]
	buffer_load_dword v1, off, s[0:3], 0 offset:500
	s_waitcnt vmcnt(0)
	flat_store_dwordx2 v[125:126], v[0:1]
.LBB126_1230:
	s_endpgm
	.section	.rodata,"a",@progbits
	.p2align	6, 0x0
	.amdhsa_kernel _ZN9rocsolver6v33100L18trti2_kernel_smallILi63EdPKPdEEv13rocblas_fill_17rocblas_diagonal_T1_iil
		.amdhsa_group_segment_fixed_size 1016
		.amdhsa_private_segment_fixed_size 512
		.amdhsa_kernarg_size 32
		.amdhsa_user_sgpr_count 6
		.amdhsa_user_sgpr_private_segment_buffer 1
		.amdhsa_user_sgpr_dispatch_ptr 0
		.amdhsa_user_sgpr_queue_ptr 0
		.amdhsa_user_sgpr_kernarg_segment_ptr 1
		.amdhsa_user_sgpr_dispatch_id 0
		.amdhsa_user_sgpr_flat_scratch_init 0
		.amdhsa_user_sgpr_private_segment_size 0
		.amdhsa_uses_dynamic_stack 0
		.amdhsa_system_sgpr_private_segment_wavefront_offset 1
		.amdhsa_system_sgpr_workgroup_id_x 1
		.amdhsa_system_sgpr_workgroup_id_y 0
		.amdhsa_system_sgpr_workgroup_id_z 0
		.amdhsa_system_sgpr_workgroup_info 0
		.amdhsa_system_vgpr_workitem_id 0
		.amdhsa_next_free_vgpr 140
		.amdhsa_next_free_sgpr 76
		.amdhsa_reserve_vcc 1
		.amdhsa_reserve_flat_scratch 0
		.amdhsa_float_round_mode_32 0
		.amdhsa_float_round_mode_16_64 0
		.amdhsa_float_denorm_mode_32 3
		.amdhsa_float_denorm_mode_16_64 3
		.amdhsa_dx10_clamp 1
		.amdhsa_ieee_mode 1
		.amdhsa_fp16_overflow 0
		.amdhsa_exception_fp_ieee_invalid_op 0
		.amdhsa_exception_fp_denorm_src 0
		.amdhsa_exception_fp_ieee_div_zero 0
		.amdhsa_exception_fp_ieee_overflow 0
		.amdhsa_exception_fp_ieee_underflow 0
		.amdhsa_exception_fp_ieee_inexact 0
		.amdhsa_exception_int_div_zero 0
	.end_amdhsa_kernel
	.section	.text._ZN9rocsolver6v33100L18trti2_kernel_smallILi63EdPKPdEEv13rocblas_fill_17rocblas_diagonal_T1_iil,"axG",@progbits,_ZN9rocsolver6v33100L18trti2_kernel_smallILi63EdPKPdEEv13rocblas_fill_17rocblas_diagonal_T1_iil,comdat
.Lfunc_end126:
	.size	_ZN9rocsolver6v33100L18trti2_kernel_smallILi63EdPKPdEEv13rocblas_fill_17rocblas_diagonal_T1_iil, .Lfunc_end126-_ZN9rocsolver6v33100L18trti2_kernel_smallILi63EdPKPdEEv13rocblas_fill_17rocblas_diagonal_T1_iil
                                        ; -- End function
	.set _ZN9rocsolver6v33100L18trti2_kernel_smallILi63EdPKPdEEv13rocblas_fill_17rocblas_diagonal_T1_iil.num_vgpr, 140
	.set _ZN9rocsolver6v33100L18trti2_kernel_smallILi63EdPKPdEEv13rocblas_fill_17rocblas_diagonal_T1_iil.num_agpr, 0
	.set _ZN9rocsolver6v33100L18trti2_kernel_smallILi63EdPKPdEEv13rocblas_fill_17rocblas_diagonal_T1_iil.numbered_sgpr, 76
	.set _ZN9rocsolver6v33100L18trti2_kernel_smallILi63EdPKPdEEv13rocblas_fill_17rocblas_diagonal_T1_iil.num_named_barrier, 0
	.set _ZN9rocsolver6v33100L18trti2_kernel_smallILi63EdPKPdEEv13rocblas_fill_17rocblas_diagonal_T1_iil.private_seg_size, 512
	.set _ZN9rocsolver6v33100L18trti2_kernel_smallILi63EdPKPdEEv13rocblas_fill_17rocblas_diagonal_T1_iil.uses_vcc, 1
	.set _ZN9rocsolver6v33100L18trti2_kernel_smallILi63EdPKPdEEv13rocblas_fill_17rocblas_diagonal_T1_iil.uses_flat_scratch, 0
	.set _ZN9rocsolver6v33100L18trti2_kernel_smallILi63EdPKPdEEv13rocblas_fill_17rocblas_diagonal_T1_iil.has_dyn_sized_stack, 0
	.set _ZN9rocsolver6v33100L18trti2_kernel_smallILi63EdPKPdEEv13rocblas_fill_17rocblas_diagonal_T1_iil.has_recursion, 0
	.set _ZN9rocsolver6v33100L18trti2_kernel_smallILi63EdPKPdEEv13rocblas_fill_17rocblas_diagonal_T1_iil.has_indirect_call, 0
	.section	.AMDGPU.csdata,"",@progbits
; Kernel info:
; codeLenInByte = 37724
; TotalNumSgprs: 80
; NumVgprs: 140
; ScratchSize: 512
; MemoryBound: 0
; FloatMode: 240
; IeeeMode: 1
; LDSByteSize: 1016 bytes/workgroup (compile time only)
; SGPRBlocks: 9
; VGPRBlocks: 34
; NumSGPRsForWavesPerEU: 80
; NumVGPRsForWavesPerEU: 140
; Occupancy: 1
; WaveLimiterHint : 1
; COMPUTE_PGM_RSRC2:SCRATCH_EN: 1
; COMPUTE_PGM_RSRC2:USER_SGPR: 6
; COMPUTE_PGM_RSRC2:TRAP_HANDLER: 0
; COMPUTE_PGM_RSRC2:TGID_X_EN: 1
; COMPUTE_PGM_RSRC2:TGID_Y_EN: 0
; COMPUTE_PGM_RSRC2:TGID_Z_EN: 0
; COMPUTE_PGM_RSRC2:TIDIG_COMP_CNT: 0
	.section	.text._ZN9rocsolver6v33100L18trti2_kernel_smallILi64EdPKPdEEv13rocblas_fill_17rocblas_diagonal_T1_iil,"axG",@progbits,_ZN9rocsolver6v33100L18trti2_kernel_smallILi64EdPKPdEEv13rocblas_fill_17rocblas_diagonal_T1_iil,comdat
	.globl	_ZN9rocsolver6v33100L18trti2_kernel_smallILi64EdPKPdEEv13rocblas_fill_17rocblas_diagonal_T1_iil ; -- Begin function _ZN9rocsolver6v33100L18trti2_kernel_smallILi64EdPKPdEEv13rocblas_fill_17rocblas_diagonal_T1_iil
	.p2align	8
	.type	_ZN9rocsolver6v33100L18trti2_kernel_smallILi64EdPKPdEEv13rocblas_fill_17rocblas_diagonal_T1_iil,@function
_ZN9rocsolver6v33100L18trti2_kernel_smallILi64EdPKPdEEv13rocblas_fill_17rocblas_diagonal_T1_iil: ; @_ZN9rocsolver6v33100L18trti2_kernel_smallILi64EdPKPdEEv13rocblas_fill_17rocblas_diagonal_T1_iil
; %bb.0:
	s_add_u32 s0, s0, s7
	s_addc_u32 s1, s1, 0
	v_cmp_gt_u32_e32 vcc, 64, v0
	s_and_saveexec_b64 s[8:9], vcc
	s_cbranch_execz .LBB127_1250
; %bb.1:
	s_load_dwordx2 s[12:13], s[4:5], 0x10
	s_load_dwordx4 s[8:11], s[4:5], 0x0
	s_ashr_i32 s7, s6, 31
	s_lshl_b64 s[6:7], s[6:7], 3
	v_lshlrev_b32_e32 v131, 3, v0
	s_waitcnt lgkmcnt(0)
	s_ashr_i32 s5, s12, 31
	s_add_u32 s6, s10, s6
	s_addc_u32 s7, s11, s7
	s_load_dwordx2 s[6:7], s[6:7], 0x0
	s_mov_b32 s4, s12
	s_lshl_b64 s[4:5], s[4:5], 3
	s_waitcnt lgkmcnt(0)
	s_add_u32 s4, s6, s4
	s_addc_u32 s5, s7, s5
	v_mov_b32_e32 v2, s5
	v_add_co_u32_e32 v1, vcc, s4, v131
	v_addc_co_u32_e32 v2, vcc, 0, v2, vcc
	flat_load_dwordx2 v[5:6], v[1:2]
	s_mov_b32 s6, s13
	s_ashr_i32 s7, s13, 31
	s_lshl_b64 s[6:7], s[6:7], 3
	v_mov_b32_e32 v4, s7
	v_add_co_u32_e32 v3, vcc, s6, v1
	v_addc_co_u32_e32 v4, vcc, v2, v4, vcc
	s_add_i32 s6, s13, s13
	v_add_u32_e32 v9, s6, v0
	v_ashrrev_i32_e32 v10, 31, v9
	v_mov_b32_e32 v11, s5
	v_add_u32_e32 v12, s13, v9
	v_ashrrev_i32_e32 v13, 31, v12
	v_mov_b32_e32 v14, s5
	v_mov_b32_e32 v15, s5
	v_mov_b32_e32 v17, s5
	v_mov_b32_e32 v20, s5
	v_mov_b32_e32 v21, s5
	v_mov_b32_e32 v23, s5
	v_mov_b32_e32 v26, s5
	v_mov_b32_e32 v27, s5
	v_mov_b32_e32 v29, s5
	v_mov_b32_e32 v32, s5
	v_mov_b32_e32 v33, s5
	v_mov_b32_e32 v35, s5
	v_mov_b32_e32 v38, s5
	v_mov_b32_e32 v39, s5
	v_mov_b32_e32 v41, s5
	v_mov_b32_e32 v44, s5
	v_mov_b32_e32 v45, s5
	v_mov_b32_e32 v47, s5
	v_mov_b32_e32 v50, s5
	v_mov_b32_e32 v51, s5
	v_mov_b32_e32 v53, s5
	v_mov_b32_e32 v56, s5
	v_mov_b32_e32 v57, s5
	v_mov_b32_e32 v59, s5
	v_mov_b32_e32 v62, s5
	v_mov_b32_e32 v63, s5
	v_mov_b32_e32 v65, s5
	v_mov_b32_e32 v68, s5
	v_mov_b32_e32 v69, s5
	v_mov_b32_e32 v71, s5
	v_mov_b32_e32 v74, s5
	v_mov_b32_e32 v75, s5
	v_mov_b32_e32 v77, s5
	v_mov_b32_e32 v80, s5
	v_mov_b32_e32 v81, s5
	v_mov_b32_e32 v83, s5
	v_mov_b32_e32 v86, s5
	v_mov_b32_e32 v87, s5
	v_mov_b32_e32 v89, s5
	v_mov_b32_e32 v92, s5
	v_mov_b32_e32 v93, s5
	v_mov_b32_e32 v95, s5
	v_mov_b32_e32 v98, s5
	v_mov_b32_e32 v99, s5
	v_mov_b32_e32 v101, s5
	v_mov_b32_e32 v104, s5
	v_mov_b32_e32 v105, s5
	v_mov_b32_e32 v107, s5
	v_mov_b32_e32 v110, s5
	v_mov_b32_e32 v111, s5
	v_mov_b32_e32 v113, s5
	v_mov_b32_e32 v116, s5
	v_mov_b32_e32 v117, s5
	v_mov_b32_e32 v119, s5
	v_mov_b32_e32 v122, s5
	v_mov_b32_e32 v123, s5
	v_mov_b32_e32 v125, s5
	v_mov_b32_e32 v128, s5
	v_mov_b32_e32 v129, s5
	v_mov_b32_e32 v132, s5
	s_cmpk_lg_i32 s9, 0x84
	s_cselect_b64 s[10:11], -1, 0
	s_waitcnt vmcnt(0) lgkmcnt(0)
	buffer_store_dword v6, off, s[0:3], 0 offset:4
	buffer_store_dword v5, off, s[0:3], 0
	flat_load_dwordx2 v[7:8], v[3:4]
	v_lshlrev_b64 v[5:6], 3, v[9:10]
	s_cmpk_eq_i32 s9, 0x84
	v_add_co_u32_e32 v5, vcc, s4, v5
	v_addc_co_u32_e32 v6, vcc, v11, v6, vcc
	s_waitcnt vmcnt(0) lgkmcnt(0)
	buffer_store_dword v8, off, s[0:3], 0 offset:12
	buffer_store_dword v7, off, s[0:3], 0 offset:8
	flat_load_dwordx2 v[10:11], v[5:6]
	v_lshlrev_b64 v[7:8], 3, v[12:13]
	s_waitcnt vmcnt(0) lgkmcnt(0)
	buffer_store_dword v11, off, s[0:3], 0 offset:20
	buffer_store_dword v10, off, s[0:3], 0 offset:16
	v_add_co_u32_e32 v7, vcc, s4, v7
	v_addc_co_u32_e32 v8, vcc, v14, v8, vcc
	flat_load_dwordx2 v[13:14], v[7:8]
	v_add_u32_e32 v11, s13, v12
	v_ashrrev_i32_e32 v12, 31, v11
	v_lshlrev_b64 v[9:10], 3, v[11:12]
	s_waitcnt vmcnt(0) lgkmcnt(0)
	buffer_store_dword v14, off, s[0:3], 0 offset:28
	buffer_store_dword v13, off, s[0:3], 0 offset:24
	v_add_co_u32_e32 v9, vcc, s4, v9
	v_addc_co_u32_e32 v10, vcc, v15, v10, vcc
	flat_load_dwordx2 v[13:14], v[9:10]
	v_add_u32_e32 v15, s13, v11
	v_ashrrev_i32_e32 v16, 31, v15
	v_lshlrev_b64 v[11:12], 3, v[15:16]
	v_add_u32_e32 v18, s13, v15
	v_add_co_u32_e32 v11, vcc, s4, v11
	v_addc_co_u32_e32 v12, vcc, v17, v12, vcc
	v_ashrrev_i32_e32 v19, 31, v18
	s_waitcnt vmcnt(0) lgkmcnt(0)
	buffer_store_dword v14, off, s[0:3], 0 offset:36
	buffer_store_dword v13, off, s[0:3], 0 offset:32
	flat_load_dwordx2 v[16:17], v[11:12]
	v_lshlrev_b64 v[13:14], 3, v[18:19]
	s_waitcnt vmcnt(0) lgkmcnt(0)
	buffer_store_dword v17, off, s[0:3], 0 offset:44
	buffer_store_dword v16, off, s[0:3], 0 offset:40
	v_add_co_u32_e32 v13, vcc, s4, v13
	v_addc_co_u32_e32 v14, vcc, v20, v14, vcc
	flat_load_dwordx2 v[19:20], v[13:14]
	v_add_u32_e32 v17, s13, v18
	v_ashrrev_i32_e32 v18, 31, v17
	v_lshlrev_b64 v[15:16], 3, v[17:18]
	s_waitcnt vmcnt(0) lgkmcnt(0)
	buffer_store_dword v20, off, s[0:3], 0 offset:52
	buffer_store_dword v19, off, s[0:3], 0 offset:48
	v_add_co_u32_e32 v15, vcc, s4, v15
	v_addc_co_u32_e32 v16, vcc, v21, v16, vcc
	flat_load_dwordx2 v[19:20], v[15:16]
	v_add_u32_e32 v21, s13, v17
	v_ashrrev_i32_e32 v22, 31, v21
	v_lshlrev_b64 v[17:18], 3, v[21:22]
	v_add_u32_e32 v24, s13, v21
	v_add_co_u32_e32 v17, vcc, s4, v17
	v_addc_co_u32_e32 v18, vcc, v23, v18, vcc
	v_ashrrev_i32_e32 v25, 31, v24
	;; [unrolled: 27-line block ×8, first 2 shown]
	s_waitcnt vmcnt(0) lgkmcnt(0)
	buffer_store_dword v56, off, s[0:3], 0 offset:204
	buffer_store_dword v55, off, s[0:3], 0 offset:200
	flat_load_dwordx2 v[58:59], v[53:54]
	v_lshlrev_b64 v[55:56], 3, v[60:61]
	s_waitcnt vmcnt(0) lgkmcnt(0)
	buffer_store_dword v59, off, s[0:3], 0 offset:212
	buffer_store_dword v58, off, s[0:3], 0 offset:208
	v_add_co_u32_e32 v55, vcc, s4, v55
	v_addc_co_u32_e32 v56, vcc, v62, v56, vcc
	flat_load_dwordx2 v[61:62], v[55:56]
	v_add_u32_e32 v59, s13, v60
	v_ashrrev_i32_e32 v60, 31, v59
	v_lshlrev_b64 v[57:58], 3, v[59:60]
	s_waitcnt vmcnt(0) lgkmcnt(0)
	buffer_store_dword v62, off, s[0:3], 0 offset:220
	buffer_store_dword v61, off, s[0:3], 0 offset:216
	v_add_co_u32_e32 v57, vcc, s4, v57
	v_addc_co_u32_e32 v58, vcc, v63, v58, vcc
	flat_load_dwordx2 v[61:62], v[57:58]
	v_add_u32_e32 v63, s13, v59
	v_ashrrev_i32_e32 v64, 31, v63
	v_lshlrev_b64 v[59:60], 3, v[63:64]
	v_add_u32_e32 v66, s13, v63
	v_add_co_u32_e32 v59, vcc, s4, v59
	v_addc_co_u32_e32 v60, vcc, v65, v60, vcc
	s_waitcnt vmcnt(0) lgkmcnt(0)
	buffer_store_dword v62, off, s[0:3], 0 offset:228
	buffer_store_dword v61, off, s[0:3], 0 offset:224
	flat_load_dwordx2 v[64:65], v[59:60]
	v_ashrrev_i32_e32 v67, 31, v66
	v_lshlrev_b64 v[61:62], 3, v[66:67]
	s_waitcnt vmcnt(0) lgkmcnt(0)
	buffer_store_dword v65, off, s[0:3], 0 offset:236
	buffer_store_dword v64, off, s[0:3], 0 offset:232
	v_add_co_u32_e32 v61, vcc, s4, v61
	v_addc_co_u32_e32 v62, vcc, v68, v62, vcc
	flat_load_dwordx2 v[67:68], v[61:62]
	v_add_u32_e32 v65, s13, v66
	v_ashrrev_i32_e32 v66, 31, v65
	v_lshlrev_b64 v[63:64], 3, v[65:66]
	s_waitcnt vmcnt(0) lgkmcnt(0)
	buffer_store_dword v68, off, s[0:3], 0 offset:244
	buffer_store_dword v67, off, s[0:3], 0 offset:240
	v_add_co_u32_e32 v63, vcc, s4, v63
	v_addc_co_u32_e32 v64, vcc, v69, v64, vcc
	flat_load_dwordx2 v[67:68], v[63:64]
	v_add_u32_e32 v69, s13, v65
	;; [unrolled: 9-line block ×33, first 2 shown]
	v_ashrrev_i32_e32 v128, 31, v127
	v_lshlrev_b64 v[127:128], 3, v[127:128]
	v_mov_b32_e32 v130, s5
	v_add_co_u32_e32 v127, vcc, s4, v127
	v_addc_co_u32_e32 v128, vcc, v130, v128, vcc
	s_waitcnt vmcnt(0) lgkmcnt(0)
	buffer_store_dword v133, off, s[0:3], 0 offset:500
	buffer_store_dword v132, off, s[0:3], 0 offset:496
	flat_load_dwordx2 v[132:133], v[127:128]
	v_mov_b32_e32 v129, 0
	v_mov_b32_e32 v130, 0xbff00000
	s_waitcnt vmcnt(0) lgkmcnt(0)
	buffer_store_dword v133, off, s[0:3], 0 offset:508
	buffer_store_dword v132, off, s[0:3], 0 offset:504
	s_cbranch_scc1 .LBB127_3
; %bb.2:
	v_mov_b32_e32 v129, 0
	v_lshl_add_u32 v140, v0, 3, v129
	buffer_load_dword v129, v140, s[0:3], 0 offen
	buffer_load_dword v130, v140, s[0:3], 0 offen offset:4
	s_waitcnt vmcnt(0)
	v_div_scale_f64 v[132:133], s[4:5], v[129:130], v[129:130], 1.0
	v_rcp_f64_e32 v[134:135], v[132:133]
	v_fma_f64 v[136:137], -v[132:133], v[134:135], 1.0
	v_fma_f64 v[134:135], v[134:135], v[136:137], v[134:135]
	v_div_scale_f64 v[136:137], vcc, 1.0, v[129:130], 1.0
	v_fma_f64 v[138:139], -v[132:133], v[134:135], 1.0
	v_fma_f64 v[134:135], v[134:135], v[138:139], v[134:135]
	v_mul_f64 v[138:139], v[136:137], v[134:135]
	v_fma_f64 v[132:133], -v[132:133], v[138:139], v[136:137]
	v_div_fmas_f64 v[132:133], v[132:133], v[134:135], v[138:139]
	v_div_fixup_f64 v[129:130], v[132:133], v[129:130], 1.0
	buffer_store_dword v129, v140, s[0:3], 0 offen
	buffer_store_dword v130, v140, s[0:3], 0 offen offset:4
	v_xor_b32_e32 v130, 0x80000000, v130
.LBB127_3:
	s_cmpk_eq_i32 s8, 0x79
	v_or_b32_e32 v132, 0x200, v131
	v_mov_b32_e32 v133, v131
	s_mov_b64 s[4:5], -1
	ds_write_b64 v131, v[129:130]
	s_cbranch_scc1 .LBB127_627
; %bb.4:
	buffer_load_dword v129, off, s[0:3], 0 offset:496
	buffer_load_dword v130, off, s[0:3], 0 offset:500
	s_movk_i32 s12, 0x48
	s_movk_i32 s13, 0x50
	;; [unrolled: 1-line block ×53, first 2 shown]
	v_cmp_eq_u32_e64 s[4:5], 63, v0
	s_waitcnt vmcnt(0)
	ds_write_b64 v132, v[129:130]
	s_waitcnt lgkmcnt(0)
	; wave barrier
	s_and_saveexec_b64 s[6:7], s[4:5]
	s_cbranch_execz .LBB127_10
; %bb.5:
	s_and_b64 vcc, exec, s[10:11]
	s_cbranch_vccz .LBB127_7
; %bb.6:
	buffer_load_dword v129, v133, s[0:3], 0 offen
	buffer_load_dword v130, v133, s[0:3], 0 offen offset:4
	ds_read_b64 v[134:135], v132
	s_waitcnt vmcnt(0) lgkmcnt(0)
	v_mul_f64 v[129:130], v[129:130], v[134:135]
	s_cbranch_execz .LBB127_8
	s_branch .LBB127_9
.LBB127_7:
                                        ; implicit-def: $vgpr129_vgpr130
.LBB127_8:
	ds_read_b64 v[129:130], v132
.LBB127_9:
	v_mov_b32_e32 v134, 0
	ds_read_b64 v[134:135], v134 offset:496
	s_waitcnt lgkmcnt(0)
	v_mul_f64 v[129:130], v[129:130], v[134:135]
	buffer_store_dword v130, off, s[0:3], 0 offset:500
	buffer_store_dword v129, off, s[0:3], 0 offset:496
.LBB127_10:
	s_or_b64 exec, exec, s[6:7]
	buffer_load_dword v129, off, s[0:3], 0 offset:488
	buffer_load_dword v130, off, s[0:3], 0 offset:492
	s_or_b32 s14, 0, 8
	s_mov_b32 s15, 16
	s_mov_b32 s16, 24
	;; [unrolled: 1-line block ×9, first 2 shown]
	v_cmp_lt_u32_e64 s[6:7], 61, v0
	s_waitcnt vmcnt(0)
	ds_write_b64 v132, v[129:130]
	s_waitcnt lgkmcnt(0)
	; wave barrier
	s_and_saveexec_b64 s[8:9], s[6:7]
	s_cbranch_execz .LBB127_16
; %bb.11:
	s_andn2_b64 vcc, exec, s[10:11]
	s_cbranch_vccnz .LBB127_13
; %bb.12:
	buffer_load_dword v129, v133, s[0:3], 0 offen
	buffer_load_dword v130, v133, s[0:3], 0 offen offset:4
	ds_read_b64 v[134:135], v132
	s_waitcnt vmcnt(0) lgkmcnt(0)
	v_mul_f64 v[129:130], v[129:130], v[134:135]
	s_cbranch_execz .LBB127_14
	s_branch .LBB127_15
.LBB127_13:
                                        ; implicit-def: $vgpr129_vgpr130
.LBB127_14:
	ds_read_b64 v[129:130], v132
.LBB127_15:
	buffer_load_dword v138, off, s[0:3], 0 offset:496
	buffer_load_dword v139, off, s[0:3], 0 offset:500
	v_mov_b32_e32 v134, 0
	ds_read2_b64 v[134:137], v134 offset0:61 offset1:126
	s_waitcnt vmcnt(0) lgkmcnt(0)
	v_fma_f64 v[136:137], v[138:139], v[136:137], v[129:130]
	v_cndmask_b32_e64 v130, v130, v137, s[4:5]
	v_cndmask_b32_e64 v129, v129, v136, s[4:5]
	v_mul_f64 v[129:130], v[129:130], v[134:135]
	buffer_store_dword v130, off, s[0:3], 0 offset:492
	buffer_store_dword v129, off, s[0:3], 0 offset:488
.LBB127_16:
	s_or_b64 exec, exec, s[8:9]
	buffer_load_dword v129, off, s[0:3], 0 offset:480
	buffer_load_dword v130, off, s[0:3], 0 offset:484
	v_cmp_lt_u32_e64 s[4:5], 60, v0
	s_waitcnt vmcnt(0)
	ds_write_b64 v132, v[129:130]
	s_waitcnt lgkmcnt(0)
	; wave barrier
	s_and_saveexec_b64 s[8:9], s[4:5]
	s_cbranch_execz .LBB127_26
; %bb.17:
	s_andn2_b64 vcc, exec, s[10:11]
	s_cbranch_vccnz .LBB127_19
; %bb.18:
	buffer_load_dword v129, v133, s[0:3], 0 offen
	buffer_load_dword v130, v133, s[0:3], 0 offen offset:4
	ds_read_b64 v[134:135], v132
	s_waitcnt vmcnt(0) lgkmcnt(0)
	v_mul_f64 v[129:130], v[129:130], v[134:135]
	s_cbranch_execz .LBB127_20
	s_branch .LBB127_21
.LBB127_19:
                                        ; implicit-def: $vgpr129_vgpr130
.LBB127_20:
	ds_read_b64 v[129:130], v132
.LBB127_21:
	s_and_saveexec_b64 s[12:13], s[6:7]
	s_cbranch_execz .LBB127_25
; %bb.22:
	v_subrev_u32_e32 v134, 61, v0
	s_movk_i32 s76, 0x3e8
	s_mov_b64 s[6:7], 0
.LBB127_23:                             ; =>This Inner Loop Header: Depth=1
	v_mov_b32_e32 v136, s75
	buffer_load_dword v135, v136, s[0:3], 0 offen
	s_nop 0
	buffer_load_dword v136, v136, s[0:3], 0 offen offset:4
	v_mov_b32_e32 v137, s76
	ds_read_b64 v[137:138], v137
	v_add_u32_e32 v134, -1, v134
	s_add_i32 s76, s76, 8
	s_add_i32 s75, s75, 8
	v_cmp_eq_u32_e32 vcc, 0, v134
	s_or_b64 s[6:7], vcc, s[6:7]
	s_waitcnt vmcnt(0) lgkmcnt(0)
	v_fma_f64 v[129:130], v[135:136], v[137:138], v[129:130]
	s_andn2_b64 exec, exec, s[6:7]
	s_cbranch_execnz .LBB127_23
; %bb.24:
	s_or_b64 exec, exec, s[6:7]
.LBB127_25:
	s_or_b64 exec, exec, s[12:13]
	v_mov_b32_e32 v134, 0
	ds_read_b64 v[134:135], v134 offset:480
	s_waitcnt lgkmcnt(0)
	v_mul_f64 v[129:130], v[129:130], v[134:135]
	buffer_store_dword v130, off, s[0:3], 0 offset:484
	buffer_store_dword v129, off, s[0:3], 0 offset:480
.LBB127_26:
	s_or_b64 exec, exec, s[8:9]
	buffer_load_dword v129, off, s[0:3], 0 offset:472
	buffer_load_dword v130, off, s[0:3], 0 offset:476
	v_cmp_lt_u32_e64 s[6:7], 59, v0
	s_waitcnt vmcnt(0)
	ds_write_b64 v132, v[129:130]
	s_waitcnt lgkmcnt(0)
	; wave barrier
	s_and_saveexec_b64 s[8:9], s[6:7]
	s_cbranch_execz .LBB127_36
; %bb.27:
	s_andn2_b64 vcc, exec, s[10:11]
	s_cbranch_vccnz .LBB127_29
; %bb.28:
	buffer_load_dword v129, v133, s[0:3], 0 offen
	buffer_load_dword v130, v133, s[0:3], 0 offen offset:4
	ds_read_b64 v[134:135], v132
	s_waitcnt vmcnt(0) lgkmcnt(0)
	v_mul_f64 v[129:130], v[129:130], v[134:135]
	s_cbranch_execz .LBB127_30
	s_branch .LBB127_31
.LBB127_29:
                                        ; implicit-def: $vgpr129_vgpr130
.LBB127_30:
	ds_read_b64 v[129:130], v132
.LBB127_31:
	s_and_saveexec_b64 s[12:13], s[4:5]
	s_cbranch_execz .LBB127_35
; %bb.32:
	v_subrev_u32_e32 v134, 60, v0
	s_movk_i32 s75, 0x3e0
	s_mov_b64 s[4:5], 0
.LBB127_33:                             ; =>This Inner Loop Header: Depth=1
	v_mov_b32_e32 v136, s74
	buffer_load_dword v135, v136, s[0:3], 0 offen
	s_nop 0
	buffer_load_dword v136, v136, s[0:3], 0 offen offset:4
	v_mov_b32_e32 v137, s75
	ds_read_b64 v[137:138], v137
	v_add_u32_e32 v134, -1, v134
	s_add_i32 s75, s75, 8
	s_add_i32 s74, s74, 8
	v_cmp_eq_u32_e32 vcc, 0, v134
	s_or_b64 s[4:5], vcc, s[4:5]
	s_waitcnt vmcnt(0) lgkmcnt(0)
	v_fma_f64 v[129:130], v[135:136], v[137:138], v[129:130]
	s_andn2_b64 exec, exec, s[4:5]
	s_cbranch_execnz .LBB127_33
; %bb.34:
	s_or_b64 exec, exec, s[4:5]
.LBB127_35:
	s_or_b64 exec, exec, s[12:13]
	v_mov_b32_e32 v134, 0
	ds_read_b64 v[134:135], v134 offset:472
	s_waitcnt lgkmcnt(0)
	v_mul_f64 v[129:130], v[129:130], v[134:135]
	buffer_store_dword v130, off, s[0:3], 0 offset:476
	buffer_store_dword v129, off, s[0:3], 0 offset:472
.LBB127_36:
	s_or_b64 exec, exec, s[8:9]
	buffer_load_dword v129, off, s[0:3], 0 offset:464
	buffer_load_dword v130, off, s[0:3], 0 offset:468
	v_cmp_lt_u32_e64 s[4:5], 58, v0
	s_waitcnt vmcnt(0)
	ds_write_b64 v132, v[129:130]
	s_waitcnt lgkmcnt(0)
	; wave barrier
	s_and_saveexec_b64 s[8:9], s[4:5]
	s_cbranch_execz .LBB127_46
; %bb.37:
	s_andn2_b64 vcc, exec, s[10:11]
	s_cbranch_vccnz .LBB127_39
; %bb.38:
	buffer_load_dword v129, v133, s[0:3], 0 offen
	buffer_load_dword v130, v133, s[0:3], 0 offen offset:4
	ds_read_b64 v[134:135], v132
	s_waitcnt vmcnt(0) lgkmcnt(0)
	v_mul_f64 v[129:130], v[129:130], v[134:135]
	s_cbranch_execz .LBB127_40
	s_branch .LBB127_41
.LBB127_39:
                                        ; implicit-def: $vgpr129_vgpr130
.LBB127_40:
	ds_read_b64 v[129:130], v132
.LBB127_41:
	s_and_saveexec_b64 s[12:13], s[6:7]
	s_cbranch_execz .LBB127_45
; %bb.42:
	v_subrev_u32_e32 v134, 59, v0
	s_movk_i32 s74, 0x3d8
	s_mov_b64 s[6:7], 0
.LBB127_43:                             ; =>This Inner Loop Header: Depth=1
	v_mov_b32_e32 v136, s73
	buffer_load_dword v135, v136, s[0:3], 0 offen
	s_nop 0
	buffer_load_dword v136, v136, s[0:3], 0 offen offset:4
	v_mov_b32_e32 v137, s74
	ds_read_b64 v[137:138], v137
	v_add_u32_e32 v134, -1, v134
	s_add_i32 s74, s74, 8
	s_add_i32 s73, s73, 8
	v_cmp_eq_u32_e32 vcc, 0, v134
	s_or_b64 s[6:7], vcc, s[6:7]
	s_waitcnt vmcnt(0) lgkmcnt(0)
	v_fma_f64 v[129:130], v[135:136], v[137:138], v[129:130]
	s_andn2_b64 exec, exec, s[6:7]
	s_cbranch_execnz .LBB127_43
; %bb.44:
	s_or_b64 exec, exec, s[6:7]
.LBB127_45:
	s_or_b64 exec, exec, s[12:13]
	v_mov_b32_e32 v134, 0
	ds_read_b64 v[134:135], v134 offset:464
	s_waitcnt lgkmcnt(0)
	v_mul_f64 v[129:130], v[129:130], v[134:135]
	buffer_store_dword v130, off, s[0:3], 0 offset:468
	buffer_store_dword v129, off, s[0:3], 0 offset:464
.LBB127_46:
	s_or_b64 exec, exec, s[8:9]
	buffer_load_dword v129, off, s[0:3], 0 offset:456
	buffer_load_dword v130, off, s[0:3], 0 offset:460
	v_cmp_lt_u32_e64 s[6:7], 57, v0
	s_waitcnt vmcnt(0)
	ds_write_b64 v132, v[129:130]
	s_waitcnt lgkmcnt(0)
	; wave barrier
	s_and_saveexec_b64 s[8:9], s[6:7]
	s_cbranch_execz .LBB127_56
; %bb.47:
	s_andn2_b64 vcc, exec, s[10:11]
	s_cbranch_vccnz .LBB127_49
; %bb.48:
	buffer_load_dword v129, v133, s[0:3], 0 offen
	buffer_load_dword v130, v133, s[0:3], 0 offen offset:4
	ds_read_b64 v[134:135], v132
	s_waitcnt vmcnt(0) lgkmcnt(0)
	v_mul_f64 v[129:130], v[129:130], v[134:135]
	s_cbranch_execz .LBB127_50
	s_branch .LBB127_51
.LBB127_49:
                                        ; implicit-def: $vgpr129_vgpr130
.LBB127_50:
	ds_read_b64 v[129:130], v132
.LBB127_51:
	s_and_saveexec_b64 s[12:13], s[4:5]
	s_cbranch_execz .LBB127_55
; %bb.52:
	v_subrev_u32_e32 v134, 58, v0
	s_movk_i32 s73, 0x3d0
	s_mov_b64 s[4:5], 0
.LBB127_53:                             ; =>This Inner Loop Header: Depth=1
	v_mov_b32_e32 v136, s72
	buffer_load_dword v135, v136, s[0:3], 0 offen
	s_nop 0
	buffer_load_dword v136, v136, s[0:3], 0 offen offset:4
	v_mov_b32_e32 v137, s73
	ds_read_b64 v[137:138], v137
	v_add_u32_e32 v134, -1, v134
	s_add_i32 s73, s73, 8
	s_add_i32 s72, s72, 8
	v_cmp_eq_u32_e32 vcc, 0, v134
	s_or_b64 s[4:5], vcc, s[4:5]
	s_waitcnt vmcnt(0) lgkmcnt(0)
	v_fma_f64 v[129:130], v[135:136], v[137:138], v[129:130]
	s_andn2_b64 exec, exec, s[4:5]
	s_cbranch_execnz .LBB127_53
; %bb.54:
	s_or_b64 exec, exec, s[4:5]
.LBB127_55:
	s_or_b64 exec, exec, s[12:13]
	v_mov_b32_e32 v134, 0
	ds_read_b64 v[134:135], v134 offset:456
	s_waitcnt lgkmcnt(0)
	v_mul_f64 v[129:130], v[129:130], v[134:135]
	buffer_store_dword v130, off, s[0:3], 0 offset:460
	buffer_store_dword v129, off, s[0:3], 0 offset:456
.LBB127_56:
	s_or_b64 exec, exec, s[8:9]
	buffer_load_dword v129, off, s[0:3], 0 offset:448
	buffer_load_dword v130, off, s[0:3], 0 offset:452
	v_cmp_lt_u32_e64 s[4:5], 56, v0
	s_waitcnt vmcnt(0)
	ds_write_b64 v132, v[129:130]
	s_waitcnt lgkmcnt(0)
	; wave barrier
	s_and_saveexec_b64 s[8:9], s[4:5]
	s_cbranch_execz .LBB127_66
; %bb.57:
	s_andn2_b64 vcc, exec, s[10:11]
	s_cbranch_vccnz .LBB127_59
; %bb.58:
	buffer_load_dword v129, v133, s[0:3], 0 offen
	buffer_load_dword v130, v133, s[0:3], 0 offen offset:4
	ds_read_b64 v[134:135], v132
	s_waitcnt vmcnt(0) lgkmcnt(0)
	v_mul_f64 v[129:130], v[129:130], v[134:135]
	s_cbranch_execz .LBB127_60
	s_branch .LBB127_61
.LBB127_59:
                                        ; implicit-def: $vgpr129_vgpr130
.LBB127_60:
	ds_read_b64 v[129:130], v132
.LBB127_61:
	s_and_saveexec_b64 s[12:13], s[6:7]
	s_cbranch_execz .LBB127_65
; %bb.62:
	v_subrev_u32_e32 v134, 57, v0
	s_movk_i32 s72, 0x3c8
	s_mov_b64 s[6:7], 0
.LBB127_63:                             ; =>This Inner Loop Header: Depth=1
	v_mov_b32_e32 v136, s71
	buffer_load_dword v135, v136, s[0:3], 0 offen
	s_nop 0
	buffer_load_dword v136, v136, s[0:3], 0 offen offset:4
	v_mov_b32_e32 v137, s72
	ds_read_b64 v[137:138], v137
	v_add_u32_e32 v134, -1, v134
	s_add_i32 s72, s72, 8
	s_add_i32 s71, s71, 8
	v_cmp_eq_u32_e32 vcc, 0, v134
	s_or_b64 s[6:7], vcc, s[6:7]
	s_waitcnt vmcnt(0) lgkmcnt(0)
	v_fma_f64 v[129:130], v[135:136], v[137:138], v[129:130]
	s_andn2_b64 exec, exec, s[6:7]
	s_cbranch_execnz .LBB127_63
; %bb.64:
	s_or_b64 exec, exec, s[6:7]
.LBB127_65:
	s_or_b64 exec, exec, s[12:13]
	v_mov_b32_e32 v134, 0
	ds_read_b64 v[134:135], v134 offset:448
	s_waitcnt lgkmcnt(0)
	v_mul_f64 v[129:130], v[129:130], v[134:135]
	buffer_store_dword v130, off, s[0:3], 0 offset:452
	buffer_store_dword v129, off, s[0:3], 0 offset:448
.LBB127_66:
	s_or_b64 exec, exec, s[8:9]
	buffer_load_dword v129, off, s[0:3], 0 offset:440
	buffer_load_dword v130, off, s[0:3], 0 offset:444
	v_cmp_lt_u32_e64 s[6:7], 55, v0
	s_waitcnt vmcnt(0)
	ds_write_b64 v132, v[129:130]
	s_waitcnt lgkmcnt(0)
	; wave barrier
	s_and_saveexec_b64 s[8:9], s[6:7]
	s_cbranch_execz .LBB127_76
; %bb.67:
	s_andn2_b64 vcc, exec, s[10:11]
	s_cbranch_vccnz .LBB127_69
; %bb.68:
	buffer_load_dword v129, v133, s[0:3], 0 offen
	buffer_load_dword v130, v133, s[0:3], 0 offen offset:4
	ds_read_b64 v[134:135], v132
	s_waitcnt vmcnt(0) lgkmcnt(0)
	v_mul_f64 v[129:130], v[129:130], v[134:135]
	s_cbranch_execz .LBB127_70
	s_branch .LBB127_71
.LBB127_69:
                                        ; implicit-def: $vgpr129_vgpr130
.LBB127_70:
	ds_read_b64 v[129:130], v132
.LBB127_71:
	s_and_saveexec_b64 s[12:13], s[4:5]
	s_cbranch_execz .LBB127_75
; %bb.72:
	v_subrev_u32_e32 v134, 56, v0
	s_movk_i32 s71, 0x3c0
	s_mov_b64 s[4:5], 0
.LBB127_73:                             ; =>This Inner Loop Header: Depth=1
	v_mov_b32_e32 v136, s70
	buffer_load_dword v135, v136, s[0:3], 0 offen
	s_nop 0
	buffer_load_dword v136, v136, s[0:3], 0 offen offset:4
	v_mov_b32_e32 v137, s71
	ds_read_b64 v[137:138], v137
	v_add_u32_e32 v134, -1, v134
	s_add_i32 s71, s71, 8
	s_add_i32 s70, s70, 8
	v_cmp_eq_u32_e32 vcc, 0, v134
	s_or_b64 s[4:5], vcc, s[4:5]
	s_waitcnt vmcnt(0) lgkmcnt(0)
	v_fma_f64 v[129:130], v[135:136], v[137:138], v[129:130]
	s_andn2_b64 exec, exec, s[4:5]
	s_cbranch_execnz .LBB127_73
; %bb.74:
	s_or_b64 exec, exec, s[4:5]
.LBB127_75:
	s_or_b64 exec, exec, s[12:13]
	v_mov_b32_e32 v134, 0
	ds_read_b64 v[134:135], v134 offset:440
	s_waitcnt lgkmcnt(0)
	v_mul_f64 v[129:130], v[129:130], v[134:135]
	buffer_store_dword v130, off, s[0:3], 0 offset:444
	buffer_store_dword v129, off, s[0:3], 0 offset:440
.LBB127_76:
	s_or_b64 exec, exec, s[8:9]
	buffer_load_dword v129, off, s[0:3], 0 offset:432
	buffer_load_dword v130, off, s[0:3], 0 offset:436
	v_cmp_lt_u32_e64 s[4:5], 54, v0
	s_waitcnt vmcnt(0)
	ds_write_b64 v132, v[129:130]
	s_waitcnt lgkmcnt(0)
	; wave barrier
	s_and_saveexec_b64 s[8:9], s[4:5]
	s_cbranch_execz .LBB127_86
; %bb.77:
	s_andn2_b64 vcc, exec, s[10:11]
	s_cbranch_vccnz .LBB127_79
; %bb.78:
	buffer_load_dword v129, v133, s[0:3], 0 offen
	buffer_load_dword v130, v133, s[0:3], 0 offen offset:4
	ds_read_b64 v[134:135], v132
	s_waitcnt vmcnt(0) lgkmcnt(0)
	v_mul_f64 v[129:130], v[129:130], v[134:135]
	s_cbranch_execz .LBB127_80
	s_branch .LBB127_81
.LBB127_79:
                                        ; implicit-def: $vgpr129_vgpr130
.LBB127_80:
	ds_read_b64 v[129:130], v132
.LBB127_81:
	s_and_saveexec_b64 s[12:13], s[6:7]
	s_cbranch_execz .LBB127_85
; %bb.82:
	v_subrev_u32_e32 v134, 55, v0
	s_movk_i32 s70, 0x3b8
	s_mov_b64 s[6:7], 0
.LBB127_83:                             ; =>This Inner Loop Header: Depth=1
	v_mov_b32_e32 v136, s69
	buffer_load_dword v135, v136, s[0:3], 0 offen
	s_nop 0
	buffer_load_dword v136, v136, s[0:3], 0 offen offset:4
	v_mov_b32_e32 v137, s70
	ds_read_b64 v[137:138], v137
	v_add_u32_e32 v134, -1, v134
	s_add_i32 s70, s70, 8
	s_add_i32 s69, s69, 8
	v_cmp_eq_u32_e32 vcc, 0, v134
	s_or_b64 s[6:7], vcc, s[6:7]
	s_waitcnt vmcnt(0) lgkmcnt(0)
	v_fma_f64 v[129:130], v[135:136], v[137:138], v[129:130]
	s_andn2_b64 exec, exec, s[6:7]
	s_cbranch_execnz .LBB127_83
; %bb.84:
	s_or_b64 exec, exec, s[6:7]
.LBB127_85:
	s_or_b64 exec, exec, s[12:13]
	v_mov_b32_e32 v134, 0
	ds_read_b64 v[134:135], v134 offset:432
	s_waitcnt lgkmcnt(0)
	v_mul_f64 v[129:130], v[129:130], v[134:135]
	buffer_store_dword v130, off, s[0:3], 0 offset:436
	buffer_store_dword v129, off, s[0:3], 0 offset:432
.LBB127_86:
	s_or_b64 exec, exec, s[8:9]
	buffer_load_dword v129, off, s[0:3], 0 offset:424
	buffer_load_dword v130, off, s[0:3], 0 offset:428
	v_cmp_lt_u32_e64 s[6:7], 53, v0
	s_waitcnt vmcnt(0)
	ds_write_b64 v132, v[129:130]
	s_waitcnt lgkmcnt(0)
	; wave barrier
	s_and_saveexec_b64 s[8:9], s[6:7]
	s_cbranch_execz .LBB127_96
; %bb.87:
	s_andn2_b64 vcc, exec, s[10:11]
	s_cbranch_vccnz .LBB127_89
; %bb.88:
	buffer_load_dword v129, v133, s[0:3], 0 offen
	buffer_load_dword v130, v133, s[0:3], 0 offen offset:4
	ds_read_b64 v[134:135], v132
	s_waitcnt vmcnt(0) lgkmcnt(0)
	v_mul_f64 v[129:130], v[129:130], v[134:135]
	s_cbranch_execz .LBB127_90
	s_branch .LBB127_91
.LBB127_89:
                                        ; implicit-def: $vgpr129_vgpr130
.LBB127_90:
	ds_read_b64 v[129:130], v132
.LBB127_91:
	s_and_saveexec_b64 s[12:13], s[4:5]
	s_cbranch_execz .LBB127_95
; %bb.92:
	v_subrev_u32_e32 v134, 54, v0
	s_movk_i32 s69, 0x3b0
	s_mov_b64 s[4:5], 0
.LBB127_93:                             ; =>This Inner Loop Header: Depth=1
	v_mov_b32_e32 v136, s68
	buffer_load_dword v135, v136, s[0:3], 0 offen
	s_nop 0
	buffer_load_dword v136, v136, s[0:3], 0 offen offset:4
	v_mov_b32_e32 v137, s69
	ds_read_b64 v[137:138], v137
	v_add_u32_e32 v134, -1, v134
	s_add_i32 s69, s69, 8
	s_add_i32 s68, s68, 8
	v_cmp_eq_u32_e32 vcc, 0, v134
	s_or_b64 s[4:5], vcc, s[4:5]
	s_waitcnt vmcnt(0) lgkmcnt(0)
	v_fma_f64 v[129:130], v[135:136], v[137:138], v[129:130]
	s_andn2_b64 exec, exec, s[4:5]
	s_cbranch_execnz .LBB127_93
; %bb.94:
	s_or_b64 exec, exec, s[4:5]
.LBB127_95:
	s_or_b64 exec, exec, s[12:13]
	v_mov_b32_e32 v134, 0
	ds_read_b64 v[134:135], v134 offset:424
	s_waitcnt lgkmcnt(0)
	v_mul_f64 v[129:130], v[129:130], v[134:135]
	buffer_store_dword v130, off, s[0:3], 0 offset:428
	buffer_store_dword v129, off, s[0:3], 0 offset:424
.LBB127_96:
	s_or_b64 exec, exec, s[8:9]
	buffer_load_dword v129, off, s[0:3], 0 offset:416
	buffer_load_dword v130, off, s[0:3], 0 offset:420
	v_cmp_lt_u32_e64 s[4:5], 52, v0
	s_waitcnt vmcnt(0)
	ds_write_b64 v132, v[129:130]
	s_waitcnt lgkmcnt(0)
	; wave barrier
	s_and_saveexec_b64 s[8:9], s[4:5]
	s_cbranch_execz .LBB127_106
; %bb.97:
	s_andn2_b64 vcc, exec, s[10:11]
	s_cbranch_vccnz .LBB127_99
; %bb.98:
	buffer_load_dword v129, v133, s[0:3], 0 offen
	buffer_load_dword v130, v133, s[0:3], 0 offen offset:4
	ds_read_b64 v[134:135], v132
	s_waitcnt vmcnt(0) lgkmcnt(0)
	v_mul_f64 v[129:130], v[129:130], v[134:135]
	s_cbranch_execz .LBB127_100
	s_branch .LBB127_101
.LBB127_99:
                                        ; implicit-def: $vgpr129_vgpr130
.LBB127_100:
	ds_read_b64 v[129:130], v132
.LBB127_101:
	s_and_saveexec_b64 s[12:13], s[6:7]
	s_cbranch_execz .LBB127_105
; %bb.102:
	v_subrev_u32_e32 v134, 53, v0
	s_movk_i32 s68, 0x3a8
	s_mov_b64 s[6:7], 0
.LBB127_103:                            ; =>This Inner Loop Header: Depth=1
	v_mov_b32_e32 v136, s67
	buffer_load_dword v135, v136, s[0:3], 0 offen
	s_nop 0
	buffer_load_dword v136, v136, s[0:3], 0 offen offset:4
	v_mov_b32_e32 v137, s68
	ds_read_b64 v[137:138], v137
	v_add_u32_e32 v134, -1, v134
	s_add_i32 s68, s68, 8
	s_add_i32 s67, s67, 8
	v_cmp_eq_u32_e32 vcc, 0, v134
	s_or_b64 s[6:7], vcc, s[6:7]
	s_waitcnt vmcnt(0) lgkmcnt(0)
	v_fma_f64 v[129:130], v[135:136], v[137:138], v[129:130]
	s_andn2_b64 exec, exec, s[6:7]
	s_cbranch_execnz .LBB127_103
; %bb.104:
	s_or_b64 exec, exec, s[6:7]
.LBB127_105:
	s_or_b64 exec, exec, s[12:13]
	v_mov_b32_e32 v134, 0
	ds_read_b64 v[134:135], v134 offset:416
	s_waitcnt lgkmcnt(0)
	v_mul_f64 v[129:130], v[129:130], v[134:135]
	buffer_store_dword v130, off, s[0:3], 0 offset:420
	buffer_store_dword v129, off, s[0:3], 0 offset:416
.LBB127_106:
	s_or_b64 exec, exec, s[8:9]
	buffer_load_dword v129, off, s[0:3], 0 offset:408
	buffer_load_dword v130, off, s[0:3], 0 offset:412
	v_cmp_lt_u32_e64 s[6:7], 51, v0
	s_waitcnt vmcnt(0)
	ds_write_b64 v132, v[129:130]
	s_waitcnt lgkmcnt(0)
	; wave barrier
	s_and_saveexec_b64 s[8:9], s[6:7]
	s_cbranch_execz .LBB127_116
; %bb.107:
	s_andn2_b64 vcc, exec, s[10:11]
	s_cbranch_vccnz .LBB127_109
; %bb.108:
	buffer_load_dword v129, v133, s[0:3], 0 offen
	buffer_load_dword v130, v133, s[0:3], 0 offen offset:4
	ds_read_b64 v[134:135], v132
	s_waitcnt vmcnt(0) lgkmcnt(0)
	v_mul_f64 v[129:130], v[129:130], v[134:135]
	s_cbranch_execz .LBB127_110
	s_branch .LBB127_111
.LBB127_109:
                                        ; implicit-def: $vgpr129_vgpr130
.LBB127_110:
	ds_read_b64 v[129:130], v132
.LBB127_111:
	s_and_saveexec_b64 s[12:13], s[4:5]
	s_cbranch_execz .LBB127_115
; %bb.112:
	v_subrev_u32_e32 v134, 52, v0
	s_movk_i32 s67, 0x3a0
	s_mov_b64 s[4:5], 0
.LBB127_113:                            ; =>This Inner Loop Header: Depth=1
	v_mov_b32_e32 v136, s66
	buffer_load_dword v135, v136, s[0:3], 0 offen
	s_nop 0
	buffer_load_dword v136, v136, s[0:3], 0 offen offset:4
	v_mov_b32_e32 v137, s67
	ds_read_b64 v[137:138], v137
	v_add_u32_e32 v134, -1, v134
	s_add_i32 s67, s67, 8
	s_add_i32 s66, s66, 8
	v_cmp_eq_u32_e32 vcc, 0, v134
	s_or_b64 s[4:5], vcc, s[4:5]
	s_waitcnt vmcnt(0) lgkmcnt(0)
	v_fma_f64 v[129:130], v[135:136], v[137:138], v[129:130]
	s_andn2_b64 exec, exec, s[4:5]
	s_cbranch_execnz .LBB127_113
; %bb.114:
	s_or_b64 exec, exec, s[4:5]
.LBB127_115:
	s_or_b64 exec, exec, s[12:13]
	v_mov_b32_e32 v134, 0
	ds_read_b64 v[134:135], v134 offset:408
	s_waitcnt lgkmcnt(0)
	v_mul_f64 v[129:130], v[129:130], v[134:135]
	buffer_store_dword v130, off, s[0:3], 0 offset:412
	buffer_store_dword v129, off, s[0:3], 0 offset:408
.LBB127_116:
	;; [unrolled: 59-line block ×37, first 2 shown]
	s_or_b64 exec, exec, s[8:9]
	buffer_load_dword v129, off, s[0:3], 0 offset:120
	buffer_load_dword v130, off, s[0:3], 0 offset:124
	v_cmp_lt_u32_e64 s[6:7], 15, v0
	s_waitcnt vmcnt(0)
	ds_write_b64 v132, v[129:130]
	s_waitcnt lgkmcnt(0)
	; wave barrier
	s_and_saveexec_b64 s[8:9], s[6:7]
	s_cbranch_execz .LBB127_476
; %bb.467:
	s_andn2_b64 vcc, exec, s[10:11]
	s_cbranch_vccnz .LBB127_469
; %bb.468:
	buffer_load_dword v129, v133, s[0:3], 0 offen
	buffer_load_dword v130, v133, s[0:3], 0 offen offset:4
	ds_read_b64 v[134:135], v132
	s_waitcnt vmcnt(0) lgkmcnt(0)
	v_mul_f64 v[129:130], v[129:130], v[134:135]
	s_cbranch_execz .LBB127_470
	s_branch .LBB127_471
.LBB127_469:
                                        ; implicit-def: $vgpr129_vgpr130
.LBB127_470:
	ds_read_b64 v[129:130], v132
.LBB127_471:
	s_and_saveexec_b64 s[12:13], s[4:5]
	s_cbranch_execz .LBB127_475
; %bb.472:
	v_add_u32_e32 v134, -16, v0
	s_movk_i32 s30, 0x280
	s_mov_b64 s[4:5], 0
.LBB127_473:                            ; =>This Inner Loop Header: Depth=1
	v_mov_b32_e32 v136, s29
	buffer_load_dword v135, v136, s[0:3], 0 offen
	s_nop 0
	buffer_load_dword v136, v136, s[0:3], 0 offen offset:4
	v_mov_b32_e32 v137, s30
	ds_read_b64 v[137:138], v137
	v_add_u32_e32 v134, -1, v134
	s_add_i32 s30, s30, 8
	s_add_i32 s29, s29, 8
	v_cmp_eq_u32_e32 vcc, 0, v134
	s_or_b64 s[4:5], vcc, s[4:5]
	s_waitcnt vmcnt(0) lgkmcnt(0)
	v_fma_f64 v[129:130], v[135:136], v[137:138], v[129:130]
	s_andn2_b64 exec, exec, s[4:5]
	s_cbranch_execnz .LBB127_473
; %bb.474:
	s_or_b64 exec, exec, s[4:5]
.LBB127_475:
	s_or_b64 exec, exec, s[12:13]
	v_mov_b32_e32 v134, 0
	ds_read_b64 v[134:135], v134 offset:120
	s_waitcnt lgkmcnt(0)
	v_mul_f64 v[129:130], v[129:130], v[134:135]
	buffer_store_dword v130, off, s[0:3], 0 offset:124
	buffer_store_dword v129, off, s[0:3], 0 offset:120
.LBB127_476:
	s_or_b64 exec, exec, s[8:9]
	buffer_load_dword v129, off, s[0:3], 0 offset:112
	buffer_load_dword v130, off, s[0:3], 0 offset:116
	v_cmp_lt_u32_e64 s[4:5], 14, v0
	s_waitcnt vmcnt(0)
	ds_write_b64 v132, v[129:130]
	s_waitcnt lgkmcnt(0)
	; wave barrier
	s_and_saveexec_b64 s[8:9], s[4:5]
	s_cbranch_execz .LBB127_486
; %bb.477:
	s_andn2_b64 vcc, exec, s[10:11]
	s_cbranch_vccnz .LBB127_479
; %bb.478:
	buffer_load_dword v129, v133, s[0:3], 0 offen
	buffer_load_dword v130, v133, s[0:3], 0 offen offset:4
	ds_read_b64 v[134:135], v132
	s_waitcnt vmcnt(0) lgkmcnt(0)
	v_mul_f64 v[129:130], v[129:130], v[134:135]
	s_cbranch_execz .LBB127_480
	s_branch .LBB127_481
.LBB127_479:
                                        ; implicit-def: $vgpr129_vgpr130
.LBB127_480:
	ds_read_b64 v[129:130], v132
.LBB127_481:
	s_and_saveexec_b64 s[12:13], s[6:7]
	s_cbranch_execz .LBB127_485
; %bb.482:
	v_add_u32_e32 v134, -15, v0
	s_movk_i32 s29, 0x278
	s_mov_b64 s[6:7], 0
.LBB127_483:                            ; =>This Inner Loop Header: Depth=1
	v_mov_b32_e32 v136, s28
	buffer_load_dword v135, v136, s[0:3], 0 offen
	s_nop 0
	buffer_load_dword v136, v136, s[0:3], 0 offen offset:4
	v_mov_b32_e32 v137, s29
	ds_read_b64 v[137:138], v137
	v_add_u32_e32 v134, -1, v134
	s_add_i32 s29, s29, 8
	s_add_i32 s28, s28, 8
	v_cmp_eq_u32_e32 vcc, 0, v134
	s_or_b64 s[6:7], vcc, s[6:7]
	s_waitcnt vmcnt(0) lgkmcnt(0)
	v_fma_f64 v[129:130], v[135:136], v[137:138], v[129:130]
	s_andn2_b64 exec, exec, s[6:7]
	s_cbranch_execnz .LBB127_483
; %bb.484:
	s_or_b64 exec, exec, s[6:7]
.LBB127_485:
	s_or_b64 exec, exec, s[12:13]
	v_mov_b32_e32 v134, 0
	ds_read_b64 v[134:135], v134 offset:112
	s_waitcnt lgkmcnt(0)
	v_mul_f64 v[129:130], v[129:130], v[134:135]
	buffer_store_dword v130, off, s[0:3], 0 offset:116
	buffer_store_dword v129, off, s[0:3], 0 offset:112
.LBB127_486:
	;; [unrolled: 59-line block ×15, first 2 shown]
	s_or_b64 exec, exec, s[8:9]
	buffer_load_dword v129, off, s[0:3], 0
	buffer_load_dword v130, off, s[0:3], 0 offset:4
	v_cmp_ne_u32_e32 vcc, 0, v0
	s_waitcnt vmcnt(0)
	ds_write_b64 v132, v[129:130]
	s_waitcnt lgkmcnt(0)
	; wave barrier
	s_and_saveexec_b64 s[4:5], vcc
	s_cbranch_execz .LBB127_626
; %bb.617:
	s_andn2_b64 vcc, exec, s[10:11]
	s_cbranch_vccnz .LBB127_619
; %bb.618:
	buffer_load_dword v129, v133, s[0:3], 0 offen
	buffer_load_dword v130, v133, s[0:3], 0 offen offset:4
	ds_read_b64 v[134:135], v132
	s_waitcnt vmcnt(0) lgkmcnt(0)
	v_mul_f64 v[129:130], v[129:130], v[134:135]
	s_cbranch_execz .LBB127_620
	s_branch .LBB127_621
.LBB127_619:
                                        ; implicit-def: $vgpr129_vgpr130
.LBB127_620:
	ds_read_b64 v[129:130], v132
.LBB127_621:
	s_and_saveexec_b64 s[8:9], s[6:7]
	s_cbranch_execz .LBB127_625
; %bb.622:
	v_add_u32_e32 v134, -1, v0
	s_movk_i32 s12, 0x208
	s_mov_b64 s[6:7], 0
.LBB127_623:                            ; =>This Inner Loop Header: Depth=1
	v_mov_b32_e32 v136, s14
	buffer_load_dword v135, v136, s[0:3], 0 offen
	s_nop 0
	buffer_load_dword v136, v136, s[0:3], 0 offen offset:4
	v_mov_b32_e32 v137, s12
	ds_read_b64 v[137:138], v137
	v_add_u32_e32 v134, -1, v134
	s_add_i32 s12, s12, 8
	s_add_i32 s14, s14, 8
	v_cmp_eq_u32_e32 vcc, 0, v134
	s_or_b64 s[6:7], vcc, s[6:7]
	s_waitcnt vmcnt(0) lgkmcnt(0)
	v_fma_f64 v[129:130], v[135:136], v[137:138], v[129:130]
	s_andn2_b64 exec, exec, s[6:7]
	s_cbranch_execnz .LBB127_623
; %bb.624:
	s_or_b64 exec, exec, s[6:7]
.LBB127_625:
	s_or_b64 exec, exec, s[8:9]
	v_mov_b32_e32 v134, 0
	ds_read_b64 v[134:135], v134
	s_waitcnt lgkmcnt(0)
	v_mul_f64 v[129:130], v[129:130], v[134:135]
	buffer_store_dword v130, off, s[0:3], 0 offset:4
	buffer_store_dword v129, off, s[0:3], 0
.LBB127_626:
	s_or_b64 exec, exec, s[4:5]
	s_mov_b64 s[4:5], 0
.LBB127_627:
	s_and_b64 vcc, exec, s[4:5]
	s_cbranch_vccz .LBB127_1249
; %bb.628:
	buffer_load_dword v129, off, s[0:3], 0 offset:8
	buffer_load_dword v130, off, s[0:3], 0 offset:12
	v_cmp_eq_u32_e64 s[6:7], 0, v0
	s_waitcnt vmcnt(0)
	ds_write_b64 v132, v[129:130]
	s_waitcnt lgkmcnt(0)
	; wave barrier
	s_and_saveexec_b64 s[4:5], s[6:7]
	s_cbranch_execz .LBB127_634
; %bb.629:
	s_and_b64 vcc, exec, s[10:11]
	s_cbranch_vccz .LBB127_631
; %bb.630:
	buffer_load_dword v129, v133, s[0:3], 0 offen
	buffer_load_dword v130, v133, s[0:3], 0 offen offset:4
	ds_read_b64 v[134:135], v132
	s_waitcnt vmcnt(0) lgkmcnt(0)
	v_mul_f64 v[129:130], v[129:130], v[134:135]
	s_cbranch_execz .LBB127_632
	s_branch .LBB127_633
.LBB127_631:
                                        ; implicit-def: $vgpr129_vgpr130
.LBB127_632:
	ds_read_b64 v[129:130], v132
.LBB127_633:
	v_mov_b32_e32 v134, 0
	ds_read_b64 v[134:135], v134 offset:8
	s_waitcnt lgkmcnt(0)
	v_mul_f64 v[129:130], v[129:130], v[134:135]
	buffer_store_dword v130, off, s[0:3], 0 offset:12
	buffer_store_dword v129, off, s[0:3], 0 offset:8
.LBB127_634:
	s_or_b64 exec, exec, s[4:5]
	buffer_load_dword v129, off, s[0:3], 0 offset:16
	buffer_load_dword v130, off, s[0:3], 0 offset:20
	v_cndmask_b32_e64 v134, 0, 1, s[10:11]
	v_cmp_gt_u32_e32 vcc, 2, v0
	v_cmp_ne_u32_e64 s[4:5], 1, v134
	s_waitcnt vmcnt(0)
	ds_write_b64 v132, v[129:130]
	s_waitcnt lgkmcnt(0)
	; wave barrier
	s_and_saveexec_b64 s[8:9], vcc
	s_cbranch_execz .LBB127_640
; %bb.635:
	s_and_b64 vcc, exec, s[4:5]
	s_cbranch_vccnz .LBB127_637
; %bb.636:
	buffer_load_dword v129, v133, s[0:3], 0 offen
	buffer_load_dword v130, v133, s[0:3], 0 offen offset:4
	ds_read_b64 v[134:135], v132
	s_waitcnt vmcnt(0) lgkmcnt(0)
	v_mul_f64 v[129:130], v[129:130], v[134:135]
	s_cbranch_execz .LBB127_638
	s_branch .LBB127_639
.LBB127_637:
                                        ; implicit-def: $vgpr129_vgpr130
.LBB127_638:
	ds_read_b64 v[129:130], v132
.LBB127_639:
	buffer_load_dword v138, off, s[0:3], 0 offset:8
	buffer_load_dword v139, off, s[0:3], 0 offset:12
	v_mov_b32_e32 v134, 0
	ds_read2_b64 v[134:137], v134 offset0:2 offset1:65
	s_waitcnt vmcnt(0) lgkmcnt(0)
	v_fma_f64 v[136:137], v[138:139], v[136:137], v[129:130]
	v_cndmask_b32_e64 v130, v130, v137, s[6:7]
	v_cndmask_b32_e64 v129, v129, v136, s[6:7]
	v_mul_f64 v[129:130], v[129:130], v[134:135]
	buffer_store_dword v130, off, s[0:3], 0 offset:20
	buffer_store_dword v129, off, s[0:3], 0 offset:16
.LBB127_640:
	s_or_b64 exec, exec, s[8:9]
	buffer_load_dword v129, off, s[0:3], 0 offset:24
	buffer_load_dword v130, off, s[0:3], 0 offset:28
	v_cmp_gt_u32_e32 vcc, 3, v0
	s_waitcnt vmcnt(0)
	ds_write_b64 v132, v[129:130]
	s_waitcnt lgkmcnt(0)
	; wave barrier
	s_and_saveexec_b64 s[8:9], vcc
	s_cbranch_execz .LBB127_648
; %bb.641:
	s_and_b64 vcc, exec, s[4:5]
	s_cbranch_vccnz .LBB127_643
; %bb.642:
	buffer_load_dword v129, v133, s[0:3], 0 offen
	buffer_load_dword v130, v133, s[0:3], 0 offen offset:4
	ds_read_b64 v[134:135], v132
	s_waitcnt vmcnt(0) lgkmcnt(0)
	v_mul_f64 v[129:130], v[129:130], v[134:135]
	s_cbranch_execz .LBB127_644
	s_branch .LBB127_645
.LBB127_643:
                                        ; implicit-def: $vgpr129_vgpr130
.LBB127_644:
	ds_read_b64 v[129:130], v132
.LBB127_645:
	v_cmp_ne_u32_e32 vcc, 2, v0
	s_and_saveexec_b64 s[10:11], vcc
	s_cbranch_execz .LBB127_647
; %bb.646:
	buffer_load_dword v134, v133, s[0:3], 0 offen offset:8
	buffer_load_dword v135, v133, s[0:3], 0 offen offset:12
	buffer_load_dword v136, off, s[0:3], 0 offset:16
	buffer_load_dword v137, off, s[0:3], 0 offset:20
	ds_read_b64 v[138:139], v132 offset:8
	v_mov_b32_e32 v140, 0
	ds_read_b64 v[140:141], v140 offset:528
	s_waitcnt vmcnt(2) lgkmcnt(1)
	v_fma_f64 v[129:130], v[134:135], v[138:139], v[129:130]
	s_waitcnt vmcnt(0) lgkmcnt(0)
	v_fma_f64 v[134:135], v[136:137], v[140:141], v[129:130]
	v_cndmask_b32_e64 v130, v130, v135, s[6:7]
	v_cndmask_b32_e64 v129, v129, v134, s[6:7]
.LBB127_647:
	s_or_b64 exec, exec, s[10:11]
	v_mov_b32_e32 v134, 0
	ds_read_b64 v[134:135], v134 offset:24
	s_waitcnt lgkmcnt(0)
	v_mul_f64 v[129:130], v[129:130], v[134:135]
	buffer_store_dword v130, off, s[0:3], 0 offset:28
	buffer_store_dword v129, off, s[0:3], 0 offset:24
.LBB127_648:
	s_or_b64 exec, exec, s[8:9]
	buffer_load_dword v129, off, s[0:3], 0 offset:32
	buffer_load_dword v130, off, s[0:3], 0 offset:36
	v_cmp_gt_u32_e32 vcc, 4, v0
	s_waitcnt vmcnt(0)
	ds_write_b64 v132, v[129:130]
	s_waitcnt lgkmcnt(0)
	; wave barrier
	s_and_saveexec_b64 s[6:7], vcc
	s_cbranch_execz .LBB127_658
; %bb.649:
	s_and_b64 vcc, exec, s[4:5]
	s_cbranch_vccnz .LBB127_651
; %bb.650:
	buffer_load_dword v129, v133, s[0:3], 0 offen
	buffer_load_dword v130, v133, s[0:3], 0 offen offset:4
	ds_read_b64 v[134:135], v132
	s_waitcnt vmcnt(0) lgkmcnt(0)
	v_mul_f64 v[129:130], v[129:130], v[134:135]
	s_cbranch_execz .LBB127_652
	s_branch .LBB127_653
.LBB127_651:
                                        ; implicit-def: $vgpr129_vgpr130
.LBB127_652:
	ds_read_b64 v[129:130], v132
.LBB127_653:
	v_cmp_ne_u32_e32 vcc, 3, v0
	s_and_saveexec_b64 s[8:9], vcc
	s_cbranch_execz .LBB127_657
; %bb.654:
	s_mov_b32 s10, 0
	v_add_u32_e32 v134, 0x208, v131
	v_add3_u32 v135, v131, s10, 8
	s_mov_b64 s[10:11], 0
	v_mov_b32_e32 v136, v0
.LBB127_655:                            ; =>This Inner Loop Header: Depth=1
	buffer_load_dword v137, v135, s[0:3], 0 offen
	buffer_load_dword v138, v135, s[0:3], 0 offen offset:4
	ds_read_b64 v[139:140], v134
	v_add_u32_e32 v136, 1, v136
	v_cmp_lt_u32_e32 vcc, 2, v136
	v_add_u32_e32 v134, 8, v134
	s_or_b64 s[10:11], vcc, s[10:11]
	v_add_u32_e32 v135, 8, v135
	s_waitcnt vmcnt(0) lgkmcnt(0)
	v_fma_f64 v[129:130], v[137:138], v[139:140], v[129:130]
	s_andn2_b64 exec, exec, s[10:11]
	s_cbranch_execnz .LBB127_655
; %bb.656:
	s_or_b64 exec, exec, s[10:11]
.LBB127_657:
	s_or_b64 exec, exec, s[8:9]
	v_mov_b32_e32 v134, 0
	ds_read_b64 v[134:135], v134 offset:32
	s_waitcnt lgkmcnt(0)
	v_mul_f64 v[129:130], v[129:130], v[134:135]
	buffer_store_dword v130, off, s[0:3], 0 offset:36
	buffer_store_dword v129, off, s[0:3], 0 offset:32
.LBB127_658:
	s_or_b64 exec, exec, s[6:7]
	buffer_load_dword v129, off, s[0:3], 0 offset:40
	buffer_load_dword v130, off, s[0:3], 0 offset:44
	v_cmp_gt_u32_e32 vcc, 5, v0
	s_waitcnt vmcnt(0)
	ds_write_b64 v132, v[129:130]
	s_waitcnt lgkmcnt(0)
	; wave barrier
	s_and_saveexec_b64 s[6:7], vcc
	s_cbranch_execz .LBB127_668
; %bb.659:
	s_and_b64 vcc, exec, s[4:5]
	s_cbranch_vccnz .LBB127_661
; %bb.660:
	buffer_load_dword v129, v133, s[0:3], 0 offen
	buffer_load_dword v130, v133, s[0:3], 0 offen offset:4
	ds_read_b64 v[134:135], v132
	s_waitcnt vmcnt(0) lgkmcnt(0)
	v_mul_f64 v[129:130], v[129:130], v[134:135]
	s_cbranch_execz .LBB127_662
	s_branch .LBB127_663
.LBB127_661:
                                        ; implicit-def: $vgpr129_vgpr130
.LBB127_662:
	ds_read_b64 v[129:130], v132
.LBB127_663:
	v_cmp_ne_u32_e32 vcc, 4, v0
	s_and_saveexec_b64 s[8:9], vcc
	s_cbranch_execz .LBB127_667
; %bb.664:
	s_mov_b32 s10, 0
	v_add_u32_e32 v134, 0x208, v131
	v_add3_u32 v135, v131, s10, 8
	s_mov_b64 s[10:11], 0
	v_mov_b32_e32 v136, v0
.LBB127_665:                            ; =>This Inner Loop Header: Depth=1
	buffer_load_dword v137, v135, s[0:3], 0 offen
	buffer_load_dword v138, v135, s[0:3], 0 offen offset:4
	ds_read_b64 v[139:140], v134
	v_add_u32_e32 v136, 1, v136
	v_cmp_lt_u32_e32 vcc, 3, v136
	v_add_u32_e32 v134, 8, v134
	s_or_b64 s[10:11], vcc, s[10:11]
	v_add_u32_e32 v135, 8, v135
	s_waitcnt vmcnt(0) lgkmcnt(0)
	v_fma_f64 v[129:130], v[137:138], v[139:140], v[129:130]
	s_andn2_b64 exec, exec, s[10:11]
	s_cbranch_execnz .LBB127_665
; %bb.666:
	s_or_b64 exec, exec, s[10:11]
.LBB127_667:
	s_or_b64 exec, exec, s[8:9]
	v_mov_b32_e32 v134, 0
	ds_read_b64 v[134:135], v134 offset:40
	s_waitcnt lgkmcnt(0)
	v_mul_f64 v[129:130], v[129:130], v[134:135]
	buffer_store_dword v130, off, s[0:3], 0 offset:44
	buffer_store_dword v129, off, s[0:3], 0 offset:40
.LBB127_668:
	;; [unrolled: 59-line block ×35, first 2 shown]
	s_or_b64 exec, exec, s[6:7]
	buffer_load_dword v129, off, s[0:3], 0 offset:312
	buffer_load_dword v130, off, s[0:3], 0 offset:316
	v_cmp_gt_u32_e32 vcc, 39, v0
	s_waitcnt vmcnt(0)
	ds_write_b64 v132, v[129:130]
	s_waitcnt lgkmcnt(0)
	; wave barrier
	s_and_saveexec_b64 s[6:7], vcc
	s_cbranch_execz .LBB127_1008
; %bb.999:
	s_and_b64 vcc, exec, s[4:5]
	s_cbranch_vccnz .LBB127_1001
; %bb.1000:
	buffer_load_dword v129, v133, s[0:3], 0 offen
	buffer_load_dword v130, v133, s[0:3], 0 offen offset:4
	ds_read_b64 v[134:135], v132
	s_waitcnt vmcnt(0) lgkmcnt(0)
	v_mul_f64 v[129:130], v[129:130], v[134:135]
	s_cbranch_execz .LBB127_1002
	s_branch .LBB127_1003
.LBB127_1001:
                                        ; implicit-def: $vgpr129_vgpr130
.LBB127_1002:
	ds_read_b64 v[129:130], v132
.LBB127_1003:
	v_cmp_ne_u32_e32 vcc, 38, v0
	s_and_saveexec_b64 s[8:9], vcc
	s_cbranch_execz .LBB127_1007
; %bb.1004:
	s_mov_b32 s10, 0
	v_add_u32_e32 v134, 0x208, v131
	v_add3_u32 v135, v131, s10, 8
	s_mov_b64 s[10:11], 0
	v_mov_b32_e32 v136, v0
.LBB127_1005:                           ; =>This Inner Loop Header: Depth=1
	buffer_load_dword v137, v135, s[0:3], 0 offen
	buffer_load_dword v138, v135, s[0:3], 0 offen offset:4
	ds_read_b64 v[139:140], v134
	v_add_u32_e32 v136, 1, v136
	v_cmp_lt_u32_e32 vcc, 37, v136
	v_add_u32_e32 v134, 8, v134
	s_or_b64 s[10:11], vcc, s[10:11]
	v_add_u32_e32 v135, 8, v135
	s_waitcnt vmcnt(0) lgkmcnt(0)
	v_fma_f64 v[129:130], v[137:138], v[139:140], v[129:130]
	s_andn2_b64 exec, exec, s[10:11]
	s_cbranch_execnz .LBB127_1005
; %bb.1006:
	s_or_b64 exec, exec, s[10:11]
.LBB127_1007:
	s_or_b64 exec, exec, s[8:9]
	v_mov_b32_e32 v134, 0
	ds_read_b64 v[134:135], v134 offset:312
	s_waitcnt lgkmcnt(0)
	v_mul_f64 v[129:130], v[129:130], v[134:135]
	buffer_store_dword v130, off, s[0:3], 0 offset:316
	buffer_store_dword v129, off, s[0:3], 0 offset:312
.LBB127_1008:
	s_or_b64 exec, exec, s[6:7]
	buffer_load_dword v129, off, s[0:3], 0 offset:320
	buffer_load_dword v130, off, s[0:3], 0 offset:324
	v_cmp_gt_u32_e32 vcc, 40, v0
	s_waitcnt vmcnt(0)
	ds_write_b64 v132, v[129:130]
	s_waitcnt lgkmcnt(0)
	; wave barrier
	s_and_saveexec_b64 s[6:7], vcc
	s_cbranch_execz .LBB127_1018
; %bb.1009:
	s_and_b64 vcc, exec, s[4:5]
	s_cbranch_vccnz .LBB127_1011
; %bb.1010:
	buffer_load_dword v129, v133, s[0:3], 0 offen
	buffer_load_dword v130, v133, s[0:3], 0 offen offset:4
	ds_read_b64 v[134:135], v132
	s_waitcnt vmcnt(0) lgkmcnt(0)
	v_mul_f64 v[129:130], v[129:130], v[134:135]
	s_cbranch_execz .LBB127_1012
	s_branch .LBB127_1013
.LBB127_1011:
                                        ; implicit-def: $vgpr129_vgpr130
.LBB127_1012:
	ds_read_b64 v[129:130], v132
.LBB127_1013:
	v_cmp_ne_u32_e32 vcc, 39, v0
	s_and_saveexec_b64 s[8:9], vcc
	s_cbranch_execz .LBB127_1017
; %bb.1014:
	s_mov_b32 s10, 0
	v_add_u32_e32 v134, 0x208, v131
	v_add3_u32 v135, v131, s10, 8
	s_mov_b64 s[10:11], 0
	v_mov_b32_e32 v136, v0
.LBB127_1015:                           ; =>This Inner Loop Header: Depth=1
	buffer_load_dword v137, v135, s[0:3], 0 offen
	buffer_load_dword v138, v135, s[0:3], 0 offen offset:4
	ds_read_b64 v[139:140], v134
	v_add_u32_e32 v136, 1, v136
	v_cmp_lt_u32_e32 vcc, 38, v136
	v_add_u32_e32 v134, 8, v134
	s_or_b64 s[10:11], vcc, s[10:11]
	v_add_u32_e32 v135, 8, v135
	s_waitcnt vmcnt(0) lgkmcnt(0)
	v_fma_f64 v[129:130], v[137:138], v[139:140], v[129:130]
	s_andn2_b64 exec, exec, s[10:11]
	s_cbranch_execnz .LBB127_1015
; %bb.1016:
	s_or_b64 exec, exec, s[10:11]
.LBB127_1017:
	s_or_b64 exec, exec, s[8:9]
	v_mov_b32_e32 v134, 0
	ds_read_b64 v[134:135], v134 offset:320
	s_waitcnt lgkmcnt(0)
	v_mul_f64 v[129:130], v[129:130], v[134:135]
	buffer_store_dword v130, off, s[0:3], 0 offset:324
	buffer_store_dword v129, off, s[0:3], 0 offset:320
.LBB127_1018:
	;; [unrolled: 59-line block ×23, first 2 shown]
	s_or_b64 exec, exec, s[6:7]
	buffer_load_dword v129, off, s[0:3], 0 offset:496
	buffer_load_dword v130, off, s[0:3], 0 offset:500
	v_cmp_gt_u32_e64 s[6:7], 62, v0
	s_waitcnt vmcnt(0)
	ds_write_b64 v132, v[129:130]
	s_waitcnt lgkmcnt(0)
	; wave barrier
	s_and_saveexec_b64 s[8:9], s[6:7]
	s_cbranch_execz .LBB127_1238
; %bb.1229:
	s_and_b64 vcc, exec, s[4:5]
	s_cbranch_vccnz .LBB127_1231
; %bb.1230:
	buffer_load_dword v129, v133, s[0:3], 0 offen
	buffer_load_dword v130, v133, s[0:3], 0 offen offset:4
	ds_read_b64 v[134:135], v132
	s_waitcnt vmcnt(0) lgkmcnt(0)
	v_mul_f64 v[129:130], v[129:130], v[134:135]
	s_cbranch_execz .LBB127_1232
	s_branch .LBB127_1233
.LBB127_1231:
                                        ; implicit-def: $vgpr129_vgpr130
.LBB127_1232:
	ds_read_b64 v[129:130], v132
.LBB127_1233:
	v_cmp_ne_u32_e32 vcc, 61, v0
	s_and_saveexec_b64 s[10:11], vcc
	s_cbranch_execz .LBB127_1237
; %bb.1234:
	s_mov_b32 s12, 0
	v_add_u32_e32 v134, 0x208, v131
	v_add3_u32 v135, v131, s12, 8
	s_mov_b64 s[12:13], 0
	v_mov_b32_e32 v136, v0
.LBB127_1235:                           ; =>This Inner Loop Header: Depth=1
	buffer_load_dword v137, v135, s[0:3], 0 offen
	buffer_load_dword v138, v135, s[0:3], 0 offen offset:4
	ds_read_b64 v[139:140], v134
	v_add_u32_e32 v136, 1, v136
	v_cmp_lt_u32_e32 vcc, 60, v136
	v_add_u32_e32 v134, 8, v134
	s_or_b64 s[12:13], vcc, s[12:13]
	v_add_u32_e32 v135, 8, v135
	s_waitcnt vmcnt(0) lgkmcnt(0)
	v_fma_f64 v[129:130], v[137:138], v[139:140], v[129:130]
	s_andn2_b64 exec, exec, s[12:13]
	s_cbranch_execnz .LBB127_1235
; %bb.1236:
	s_or_b64 exec, exec, s[12:13]
.LBB127_1237:
	s_or_b64 exec, exec, s[10:11]
	v_mov_b32_e32 v134, 0
	ds_read_b64 v[134:135], v134 offset:496
	s_waitcnt lgkmcnt(0)
	v_mul_f64 v[129:130], v[129:130], v[134:135]
	buffer_store_dword v130, off, s[0:3], 0 offset:500
	buffer_store_dword v129, off, s[0:3], 0 offset:496
.LBB127_1238:
	s_or_b64 exec, exec, s[8:9]
	buffer_load_dword v129, off, s[0:3], 0 offset:504
	buffer_load_dword v130, off, s[0:3], 0 offset:508
	v_cmp_ne_u32_e32 vcc, 63, v0
	s_waitcnt vmcnt(0)
	ds_write_b64 v132, v[129:130]
	s_waitcnt lgkmcnt(0)
	; wave barrier
	s_and_saveexec_b64 s[8:9], vcc
	s_cbranch_execz .LBB127_1248
; %bb.1239:
	s_and_b64 vcc, exec, s[4:5]
	s_cbranch_vccnz .LBB127_1241
; %bb.1240:
	buffer_load_dword v129, v133, s[0:3], 0 offen
	buffer_load_dword v130, v133, s[0:3], 0 offen offset:4
	ds_read_b64 v[133:134], v132
	s_waitcnt vmcnt(0) lgkmcnt(0)
	v_mul_f64 v[129:130], v[129:130], v[133:134]
	s_cbranch_execz .LBB127_1242
	s_branch .LBB127_1243
.LBB127_1241:
                                        ; implicit-def: $vgpr129_vgpr130
.LBB127_1242:
	ds_read_b64 v[129:130], v132
.LBB127_1243:
	s_and_saveexec_b64 s[4:5], s[6:7]
	s_cbranch_execz .LBB127_1247
; %bb.1244:
	s_mov_b32 s6, 0
	v_add_u32_e32 v132, 0x208, v131
	v_add3_u32 v131, v131, s6, 8
	s_mov_b64 s[6:7], 0
.LBB127_1245:                           ; =>This Inner Loop Header: Depth=1
	buffer_load_dword v133, v131, s[0:3], 0 offen
	buffer_load_dword v134, v131, s[0:3], 0 offen offset:4
	ds_read_b64 v[135:136], v132
	v_add_u32_e32 v0, 1, v0
	v_cmp_lt_u32_e32 vcc, 61, v0
	v_add_u32_e32 v132, 8, v132
	s_or_b64 s[6:7], vcc, s[6:7]
	v_add_u32_e32 v131, 8, v131
	s_waitcnt vmcnt(0) lgkmcnt(0)
	v_fma_f64 v[129:130], v[133:134], v[135:136], v[129:130]
	s_andn2_b64 exec, exec, s[6:7]
	s_cbranch_execnz .LBB127_1245
; %bb.1246:
	s_or_b64 exec, exec, s[6:7]
.LBB127_1247:
	s_or_b64 exec, exec, s[4:5]
	v_mov_b32_e32 v0, 0
	ds_read_b64 v[131:132], v0 offset:504
	s_waitcnt lgkmcnt(0)
	v_mul_f64 v[129:130], v[129:130], v[131:132]
	buffer_store_dword v130, off, s[0:3], 0 offset:508
	buffer_store_dword v129, off, s[0:3], 0 offset:504
.LBB127_1248:
	s_or_b64 exec, exec, s[8:9]
.LBB127_1249:
	buffer_load_dword v129, off, s[0:3], 0
	buffer_load_dword v130, off, s[0:3], 0 offset:4
	s_waitcnt vmcnt(0)
	flat_store_dwordx2 v[1:2], v[129:130]
	buffer_load_dword v0, off, s[0:3], 0 offset:8
	s_nop 0
	buffer_load_dword v1, off, s[0:3], 0 offset:12
	s_waitcnt vmcnt(0)
	flat_store_dwordx2 v[3:4], v[0:1]
	buffer_load_dword v0, off, s[0:3], 0 offset:16
	s_nop 0
	;; [unrolled: 5-line block ×63, first 2 shown]
	buffer_load_dword v1, off, s[0:3], 0 offset:508
	s_waitcnt vmcnt(0)
	flat_store_dwordx2 v[127:128], v[0:1]
.LBB127_1250:
	s_endpgm
	.section	.rodata,"a",@progbits
	.p2align	6, 0x0
	.amdhsa_kernel _ZN9rocsolver6v33100L18trti2_kernel_smallILi64EdPKPdEEv13rocblas_fill_17rocblas_diagonal_T1_iil
		.amdhsa_group_segment_fixed_size 1024
		.amdhsa_private_segment_fixed_size 528
		.amdhsa_kernarg_size 32
		.amdhsa_user_sgpr_count 6
		.amdhsa_user_sgpr_private_segment_buffer 1
		.amdhsa_user_sgpr_dispatch_ptr 0
		.amdhsa_user_sgpr_queue_ptr 0
		.amdhsa_user_sgpr_kernarg_segment_ptr 1
		.amdhsa_user_sgpr_dispatch_id 0
		.amdhsa_user_sgpr_flat_scratch_init 0
		.amdhsa_user_sgpr_private_segment_size 0
		.amdhsa_uses_dynamic_stack 0
		.amdhsa_system_sgpr_private_segment_wavefront_offset 1
		.amdhsa_system_sgpr_workgroup_id_x 1
		.amdhsa_system_sgpr_workgroup_id_y 0
		.amdhsa_system_sgpr_workgroup_id_z 0
		.amdhsa_system_sgpr_workgroup_info 0
		.amdhsa_system_vgpr_workitem_id 0
		.amdhsa_next_free_vgpr 142
		.amdhsa_next_free_sgpr 77
		.amdhsa_reserve_vcc 1
		.amdhsa_reserve_flat_scratch 0
		.amdhsa_float_round_mode_32 0
		.amdhsa_float_round_mode_16_64 0
		.amdhsa_float_denorm_mode_32 3
		.amdhsa_float_denorm_mode_16_64 3
		.amdhsa_dx10_clamp 1
		.amdhsa_ieee_mode 1
		.amdhsa_fp16_overflow 0
		.amdhsa_exception_fp_ieee_invalid_op 0
		.amdhsa_exception_fp_denorm_src 0
		.amdhsa_exception_fp_ieee_div_zero 0
		.amdhsa_exception_fp_ieee_overflow 0
		.amdhsa_exception_fp_ieee_underflow 0
		.amdhsa_exception_fp_ieee_inexact 0
		.amdhsa_exception_int_div_zero 0
	.end_amdhsa_kernel
	.section	.text._ZN9rocsolver6v33100L18trti2_kernel_smallILi64EdPKPdEEv13rocblas_fill_17rocblas_diagonal_T1_iil,"axG",@progbits,_ZN9rocsolver6v33100L18trti2_kernel_smallILi64EdPKPdEEv13rocblas_fill_17rocblas_diagonal_T1_iil,comdat
.Lfunc_end127:
	.size	_ZN9rocsolver6v33100L18trti2_kernel_smallILi64EdPKPdEEv13rocblas_fill_17rocblas_diagonal_T1_iil, .Lfunc_end127-_ZN9rocsolver6v33100L18trti2_kernel_smallILi64EdPKPdEEv13rocblas_fill_17rocblas_diagonal_T1_iil
                                        ; -- End function
	.set _ZN9rocsolver6v33100L18trti2_kernel_smallILi64EdPKPdEEv13rocblas_fill_17rocblas_diagonal_T1_iil.num_vgpr, 142
	.set _ZN9rocsolver6v33100L18trti2_kernel_smallILi64EdPKPdEEv13rocblas_fill_17rocblas_diagonal_T1_iil.num_agpr, 0
	.set _ZN9rocsolver6v33100L18trti2_kernel_smallILi64EdPKPdEEv13rocblas_fill_17rocblas_diagonal_T1_iil.numbered_sgpr, 77
	.set _ZN9rocsolver6v33100L18trti2_kernel_smallILi64EdPKPdEEv13rocblas_fill_17rocblas_diagonal_T1_iil.num_named_barrier, 0
	.set _ZN9rocsolver6v33100L18trti2_kernel_smallILi64EdPKPdEEv13rocblas_fill_17rocblas_diagonal_T1_iil.private_seg_size, 528
	.set _ZN9rocsolver6v33100L18trti2_kernel_smallILi64EdPKPdEEv13rocblas_fill_17rocblas_diagonal_T1_iil.uses_vcc, 1
	.set _ZN9rocsolver6v33100L18trti2_kernel_smallILi64EdPKPdEEv13rocblas_fill_17rocblas_diagonal_T1_iil.uses_flat_scratch, 0
	.set _ZN9rocsolver6v33100L18trti2_kernel_smallILi64EdPKPdEEv13rocblas_fill_17rocblas_diagonal_T1_iil.has_dyn_sized_stack, 0
	.set _ZN9rocsolver6v33100L18trti2_kernel_smallILi64EdPKPdEEv13rocblas_fill_17rocblas_diagonal_T1_iil.has_recursion, 0
	.set _ZN9rocsolver6v33100L18trti2_kernel_smallILi64EdPKPdEEv13rocblas_fill_17rocblas_diagonal_T1_iil.has_indirect_call, 0
	.section	.AMDGPU.csdata,"",@progbits
; Kernel info:
; codeLenInByte = 38336
; TotalNumSgprs: 81
; NumVgprs: 142
; ScratchSize: 528
; MemoryBound: 0
; FloatMode: 240
; IeeeMode: 1
; LDSByteSize: 1024 bytes/workgroup (compile time only)
; SGPRBlocks: 10
; VGPRBlocks: 35
; NumSGPRsForWavesPerEU: 81
; NumVGPRsForWavesPerEU: 142
; Occupancy: 1
; WaveLimiterHint : 1
; COMPUTE_PGM_RSRC2:SCRATCH_EN: 1
; COMPUTE_PGM_RSRC2:USER_SGPR: 6
; COMPUTE_PGM_RSRC2:TRAP_HANDLER: 0
; COMPUTE_PGM_RSRC2:TGID_X_EN: 1
; COMPUTE_PGM_RSRC2:TGID_Y_EN: 0
; COMPUTE_PGM_RSRC2:TGID_Z_EN: 0
; COMPUTE_PGM_RSRC2:TIDIG_COMP_CNT: 0
	.section	.AMDGPU.gpr_maximums,"",@progbits
	.set amdgpu.max_num_vgpr, 0
	.set amdgpu.max_num_agpr, 0
	.set amdgpu.max_num_sgpr, 0
	.section	.AMDGPU.csdata,"",@progbits
	.type	__hip_cuid_b25259e6b63b6758,@object ; @__hip_cuid_b25259e6b63b6758
	.section	.bss,"aw",@nobits
	.globl	__hip_cuid_b25259e6b63b6758
__hip_cuid_b25259e6b63b6758:
	.byte	0                               ; 0x0
	.size	__hip_cuid_b25259e6b63b6758, 1

	.ident	"AMD clang version 22.0.0git (https://github.com/RadeonOpenCompute/llvm-project roc-7.2.4 26084 f58b06dce1f9c15707c5f808fd002e18c2accf7e)"
	.section	".note.GNU-stack","",@progbits
	.addrsig
	.addrsig_sym __hip_cuid_b25259e6b63b6758
	.amdgpu_metadata
---
amdhsa.kernels:
  - .args:
      - .offset:         0
        .size:           4
        .value_kind:     by_value
      - .offset:         4
        .size:           4
        .value_kind:     by_value
      - .address_space:  global
        .offset:         8
        .size:           8
        .value_kind:     global_buffer
      - .offset:         16
        .size:           4
        .value_kind:     by_value
      - .offset:         20
        .size:           4
        .value_kind:     by_value
      - .offset:         24
        .size:           8
        .value_kind:     by_value
    .group_segment_fixed_size: 0
    .kernarg_segment_align: 8
    .kernarg_segment_size: 32
    .language:       OpenCL C
    .language_version:
      - 2
      - 0
    .max_flat_workgroup_size: 64
    .name:           _ZN9rocsolver6v33100L18trti2_kernel_smallILi1EdPdEEv13rocblas_fill_17rocblas_diagonal_T1_iil
    .private_segment_fixed_size: 0
    .sgpr_count:     15
    .sgpr_spill_count: 0
    .symbol:         _ZN9rocsolver6v33100L18trti2_kernel_smallILi1EdPdEEv13rocblas_fill_17rocblas_diagonal_T1_iil.kd
    .uniform_work_group_size: 1
    .uses_dynamic_stack: false
    .vgpr_count:     8
    .vgpr_spill_count: 0
    .wavefront_size: 64
  - .args:
      - .offset:         0
        .size:           4
        .value_kind:     by_value
      - .offset:         4
        .size:           4
        .value_kind:     by_value
      - .address_space:  global
        .offset:         8
        .size:           8
        .value_kind:     global_buffer
      - .offset:         16
        .size:           4
        .value_kind:     by_value
      - .offset:         20
        .size:           4
        .value_kind:     by_value
      - .offset:         24
        .size:           8
        .value_kind:     by_value
    .group_segment_fixed_size: 32
    .kernarg_segment_align: 8
    .kernarg_segment_size: 32
    .language:       OpenCL C
    .language_version:
      - 2
      - 0
    .max_flat_workgroup_size: 64
    .name:           _ZN9rocsolver6v33100L18trti2_kernel_smallILi2EdPdEEv13rocblas_fill_17rocblas_diagonal_T1_iil
    .private_segment_fixed_size: 0
    .sgpr_count:     20
    .sgpr_spill_count: 0
    .symbol:         _ZN9rocsolver6v33100L18trti2_kernel_smallILi2EdPdEEv13rocblas_fill_17rocblas_diagonal_T1_iil.kd
    .uniform_work_group_size: 1
    .uses_dynamic_stack: false
    .vgpr_count:     21
    .vgpr_spill_count: 0
    .wavefront_size: 64
  - .args:
      - .offset:         0
        .size:           4
        .value_kind:     by_value
      - .offset:         4
        .size:           4
        .value_kind:     by_value
      - .address_space:  global
        .offset:         8
        .size:           8
        .value_kind:     global_buffer
      - .offset:         16
        .size:           4
        .value_kind:     by_value
      - .offset:         20
        .size:           4
        .value_kind:     by_value
      - .offset:         24
        .size:           8
        .value_kind:     by_value
    .group_segment_fixed_size: 56
    .kernarg_segment_align: 8
    .kernarg_segment_size: 32
    .language:       OpenCL C
    .language_version:
      - 2
      - 0
    .max_flat_workgroup_size: 64
    .name:           _ZN9rocsolver6v33100L18trti2_kernel_smallILi3EdPdEEv13rocblas_fill_17rocblas_diagonal_T1_iil
    .private_segment_fixed_size: 0
    .sgpr_count:     20
    .sgpr_spill_count: 0
    .symbol:         _ZN9rocsolver6v33100L18trti2_kernel_smallILi3EdPdEEv13rocblas_fill_17rocblas_diagonal_T1_iil.kd
    .uniform_work_group_size: 1
    .uses_dynamic_stack: false
    .vgpr_count:     25
    .vgpr_spill_count: 0
    .wavefront_size: 64
  - .args:
      - .offset:         0
        .size:           4
        .value_kind:     by_value
      - .offset:         4
        .size:           4
        .value_kind:     by_value
      - .address_space:  global
        .offset:         8
        .size:           8
        .value_kind:     global_buffer
      - .offset:         16
        .size:           4
        .value_kind:     by_value
      - .offset:         20
        .size:           4
        .value_kind:     by_value
      - .offset:         24
        .size:           8
        .value_kind:     by_value
    .group_segment_fixed_size: 64
    .kernarg_segment_align: 8
    .kernarg_segment_size: 32
    .language:       OpenCL C
    .language_version:
      - 2
      - 0
    .max_flat_workgroup_size: 64
    .name:           _ZN9rocsolver6v33100L18trti2_kernel_smallILi4EdPdEEv13rocblas_fill_17rocblas_diagonal_T1_iil
    .private_segment_fixed_size: 0
    .sgpr_count:     21
    .sgpr_spill_count: 0
    .symbol:         _ZN9rocsolver6v33100L18trti2_kernel_smallILi4EdPdEEv13rocblas_fill_17rocblas_diagonal_T1_iil.kd
    .uniform_work_group_size: 1
    .uses_dynamic_stack: false
    .vgpr_count:     37
    .vgpr_spill_count: 0
    .wavefront_size: 64
  - .args:
      - .offset:         0
        .size:           4
        .value_kind:     by_value
      - .offset:         4
        .size:           4
        .value_kind:     by_value
      - .address_space:  global
        .offset:         8
        .size:           8
        .value_kind:     global_buffer
      - .offset:         16
        .size:           4
        .value_kind:     by_value
      - .offset:         20
        .size:           4
        .value_kind:     by_value
      - .offset:         24
        .size:           8
        .value_kind:     by_value
    .group_segment_fixed_size: 88
    .kernarg_segment_align: 8
    .kernarg_segment_size: 32
    .language:       OpenCL C
    .language_version:
      - 2
      - 0
    .max_flat_workgroup_size: 64
    .name:           _ZN9rocsolver6v33100L18trti2_kernel_smallILi5EdPdEEv13rocblas_fill_17rocblas_diagonal_T1_iil
    .private_segment_fixed_size: 0
    .sgpr_count:     22
    .sgpr_spill_count: 0
    .symbol:         _ZN9rocsolver6v33100L18trti2_kernel_smallILi5EdPdEEv13rocblas_fill_17rocblas_diagonal_T1_iil.kd
    .uniform_work_group_size: 1
    .uses_dynamic_stack: false
    .vgpr_count:     56
    .vgpr_spill_count: 0
    .wavefront_size: 64
  - .args:
      - .offset:         0
        .size:           4
        .value_kind:     by_value
      - .offset:         4
        .size:           4
        .value_kind:     by_value
      - .address_space:  global
        .offset:         8
        .size:           8
        .value_kind:     global_buffer
      - .offset:         16
        .size:           4
        .value_kind:     by_value
      - .offset:         20
        .size:           4
        .value_kind:     by_value
      - .offset:         24
        .size:           8
        .value_kind:     by_value
    .group_segment_fixed_size: 96
    .kernarg_segment_align: 8
    .kernarg_segment_size: 32
    .language:       OpenCL C
    .language_version:
      - 2
      - 0
    .max_flat_workgroup_size: 64
    .name:           _ZN9rocsolver6v33100L18trti2_kernel_smallILi6EdPdEEv13rocblas_fill_17rocblas_diagonal_T1_iil
    .private_segment_fixed_size: 0
    .sgpr_count:     24
    .sgpr_spill_count: 0
    .symbol:         _ZN9rocsolver6v33100L18trti2_kernel_smallILi6EdPdEEv13rocblas_fill_17rocblas_diagonal_T1_iil.kd
    .uniform_work_group_size: 1
    .uses_dynamic_stack: false
    .vgpr_count:     63
    .vgpr_spill_count: 0
    .wavefront_size: 64
  - .args:
      - .offset:         0
        .size:           4
        .value_kind:     by_value
      - .offset:         4
        .size:           4
        .value_kind:     by_value
      - .address_space:  global
        .offset:         8
        .size:           8
        .value_kind:     global_buffer
      - .offset:         16
        .size:           4
        .value_kind:     by_value
      - .offset:         20
        .size:           4
        .value_kind:     by_value
      - .offset:         24
        .size:           8
        .value_kind:     by_value
    .group_segment_fixed_size: 120
    .kernarg_segment_align: 8
    .kernarg_segment_size: 32
    .language:       OpenCL C
    .language_version:
      - 2
      - 0
    .max_flat_workgroup_size: 64
    .name:           _ZN9rocsolver6v33100L18trti2_kernel_smallILi7EdPdEEv13rocblas_fill_17rocblas_diagonal_T1_iil
    .private_segment_fixed_size: 0
    .sgpr_count:     24
    .sgpr_spill_count: 0
    .symbol:         _ZN9rocsolver6v33100L18trti2_kernel_smallILi7EdPdEEv13rocblas_fill_17rocblas_diagonal_T1_iil.kd
    .uniform_work_group_size: 1
    .uses_dynamic_stack: false
    .vgpr_count:     67
    .vgpr_spill_count: 0
    .wavefront_size: 64
  - .args:
      - .offset:         0
        .size:           4
        .value_kind:     by_value
      - .offset:         4
        .size:           4
        .value_kind:     by_value
      - .address_space:  global
        .offset:         8
        .size:           8
        .value_kind:     global_buffer
      - .offset:         16
        .size:           4
        .value_kind:     by_value
      - .offset:         20
        .size:           4
        .value_kind:     by_value
      - .offset:         24
        .size:           8
        .value_kind:     by_value
    .group_segment_fixed_size: 128
    .kernarg_segment_align: 8
    .kernarg_segment_size: 32
    .language:       OpenCL C
    .language_version:
      - 2
      - 0
    .max_flat_workgroup_size: 64
    .name:           _ZN9rocsolver6v33100L18trti2_kernel_smallILi8EdPdEEv13rocblas_fill_17rocblas_diagonal_T1_iil
    .private_segment_fixed_size: 0
    .sgpr_count:     28
    .sgpr_spill_count: 0
    .symbol:         _ZN9rocsolver6v33100L18trti2_kernel_smallILi8EdPdEEv13rocblas_fill_17rocblas_diagonal_T1_iil.kd
    .uniform_work_group_size: 1
    .uses_dynamic_stack: false
    .vgpr_count:     71
    .vgpr_spill_count: 0
    .wavefront_size: 64
  - .args:
      - .offset:         0
        .size:           4
        .value_kind:     by_value
      - .offset:         4
        .size:           4
        .value_kind:     by_value
      - .address_space:  global
        .offset:         8
        .size:           8
        .value_kind:     global_buffer
      - .offset:         16
        .size:           4
        .value_kind:     by_value
      - .offset:         20
        .size:           4
        .value_kind:     by_value
      - .offset:         24
        .size:           8
        .value_kind:     by_value
    .group_segment_fixed_size: 152
    .kernarg_segment_align: 8
    .kernarg_segment_size: 32
    .language:       OpenCL C
    .language_version:
      - 2
      - 0
    .max_flat_workgroup_size: 64
    .name:           _ZN9rocsolver6v33100L18trti2_kernel_smallILi9EdPdEEv13rocblas_fill_17rocblas_diagonal_T1_iil
    .private_segment_fixed_size: 0
    .sgpr_count:     28
    .sgpr_spill_count: 0
    .symbol:         _ZN9rocsolver6v33100L18trti2_kernel_smallILi9EdPdEEv13rocblas_fill_17rocblas_diagonal_T1_iil.kd
    .uniform_work_group_size: 1
    .uses_dynamic_stack: false
    .vgpr_count:     92
    .vgpr_spill_count: 0
    .wavefront_size: 64
  - .args:
      - .offset:         0
        .size:           4
        .value_kind:     by_value
      - .offset:         4
        .size:           4
        .value_kind:     by_value
      - .address_space:  global
        .offset:         8
        .size:           8
        .value_kind:     global_buffer
      - .offset:         16
        .size:           4
        .value_kind:     by_value
      - .offset:         20
        .size:           4
        .value_kind:     by_value
      - .offset:         24
        .size:           8
        .value_kind:     by_value
    .group_segment_fixed_size: 160
    .kernarg_segment_align: 8
    .kernarg_segment_size: 32
    .language:       OpenCL C
    .language_version:
      - 2
      - 0
    .max_flat_workgroup_size: 64
    .name:           _ZN9rocsolver6v33100L18trti2_kernel_smallILi10EdPdEEv13rocblas_fill_17rocblas_diagonal_T1_iil
    .private_segment_fixed_size: 0
    .sgpr_count:     40
    .sgpr_spill_count: 0
    .symbol:         _ZN9rocsolver6v33100L18trti2_kernel_smallILi10EdPdEEv13rocblas_fill_17rocblas_diagonal_T1_iil.kd
    .uniform_work_group_size: 1
    .uses_dynamic_stack: false
    .vgpr_count:     96
    .vgpr_spill_count: 0
    .wavefront_size: 64
  - .args:
      - .offset:         0
        .size:           4
        .value_kind:     by_value
      - .offset:         4
        .size:           4
        .value_kind:     by_value
      - .address_space:  global
        .offset:         8
        .size:           8
        .value_kind:     global_buffer
      - .offset:         16
        .size:           4
        .value_kind:     by_value
      - .offset:         20
        .size:           4
        .value_kind:     by_value
      - .offset:         24
        .size:           8
        .value_kind:     by_value
    .group_segment_fixed_size: 184
    .kernarg_segment_align: 8
    .kernarg_segment_size: 32
    .language:       OpenCL C
    .language_version:
      - 2
      - 0
    .max_flat_workgroup_size: 64
    .name:           _ZN9rocsolver6v33100L18trti2_kernel_smallILi11EdPdEEv13rocblas_fill_17rocblas_diagonal_T1_iil
    .private_segment_fixed_size: 0
    .sgpr_count:     46
    .sgpr_spill_count: 0
    .symbol:         _ZN9rocsolver6v33100L18trti2_kernel_smallILi11EdPdEEv13rocblas_fill_17rocblas_diagonal_T1_iil.kd
    .uniform_work_group_size: 1
    .uses_dynamic_stack: false
    .vgpr_count:     100
    .vgpr_spill_count: 0
    .wavefront_size: 64
  - .args:
      - .offset:         0
        .size:           4
        .value_kind:     by_value
      - .offset:         4
        .size:           4
        .value_kind:     by_value
      - .address_space:  global
        .offset:         8
        .size:           8
        .value_kind:     global_buffer
      - .offset:         16
        .size:           4
        .value_kind:     by_value
      - .offset:         20
        .size:           4
        .value_kind:     by_value
      - .offset:         24
        .size:           8
        .value_kind:     by_value
    .group_segment_fixed_size: 192
    .kernarg_segment_align: 8
    .kernarg_segment_size: 32
    .language:       OpenCL C
    .language_version:
      - 2
      - 0
    .max_flat_workgroup_size: 64
    .name:           _ZN9rocsolver6v33100L18trti2_kernel_smallILi12EdPdEEv13rocblas_fill_17rocblas_diagonal_T1_iil
    .private_segment_fixed_size: 0
    .sgpr_count:     46
    .sgpr_spill_count: 0
    .symbol:         _ZN9rocsolver6v33100L18trti2_kernel_smallILi12EdPdEEv13rocblas_fill_17rocblas_diagonal_T1_iil.kd
    .uniform_work_group_size: 1
    .uses_dynamic_stack: false
    .vgpr_count:     104
    .vgpr_spill_count: 0
    .wavefront_size: 64
  - .args:
      - .offset:         0
        .size:           4
        .value_kind:     by_value
      - .offset:         4
        .size:           4
        .value_kind:     by_value
      - .address_space:  global
        .offset:         8
        .size:           8
        .value_kind:     global_buffer
      - .offset:         16
        .size:           4
        .value_kind:     by_value
      - .offset:         20
        .size:           4
        .value_kind:     by_value
      - .offset:         24
        .size:           8
        .value_kind:     by_value
    .group_segment_fixed_size: 216
    .kernarg_segment_align: 8
    .kernarg_segment_size: 32
    .language:       OpenCL C
    .language_version:
      - 2
      - 0
    .max_flat_workgroup_size: 64
    .name:           _ZN9rocsolver6v33100L18trti2_kernel_smallILi13EdPdEEv13rocblas_fill_17rocblas_diagonal_T1_iil
    .private_segment_fixed_size: 0
    .sgpr_count:     48
    .sgpr_spill_count: 0
    .symbol:         _ZN9rocsolver6v33100L18trti2_kernel_smallILi13EdPdEEv13rocblas_fill_17rocblas_diagonal_T1_iil.kd
    .uniform_work_group_size: 1
    .uses_dynamic_stack: false
    .vgpr_count:     108
    .vgpr_spill_count: 0
    .wavefront_size: 64
  - .args:
      - .offset:         0
        .size:           4
        .value_kind:     by_value
      - .offset:         4
        .size:           4
        .value_kind:     by_value
      - .address_space:  global
        .offset:         8
        .size:           8
        .value_kind:     global_buffer
      - .offset:         16
        .size:           4
        .value_kind:     by_value
      - .offset:         20
        .size:           4
        .value_kind:     by_value
      - .offset:         24
        .size:           8
        .value_kind:     by_value
    .group_segment_fixed_size: 224
    .kernarg_segment_align: 8
    .kernarg_segment_size: 32
    .language:       OpenCL C
    .language_version:
      - 2
      - 0
    .max_flat_workgroup_size: 64
    .name:           _ZN9rocsolver6v33100L18trti2_kernel_smallILi14EdPdEEv13rocblas_fill_17rocblas_diagonal_T1_iil
    .private_segment_fixed_size: 0
    .sgpr_count:     50
    .sgpr_spill_count: 0
    .symbol:         _ZN9rocsolver6v33100L18trti2_kernel_smallILi14EdPdEEv13rocblas_fill_17rocblas_diagonal_T1_iil.kd
    .uniform_work_group_size: 1
    .uses_dynamic_stack: false
    .vgpr_count:     112
    .vgpr_spill_count: 0
    .wavefront_size: 64
  - .args:
      - .offset:         0
        .size:           4
        .value_kind:     by_value
      - .offset:         4
        .size:           4
        .value_kind:     by_value
      - .address_space:  global
        .offset:         8
        .size:           8
        .value_kind:     global_buffer
      - .offset:         16
        .size:           4
        .value_kind:     by_value
      - .offset:         20
        .size:           4
        .value_kind:     by_value
      - .offset:         24
        .size:           8
        .value_kind:     by_value
    .group_segment_fixed_size: 248
    .kernarg_segment_align: 8
    .kernarg_segment_size: 32
    .language:       OpenCL C
    .language_version:
      - 2
      - 0
    .max_flat_workgroup_size: 64
    .name:           _ZN9rocsolver6v33100L18trti2_kernel_smallILi15EdPdEEv13rocblas_fill_17rocblas_diagonal_T1_iil
    .private_segment_fixed_size: 0
    .sgpr_count:     52
    .sgpr_spill_count: 0
    .symbol:         _ZN9rocsolver6v33100L18trti2_kernel_smallILi15EdPdEEv13rocblas_fill_17rocblas_diagonal_T1_iil.kd
    .uniform_work_group_size: 1
    .uses_dynamic_stack: false
    .vgpr_count:     116
    .vgpr_spill_count: 0
    .wavefront_size: 64
  - .args:
      - .offset:         0
        .size:           4
        .value_kind:     by_value
      - .offset:         4
        .size:           4
        .value_kind:     by_value
      - .address_space:  global
        .offset:         8
        .size:           8
        .value_kind:     global_buffer
      - .offset:         16
        .size:           4
        .value_kind:     by_value
      - .offset:         20
        .size:           4
        .value_kind:     by_value
      - .offset:         24
        .size:           8
        .value_kind:     by_value
    .group_segment_fixed_size: 256
    .kernarg_segment_align: 8
    .kernarg_segment_size: 32
    .language:       OpenCL C
    .language_version:
      - 2
      - 0
    .max_flat_workgroup_size: 64
    .name:           _ZN9rocsolver6v33100L18trti2_kernel_smallILi16EdPdEEv13rocblas_fill_17rocblas_diagonal_T1_iil
    .private_segment_fixed_size: 0
    .sgpr_count:     54
    .sgpr_spill_count: 0
    .symbol:         _ZN9rocsolver6v33100L18trti2_kernel_smallILi16EdPdEEv13rocblas_fill_17rocblas_diagonal_T1_iil.kd
    .uniform_work_group_size: 1
    .uses_dynamic_stack: false
    .vgpr_count:     120
    .vgpr_spill_count: 0
    .wavefront_size: 64
  - .args:
      - .offset:         0
        .size:           4
        .value_kind:     by_value
      - .offset:         4
        .size:           4
        .value_kind:     by_value
      - .address_space:  global
        .offset:         8
        .size:           8
        .value_kind:     global_buffer
      - .offset:         16
        .size:           4
        .value_kind:     by_value
      - .offset:         20
        .size:           4
        .value_kind:     by_value
      - .offset:         24
        .size:           8
        .value_kind:     by_value
    .group_segment_fixed_size: 280
    .kernarg_segment_align: 8
    .kernarg_segment_size: 32
    .language:       OpenCL C
    .language_version:
      - 2
      - 0
    .max_flat_workgroup_size: 64
    .name:           _ZN9rocsolver6v33100L18trti2_kernel_smallILi17EdPdEEv13rocblas_fill_17rocblas_diagonal_T1_iil
    .private_segment_fixed_size: 144
    .sgpr_count:     33
    .sgpr_spill_count: 0
    .symbol:         _ZN9rocsolver6v33100L18trti2_kernel_smallILi17EdPdEEv13rocblas_fill_17rocblas_diagonal_T1_iil.kd
    .uniform_work_group_size: 1
    .uses_dynamic_stack: false
    .vgpr_count:     62
    .vgpr_spill_count: 0
    .wavefront_size: 64
  - .args:
      - .offset:         0
        .size:           4
        .value_kind:     by_value
      - .offset:         4
        .size:           4
        .value_kind:     by_value
      - .address_space:  global
        .offset:         8
        .size:           8
        .value_kind:     global_buffer
      - .offset:         16
        .size:           4
        .value_kind:     by_value
      - .offset:         20
        .size:           4
        .value_kind:     by_value
      - .offset:         24
        .size:           8
        .value_kind:     by_value
    .group_segment_fixed_size: 288
    .kernarg_segment_align: 8
    .kernarg_segment_size: 32
    .language:       OpenCL C
    .language_version:
      - 2
      - 0
    .max_flat_workgroup_size: 64
    .name:           _ZN9rocsolver6v33100L18trti2_kernel_smallILi18EdPdEEv13rocblas_fill_17rocblas_diagonal_T1_iil
    .private_segment_fixed_size: 160
    .sgpr_count:     34
    .sgpr_spill_count: 0
    .symbol:         _ZN9rocsolver6v33100L18trti2_kernel_smallILi18EdPdEEv13rocblas_fill_17rocblas_diagonal_T1_iil.kd
    .uniform_work_group_size: 1
    .uses_dynamic_stack: false
    .vgpr_count:     62
    .vgpr_spill_count: 0
    .wavefront_size: 64
  - .args:
      - .offset:         0
        .size:           4
        .value_kind:     by_value
      - .offset:         4
        .size:           4
        .value_kind:     by_value
      - .address_space:  global
        .offset:         8
        .size:           8
        .value_kind:     global_buffer
      - .offset:         16
        .size:           4
        .value_kind:     by_value
      - .offset:         20
        .size:           4
        .value_kind:     by_value
      - .offset:         24
        .size:           8
        .value_kind:     by_value
    .group_segment_fixed_size: 312
    .kernarg_segment_align: 8
    .kernarg_segment_size: 32
    .language:       OpenCL C
    .language_version:
      - 2
      - 0
    .max_flat_workgroup_size: 64
    .name:           _ZN9rocsolver6v33100L18trti2_kernel_smallILi19EdPdEEv13rocblas_fill_17rocblas_diagonal_T1_iil
    .private_segment_fixed_size: 160
    .sgpr_count:     35
    .sgpr_spill_count: 0
    .symbol:         _ZN9rocsolver6v33100L18trti2_kernel_smallILi19EdPdEEv13rocblas_fill_17rocblas_diagonal_T1_iil.kd
    .uniform_work_group_size: 1
    .uses_dynamic_stack: false
    .vgpr_count:     62
    .vgpr_spill_count: 0
    .wavefront_size: 64
  - .args:
      - .offset:         0
        .size:           4
        .value_kind:     by_value
      - .offset:         4
        .size:           4
        .value_kind:     by_value
      - .address_space:  global
        .offset:         8
        .size:           8
        .value_kind:     global_buffer
      - .offset:         16
        .size:           4
        .value_kind:     by_value
      - .offset:         20
        .size:           4
        .value_kind:     by_value
      - .offset:         24
        .size:           8
        .value_kind:     by_value
    .group_segment_fixed_size: 320
    .kernarg_segment_align: 8
    .kernarg_segment_size: 32
    .language:       OpenCL C
    .language_version:
      - 2
      - 0
    .max_flat_workgroup_size: 64
    .name:           _ZN9rocsolver6v33100L18trti2_kernel_smallILi20EdPdEEv13rocblas_fill_17rocblas_diagonal_T1_iil
    .private_segment_fixed_size: 176
    .sgpr_count:     36
    .sgpr_spill_count: 0
    .symbol:         _ZN9rocsolver6v33100L18trti2_kernel_smallILi20EdPdEEv13rocblas_fill_17rocblas_diagonal_T1_iil.kd
    .uniform_work_group_size: 1
    .uses_dynamic_stack: false
    .vgpr_count:     64
    .vgpr_spill_count: 0
    .wavefront_size: 64
  - .args:
      - .offset:         0
        .size:           4
        .value_kind:     by_value
      - .offset:         4
        .size:           4
        .value_kind:     by_value
      - .address_space:  global
        .offset:         8
        .size:           8
        .value_kind:     global_buffer
      - .offset:         16
        .size:           4
        .value_kind:     by_value
      - .offset:         20
        .size:           4
        .value_kind:     by_value
      - .offset:         24
        .size:           8
        .value_kind:     by_value
    .group_segment_fixed_size: 344
    .kernarg_segment_align: 8
    .kernarg_segment_size: 32
    .language:       OpenCL C
    .language_version:
      - 2
      - 0
    .max_flat_workgroup_size: 64
    .name:           _ZN9rocsolver6v33100L18trti2_kernel_smallILi21EdPdEEv13rocblas_fill_17rocblas_diagonal_T1_iil
    .private_segment_fixed_size: 176
    .sgpr_count:     38
    .sgpr_spill_count: 0
    .symbol:         _ZN9rocsolver6v33100L18trti2_kernel_smallILi21EdPdEEv13rocblas_fill_17rocblas_diagonal_T1_iil.kd
    .uniform_work_group_size: 1
    .uses_dynamic_stack: false
    .vgpr_count:     61
    .vgpr_spill_count: 0
    .wavefront_size: 64
  - .args:
      - .offset:         0
        .size:           4
        .value_kind:     by_value
      - .offset:         4
        .size:           4
        .value_kind:     by_value
      - .address_space:  global
        .offset:         8
        .size:           8
        .value_kind:     global_buffer
      - .offset:         16
        .size:           4
        .value_kind:     by_value
      - .offset:         20
        .size:           4
        .value_kind:     by_value
      - .offset:         24
        .size:           8
        .value_kind:     by_value
    .group_segment_fixed_size: 352
    .kernarg_segment_align: 8
    .kernarg_segment_size: 32
    .language:       OpenCL C
    .language_version:
      - 2
      - 0
    .max_flat_workgroup_size: 64
    .name:           _ZN9rocsolver6v33100L18trti2_kernel_smallILi22EdPdEEv13rocblas_fill_17rocblas_diagonal_T1_iil
    .private_segment_fixed_size: 192
    .sgpr_count:     39
    .sgpr_spill_count: 0
    .symbol:         _ZN9rocsolver6v33100L18trti2_kernel_smallILi22EdPdEEv13rocblas_fill_17rocblas_diagonal_T1_iil.kd
    .uniform_work_group_size: 1
    .uses_dynamic_stack: false
    .vgpr_count:     65
    .vgpr_spill_count: 0
    .wavefront_size: 64
  - .args:
      - .offset:         0
        .size:           4
        .value_kind:     by_value
      - .offset:         4
        .size:           4
        .value_kind:     by_value
      - .address_space:  global
        .offset:         8
        .size:           8
        .value_kind:     global_buffer
      - .offset:         16
        .size:           4
        .value_kind:     by_value
      - .offset:         20
        .size:           4
        .value_kind:     by_value
      - .offset:         24
        .size:           8
        .value_kind:     by_value
    .group_segment_fixed_size: 376
    .kernarg_segment_align: 8
    .kernarg_segment_size: 32
    .language:       OpenCL C
    .language_version:
      - 2
      - 0
    .max_flat_workgroup_size: 64
    .name:           _ZN9rocsolver6v33100L18trti2_kernel_smallILi23EdPdEEv13rocblas_fill_17rocblas_diagonal_T1_iil
    .private_segment_fixed_size: 192
    .sgpr_count:     40
    .sgpr_spill_count: 0
    .symbol:         _ZN9rocsolver6v33100L18trti2_kernel_smallILi23EdPdEEv13rocblas_fill_17rocblas_diagonal_T1_iil.kd
    .uniform_work_group_size: 1
    .uses_dynamic_stack: false
    .vgpr_count:     61
    .vgpr_spill_count: 0
    .wavefront_size: 64
  - .args:
      - .offset:         0
        .size:           4
        .value_kind:     by_value
      - .offset:         4
        .size:           4
        .value_kind:     by_value
      - .address_space:  global
        .offset:         8
        .size:           8
        .value_kind:     global_buffer
      - .offset:         16
        .size:           4
        .value_kind:     by_value
      - .offset:         20
        .size:           4
        .value_kind:     by_value
      - .offset:         24
        .size:           8
        .value_kind:     by_value
    .group_segment_fixed_size: 384
    .kernarg_segment_align: 8
    .kernarg_segment_size: 32
    .language:       OpenCL C
    .language_version:
      - 2
      - 0
    .max_flat_workgroup_size: 64
    .name:           _ZN9rocsolver6v33100L18trti2_kernel_smallILi24EdPdEEv13rocblas_fill_17rocblas_diagonal_T1_iil
    .private_segment_fixed_size: 208
    .sgpr_count:     41
    .sgpr_spill_count: 0
    .symbol:         _ZN9rocsolver6v33100L18trti2_kernel_smallILi24EdPdEEv13rocblas_fill_17rocblas_diagonal_T1_iil.kd
    .uniform_work_group_size: 1
    .uses_dynamic_stack: false
    .vgpr_count:     62
    .vgpr_spill_count: 0
    .wavefront_size: 64
  - .args:
      - .offset:         0
        .size:           4
        .value_kind:     by_value
      - .offset:         4
        .size:           4
        .value_kind:     by_value
      - .address_space:  global
        .offset:         8
        .size:           8
        .value_kind:     global_buffer
      - .offset:         16
        .size:           4
        .value_kind:     by_value
      - .offset:         20
        .size:           4
        .value_kind:     by_value
      - .offset:         24
        .size:           8
        .value_kind:     by_value
    .group_segment_fixed_size: 408
    .kernarg_segment_align: 8
    .kernarg_segment_size: 32
    .language:       OpenCL C
    .language_version:
      - 2
      - 0
    .max_flat_workgroup_size: 64
    .name:           _ZN9rocsolver6v33100L18trti2_kernel_smallILi25EdPdEEv13rocblas_fill_17rocblas_diagonal_T1_iil
    .private_segment_fixed_size: 208
    .sgpr_count:     42
    .sgpr_spill_count: 0
    .symbol:         _ZN9rocsolver6v33100L18trti2_kernel_smallILi25EdPdEEv13rocblas_fill_17rocblas_diagonal_T1_iil.kd
    .uniform_work_group_size: 1
    .uses_dynamic_stack: false
    .vgpr_count:     81
    .vgpr_spill_count: 0
    .wavefront_size: 64
  - .args:
      - .offset:         0
        .size:           4
        .value_kind:     by_value
      - .offset:         4
        .size:           4
        .value_kind:     by_value
      - .address_space:  global
        .offset:         8
        .size:           8
        .value_kind:     global_buffer
      - .offset:         16
        .size:           4
        .value_kind:     by_value
      - .offset:         20
        .size:           4
        .value_kind:     by_value
      - .offset:         24
        .size:           8
        .value_kind:     by_value
    .group_segment_fixed_size: 416
    .kernarg_segment_align: 8
    .kernarg_segment_size: 32
    .language:       OpenCL C
    .language_version:
      - 2
      - 0
    .max_flat_workgroup_size: 64
    .name:           _ZN9rocsolver6v33100L18trti2_kernel_smallILi26EdPdEEv13rocblas_fill_17rocblas_diagonal_T1_iil
    .private_segment_fixed_size: 224
    .sgpr_count:     43
    .sgpr_spill_count: 0
    .symbol:         _ZN9rocsolver6v33100L18trti2_kernel_smallILi26EdPdEEv13rocblas_fill_17rocblas_diagonal_T1_iil.kd
    .uniform_work_group_size: 1
    .uses_dynamic_stack: false
    .vgpr_count:     81
    .vgpr_spill_count: 0
    .wavefront_size: 64
  - .args:
      - .offset:         0
        .size:           4
        .value_kind:     by_value
      - .offset:         4
        .size:           4
        .value_kind:     by_value
      - .address_space:  global
        .offset:         8
        .size:           8
        .value_kind:     global_buffer
      - .offset:         16
        .size:           4
        .value_kind:     by_value
      - .offset:         20
        .size:           4
        .value_kind:     by_value
      - .offset:         24
        .size:           8
        .value_kind:     by_value
    .group_segment_fixed_size: 440
    .kernarg_segment_align: 8
    .kernarg_segment_size: 32
    .language:       OpenCL C
    .language_version:
      - 2
      - 0
    .max_flat_workgroup_size: 64
    .name:           _ZN9rocsolver6v33100L18trti2_kernel_smallILi27EdPdEEv13rocblas_fill_17rocblas_diagonal_T1_iil
    .private_segment_fixed_size: 224
    .sgpr_count:     44
    .sgpr_spill_count: 0
    .symbol:         _ZN9rocsolver6v33100L18trti2_kernel_smallILi27EdPdEEv13rocblas_fill_17rocblas_diagonal_T1_iil.kd
    .uniform_work_group_size: 1
    .uses_dynamic_stack: false
    .vgpr_count:     82
    .vgpr_spill_count: 0
    .wavefront_size: 64
  - .args:
      - .offset:         0
        .size:           4
        .value_kind:     by_value
      - .offset:         4
        .size:           4
        .value_kind:     by_value
      - .address_space:  global
        .offset:         8
        .size:           8
        .value_kind:     global_buffer
      - .offset:         16
        .size:           4
        .value_kind:     by_value
      - .offset:         20
        .size:           4
        .value_kind:     by_value
      - .offset:         24
        .size:           8
        .value_kind:     by_value
    .group_segment_fixed_size: 448
    .kernarg_segment_align: 8
    .kernarg_segment_size: 32
    .language:       OpenCL C
    .language_version:
      - 2
      - 0
    .max_flat_workgroup_size: 64
    .name:           _ZN9rocsolver6v33100L18trti2_kernel_smallILi28EdPdEEv13rocblas_fill_17rocblas_diagonal_T1_iil
    .private_segment_fixed_size: 240
    .sgpr_count:     45
    .sgpr_spill_count: 0
    .symbol:         _ZN9rocsolver6v33100L18trti2_kernel_smallILi28EdPdEEv13rocblas_fill_17rocblas_diagonal_T1_iil.kd
    .uniform_work_group_size: 1
    .uses_dynamic_stack: false
    .vgpr_count:     82
    .vgpr_spill_count: 0
    .wavefront_size: 64
  - .args:
      - .offset:         0
        .size:           4
        .value_kind:     by_value
      - .offset:         4
        .size:           4
        .value_kind:     by_value
      - .address_space:  global
        .offset:         8
        .size:           8
        .value_kind:     global_buffer
      - .offset:         16
        .size:           4
        .value_kind:     by_value
      - .offset:         20
        .size:           4
        .value_kind:     by_value
      - .offset:         24
        .size:           8
        .value_kind:     by_value
    .group_segment_fixed_size: 472
    .kernarg_segment_align: 8
    .kernarg_segment_size: 32
    .language:       OpenCL C
    .language_version:
      - 2
      - 0
    .max_flat_workgroup_size: 64
    .name:           _ZN9rocsolver6v33100L18trti2_kernel_smallILi29EdPdEEv13rocblas_fill_17rocblas_diagonal_T1_iil
    .private_segment_fixed_size: 240
    .sgpr_count:     46
    .sgpr_spill_count: 0
    .symbol:         _ZN9rocsolver6v33100L18trti2_kernel_smallILi29EdPdEEv13rocblas_fill_17rocblas_diagonal_T1_iil.kd
    .uniform_work_group_size: 1
    .uses_dynamic_stack: false
    .vgpr_count:     82
    .vgpr_spill_count: 0
    .wavefront_size: 64
  - .args:
      - .offset:         0
        .size:           4
        .value_kind:     by_value
      - .offset:         4
        .size:           4
        .value_kind:     by_value
      - .address_space:  global
        .offset:         8
        .size:           8
        .value_kind:     global_buffer
      - .offset:         16
        .size:           4
        .value_kind:     by_value
      - .offset:         20
        .size:           4
        .value_kind:     by_value
      - .offset:         24
        .size:           8
        .value_kind:     by_value
    .group_segment_fixed_size: 480
    .kernarg_segment_align: 8
    .kernarg_segment_size: 32
    .language:       OpenCL C
    .language_version:
      - 2
      - 0
    .max_flat_workgroup_size: 64
    .name:           _ZN9rocsolver6v33100L18trti2_kernel_smallILi30EdPdEEv13rocblas_fill_17rocblas_diagonal_T1_iil
    .private_segment_fixed_size: 256
    .sgpr_count:     47
    .sgpr_spill_count: 0
    .symbol:         _ZN9rocsolver6v33100L18trti2_kernel_smallILi30EdPdEEv13rocblas_fill_17rocblas_diagonal_T1_iil.kd
    .uniform_work_group_size: 1
    .uses_dynamic_stack: false
    .vgpr_count:     86
    .vgpr_spill_count: 0
    .wavefront_size: 64
  - .args:
      - .offset:         0
        .size:           4
        .value_kind:     by_value
      - .offset:         4
        .size:           4
        .value_kind:     by_value
      - .address_space:  global
        .offset:         8
        .size:           8
        .value_kind:     global_buffer
      - .offset:         16
        .size:           4
        .value_kind:     by_value
      - .offset:         20
        .size:           4
        .value_kind:     by_value
      - .offset:         24
        .size:           8
        .value_kind:     by_value
    .group_segment_fixed_size: 504
    .kernarg_segment_align: 8
    .kernarg_segment_size: 32
    .language:       OpenCL C
    .language_version:
      - 2
      - 0
    .max_flat_workgroup_size: 64
    .name:           _ZN9rocsolver6v33100L18trti2_kernel_smallILi31EdPdEEv13rocblas_fill_17rocblas_diagonal_T1_iil
    .private_segment_fixed_size: 256
    .sgpr_count:     48
    .sgpr_spill_count: 0
    .symbol:         _ZN9rocsolver6v33100L18trti2_kernel_smallILi31EdPdEEv13rocblas_fill_17rocblas_diagonal_T1_iil.kd
    .uniform_work_group_size: 1
    .uses_dynamic_stack: false
    .vgpr_count:     81
    .vgpr_spill_count: 0
    .wavefront_size: 64
  - .args:
      - .offset:         0
        .size:           4
        .value_kind:     by_value
      - .offset:         4
        .size:           4
        .value_kind:     by_value
      - .address_space:  global
        .offset:         8
        .size:           8
        .value_kind:     global_buffer
      - .offset:         16
        .size:           4
        .value_kind:     by_value
      - .offset:         20
        .size:           4
        .value_kind:     by_value
      - .offset:         24
        .size:           8
        .value_kind:     by_value
    .group_segment_fixed_size: 512
    .kernarg_segment_align: 8
    .kernarg_segment_size: 32
    .language:       OpenCL C
    .language_version:
      - 2
      - 0
    .max_flat_workgroup_size: 64
    .name:           _ZN9rocsolver6v33100L18trti2_kernel_smallILi32EdPdEEv13rocblas_fill_17rocblas_diagonal_T1_iil
    .private_segment_fixed_size: 272
    .sgpr_count:     49
    .sgpr_spill_count: 0
    .symbol:         _ZN9rocsolver6v33100L18trti2_kernel_smallILi32EdPdEEv13rocblas_fill_17rocblas_diagonal_T1_iil.kd
    .uniform_work_group_size: 1
    .uses_dynamic_stack: false
    .vgpr_count:     81
    .vgpr_spill_count: 0
    .wavefront_size: 64
  - .args:
      - .offset:         0
        .size:           4
        .value_kind:     by_value
      - .offset:         4
        .size:           4
        .value_kind:     by_value
      - .address_space:  global
        .offset:         8
        .size:           8
        .value_kind:     global_buffer
      - .offset:         16
        .size:           4
        .value_kind:     by_value
      - .offset:         20
        .size:           4
        .value_kind:     by_value
      - .offset:         24
        .size:           8
        .value_kind:     by_value
    .group_segment_fixed_size: 536
    .kernarg_segment_align: 8
    .kernarg_segment_size: 32
    .language:       OpenCL C
    .language_version:
      - 2
      - 0
    .max_flat_workgroup_size: 64
    .name:           _ZN9rocsolver6v33100L18trti2_kernel_smallILi33EdPdEEv13rocblas_fill_17rocblas_diagonal_T1_iil
    .private_segment_fixed_size: 272
    .sgpr_count:     50
    .sgpr_spill_count: 0
    .symbol:         _ZN9rocsolver6v33100L18trti2_kernel_smallILi33EdPdEEv13rocblas_fill_17rocblas_diagonal_T1_iil.kd
    .uniform_work_group_size: 1
    .uses_dynamic_stack: false
    .vgpr_count:     81
    .vgpr_spill_count: 0
    .wavefront_size: 64
  - .args:
      - .offset:         0
        .size:           4
        .value_kind:     by_value
      - .offset:         4
        .size:           4
        .value_kind:     by_value
      - .address_space:  global
        .offset:         8
        .size:           8
        .value_kind:     global_buffer
      - .offset:         16
        .size:           4
        .value_kind:     by_value
      - .offset:         20
        .size:           4
        .value_kind:     by_value
      - .offset:         24
        .size:           8
        .value_kind:     by_value
    .group_segment_fixed_size: 544
    .kernarg_segment_align: 8
    .kernarg_segment_size: 32
    .language:       OpenCL C
    .language_version:
      - 2
      - 0
    .max_flat_workgroup_size: 64
    .name:           _ZN9rocsolver6v33100L18trti2_kernel_smallILi34EdPdEEv13rocblas_fill_17rocblas_diagonal_T1_iil
    .private_segment_fixed_size: 288
    .sgpr_count:     51
    .sgpr_spill_count: 0
    .symbol:         _ZN9rocsolver6v33100L18trti2_kernel_smallILi34EdPdEEv13rocblas_fill_17rocblas_diagonal_T1_iil.kd
    .uniform_work_group_size: 1
    .uses_dynamic_stack: false
    .vgpr_count:     82
    .vgpr_spill_count: 0
    .wavefront_size: 64
  - .args:
      - .offset:         0
        .size:           4
        .value_kind:     by_value
      - .offset:         4
        .size:           4
        .value_kind:     by_value
      - .address_space:  global
        .offset:         8
        .size:           8
        .value_kind:     global_buffer
      - .offset:         16
        .size:           4
        .value_kind:     by_value
      - .offset:         20
        .size:           4
        .value_kind:     by_value
      - .offset:         24
        .size:           8
        .value_kind:     by_value
    .group_segment_fixed_size: 568
    .kernarg_segment_align: 8
    .kernarg_segment_size: 32
    .language:       OpenCL C
    .language_version:
      - 2
      - 0
    .max_flat_workgroup_size: 64
    .name:           _ZN9rocsolver6v33100L18trti2_kernel_smallILi35EdPdEEv13rocblas_fill_17rocblas_diagonal_T1_iil
    .private_segment_fixed_size: 288
    .sgpr_count:     52
    .sgpr_spill_count: 0
    .symbol:         _ZN9rocsolver6v33100L18trti2_kernel_smallILi35EdPdEEv13rocblas_fill_17rocblas_diagonal_T1_iil.kd
    .uniform_work_group_size: 1
    .uses_dynamic_stack: false
    .vgpr_count:     125
    .vgpr_spill_count: 0
    .wavefront_size: 64
  - .args:
      - .offset:         0
        .size:           4
        .value_kind:     by_value
      - .offset:         4
        .size:           4
        .value_kind:     by_value
      - .address_space:  global
        .offset:         8
        .size:           8
        .value_kind:     global_buffer
      - .offset:         16
        .size:           4
        .value_kind:     by_value
      - .offset:         20
        .size:           4
        .value_kind:     by_value
      - .offset:         24
        .size:           8
        .value_kind:     by_value
    .group_segment_fixed_size: 576
    .kernarg_segment_align: 8
    .kernarg_segment_size: 32
    .language:       OpenCL C
    .language_version:
      - 2
      - 0
    .max_flat_workgroup_size: 64
    .name:           _ZN9rocsolver6v33100L18trti2_kernel_smallILi36EdPdEEv13rocblas_fill_17rocblas_diagonal_T1_iil
    .private_segment_fixed_size: 304
    .sgpr_count:     53
    .sgpr_spill_count: 0
    .symbol:         _ZN9rocsolver6v33100L18trti2_kernel_smallILi36EdPdEEv13rocblas_fill_17rocblas_diagonal_T1_iil.kd
    .uniform_work_group_size: 1
    .uses_dynamic_stack: false
    .vgpr_count:     125
    .vgpr_spill_count: 0
    .wavefront_size: 64
  - .args:
      - .offset:         0
        .size:           4
        .value_kind:     by_value
      - .offset:         4
        .size:           4
        .value_kind:     by_value
      - .address_space:  global
        .offset:         8
        .size:           8
        .value_kind:     global_buffer
      - .offset:         16
        .size:           4
        .value_kind:     by_value
      - .offset:         20
        .size:           4
        .value_kind:     by_value
      - .offset:         24
        .size:           8
        .value_kind:     by_value
    .group_segment_fixed_size: 600
    .kernarg_segment_align: 8
    .kernarg_segment_size: 32
    .language:       OpenCL C
    .language_version:
      - 2
      - 0
    .max_flat_workgroup_size: 64
    .name:           _ZN9rocsolver6v33100L18trti2_kernel_smallILi37EdPdEEv13rocblas_fill_17rocblas_diagonal_T1_iil
    .private_segment_fixed_size: 304
    .sgpr_count:     54
    .sgpr_spill_count: 0
    .symbol:         _ZN9rocsolver6v33100L18trti2_kernel_smallILi37EdPdEEv13rocblas_fill_17rocblas_diagonal_T1_iil.kd
    .uniform_work_group_size: 1
    .uses_dynamic_stack: false
    .vgpr_count:     125
    .vgpr_spill_count: 0
    .wavefront_size: 64
  - .args:
      - .offset:         0
        .size:           4
        .value_kind:     by_value
      - .offset:         4
        .size:           4
        .value_kind:     by_value
      - .address_space:  global
        .offset:         8
        .size:           8
        .value_kind:     global_buffer
      - .offset:         16
        .size:           4
        .value_kind:     by_value
      - .offset:         20
        .size:           4
        .value_kind:     by_value
      - .offset:         24
        .size:           8
        .value_kind:     by_value
    .group_segment_fixed_size: 608
    .kernarg_segment_align: 8
    .kernarg_segment_size: 32
    .language:       OpenCL C
    .language_version:
      - 2
      - 0
    .max_flat_workgroup_size: 64
    .name:           _ZN9rocsolver6v33100L18trti2_kernel_smallILi38EdPdEEv13rocblas_fill_17rocblas_diagonal_T1_iil
    .private_segment_fixed_size: 320
    .sgpr_count:     55
    .sgpr_spill_count: 0
    .symbol:         _ZN9rocsolver6v33100L18trti2_kernel_smallILi38EdPdEEv13rocblas_fill_17rocblas_diagonal_T1_iil.kd
    .uniform_work_group_size: 1
    .uses_dynamic_stack: false
    .vgpr_count:     126
    .vgpr_spill_count: 0
    .wavefront_size: 64
  - .args:
      - .offset:         0
        .size:           4
        .value_kind:     by_value
      - .offset:         4
        .size:           4
        .value_kind:     by_value
      - .address_space:  global
        .offset:         8
        .size:           8
        .value_kind:     global_buffer
      - .offset:         16
        .size:           4
        .value_kind:     by_value
      - .offset:         20
        .size:           4
        .value_kind:     by_value
      - .offset:         24
        .size:           8
        .value_kind:     by_value
    .group_segment_fixed_size: 632
    .kernarg_segment_align: 8
    .kernarg_segment_size: 32
    .language:       OpenCL C
    .language_version:
      - 2
      - 0
    .max_flat_workgroup_size: 64
    .name:           _ZN9rocsolver6v33100L18trti2_kernel_smallILi39EdPdEEv13rocblas_fill_17rocblas_diagonal_T1_iil
    .private_segment_fixed_size: 320
    .sgpr_count:     56
    .sgpr_spill_count: 0
    .symbol:         _ZN9rocsolver6v33100L18trti2_kernel_smallILi39EdPdEEv13rocblas_fill_17rocblas_diagonal_T1_iil.kd
    .uniform_work_group_size: 1
    .uses_dynamic_stack: false
    .vgpr_count:     126
    .vgpr_spill_count: 0
    .wavefront_size: 64
  - .args:
      - .offset:         0
        .size:           4
        .value_kind:     by_value
      - .offset:         4
        .size:           4
        .value_kind:     by_value
      - .address_space:  global
        .offset:         8
        .size:           8
        .value_kind:     global_buffer
      - .offset:         16
        .size:           4
        .value_kind:     by_value
      - .offset:         20
        .size:           4
        .value_kind:     by_value
      - .offset:         24
        .size:           8
        .value_kind:     by_value
    .group_segment_fixed_size: 640
    .kernarg_segment_align: 8
    .kernarg_segment_size: 32
    .language:       OpenCL C
    .language_version:
      - 2
      - 0
    .max_flat_workgroup_size: 64
    .name:           _ZN9rocsolver6v33100L18trti2_kernel_smallILi40EdPdEEv13rocblas_fill_17rocblas_diagonal_T1_iil
    .private_segment_fixed_size: 336
    .sgpr_count:     57
    .sgpr_spill_count: 0
    .symbol:         _ZN9rocsolver6v33100L18trti2_kernel_smallILi40EdPdEEv13rocblas_fill_17rocblas_diagonal_T1_iil.kd
    .uniform_work_group_size: 1
    .uses_dynamic_stack: false
    .vgpr_count:     126
    .vgpr_spill_count: 0
    .wavefront_size: 64
  - .args:
      - .offset:         0
        .size:           4
        .value_kind:     by_value
      - .offset:         4
        .size:           4
        .value_kind:     by_value
      - .address_space:  global
        .offset:         8
        .size:           8
        .value_kind:     global_buffer
      - .offset:         16
        .size:           4
        .value_kind:     by_value
      - .offset:         20
        .size:           4
        .value_kind:     by_value
      - .offset:         24
        .size:           8
        .value_kind:     by_value
    .group_segment_fixed_size: 664
    .kernarg_segment_align: 8
    .kernarg_segment_size: 32
    .language:       OpenCL C
    .language_version:
      - 2
      - 0
    .max_flat_workgroup_size: 64
    .name:           _ZN9rocsolver6v33100L18trti2_kernel_smallILi41EdPdEEv13rocblas_fill_17rocblas_diagonal_T1_iil
    .private_segment_fixed_size: 336
    .sgpr_count:     58
    .sgpr_spill_count: 0
    .symbol:         _ZN9rocsolver6v33100L18trti2_kernel_smallILi41EdPdEEv13rocblas_fill_17rocblas_diagonal_T1_iil.kd
    .uniform_work_group_size: 1
    .uses_dynamic_stack: false
    .vgpr_count:     126
    .vgpr_spill_count: 0
    .wavefront_size: 64
  - .args:
      - .offset:         0
        .size:           4
        .value_kind:     by_value
      - .offset:         4
        .size:           4
        .value_kind:     by_value
      - .address_space:  global
        .offset:         8
        .size:           8
        .value_kind:     global_buffer
      - .offset:         16
        .size:           4
        .value_kind:     by_value
      - .offset:         20
        .size:           4
        .value_kind:     by_value
      - .offset:         24
        .size:           8
        .value_kind:     by_value
    .group_segment_fixed_size: 672
    .kernarg_segment_align: 8
    .kernarg_segment_size: 32
    .language:       OpenCL C
    .language_version:
      - 2
      - 0
    .max_flat_workgroup_size: 64
    .name:           _ZN9rocsolver6v33100L18trti2_kernel_smallILi42EdPdEEv13rocblas_fill_17rocblas_diagonal_T1_iil
    .private_segment_fixed_size: 352
    .sgpr_count:     59
    .sgpr_spill_count: 0
    .symbol:         _ZN9rocsolver6v33100L18trti2_kernel_smallILi42EdPdEEv13rocblas_fill_17rocblas_diagonal_T1_iil.kd
    .uniform_work_group_size: 1
    .uses_dynamic_stack: false
    .vgpr_count:     125
    .vgpr_spill_count: 0
    .wavefront_size: 64
  - .args:
      - .offset:         0
        .size:           4
        .value_kind:     by_value
      - .offset:         4
        .size:           4
        .value_kind:     by_value
      - .address_space:  global
        .offset:         8
        .size:           8
        .value_kind:     global_buffer
      - .offset:         16
        .size:           4
        .value_kind:     by_value
      - .offset:         20
        .size:           4
        .value_kind:     by_value
      - .offset:         24
        .size:           8
        .value_kind:     by_value
    .group_segment_fixed_size: 696
    .kernarg_segment_align: 8
    .kernarg_segment_size: 32
    .language:       OpenCL C
    .language_version:
      - 2
      - 0
    .max_flat_workgroup_size: 64
    .name:           _ZN9rocsolver6v33100L18trti2_kernel_smallILi43EdPdEEv13rocblas_fill_17rocblas_diagonal_T1_iil
    .private_segment_fixed_size: 352
    .sgpr_count:     60
    .sgpr_spill_count: 0
    .symbol:         _ZN9rocsolver6v33100L18trti2_kernel_smallILi43EdPdEEv13rocblas_fill_17rocblas_diagonal_T1_iil.kd
    .uniform_work_group_size: 1
    .uses_dynamic_stack: false
    .vgpr_count:     125
    .vgpr_spill_count: 0
    .wavefront_size: 64
  - .args:
      - .offset:         0
        .size:           4
        .value_kind:     by_value
      - .offset:         4
        .size:           4
        .value_kind:     by_value
      - .address_space:  global
        .offset:         8
        .size:           8
        .value_kind:     global_buffer
      - .offset:         16
        .size:           4
        .value_kind:     by_value
      - .offset:         20
        .size:           4
        .value_kind:     by_value
      - .offset:         24
        .size:           8
        .value_kind:     by_value
    .group_segment_fixed_size: 704
    .kernarg_segment_align: 8
    .kernarg_segment_size: 32
    .language:       OpenCL C
    .language_version:
      - 2
      - 0
    .max_flat_workgroup_size: 64
    .name:           _ZN9rocsolver6v33100L18trti2_kernel_smallILi44EdPdEEv13rocblas_fill_17rocblas_diagonal_T1_iil
    .private_segment_fixed_size: 368
    .sgpr_count:     61
    .sgpr_spill_count: 0
    .symbol:         _ZN9rocsolver6v33100L18trti2_kernel_smallILi44EdPdEEv13rocblas_fill_17rocblas_diagonal_T1_iil.kd
    .uniform_work_group_size: 1
    .uses_dynamic_stack: false
    .vgpr_count:     125
    .vgpr_spill_count: 0
    .wavefront_size: 64
  - .args:
      - .offset:         0
        .size:           4
        .value_kind:     by_value
      - .offset:         4
        .size:           4
        .value_kind:     by_value
      - .address_space:  global
        .offset:         8
        .size:           8
        .value_kind:     global_buffer
      - .offset:         16
        .size:           4
        .value_kind:     by_value
      - .offset:         20
        .size:           4
        .value_kind:     by_value
      - .offset:         24
        .size:           8
        .value_kind:     by_value
    .group_segment_fixed_size: 728
    .kernarg_segment_align: 8
    .kernarg_segment_size: 32
    .language:       OpenCL C
    .language_version:
      - 2
      - 0
    .max_flat_workgroup_size: 64
    .name:           _ZN9rocsolver6v33100L18trti2_kernel_smallILi45EdPdEEv13rocblas_fill_17rocblas_diagonal_T1_iil
    .private_segment_fixed_size: 368
    .sgpr_count:     62
    .sgpr_spill_count: 0
    .symbol:         _ZN9rocsolver6v33100L18trti2_kernel_smallILi45EdPdEEv13rocblas_fill_17rocblas_diagonal_T1_iil.kd
    .uniform_work_group_size: 1
    .uses_dynamic_stack: false
    .vgpr_count:     125
    .vgpr_spill_count: 0
    .wavefront_size: 64
  - .args:
      - .offset:         0
        .size:           4
        .value_kind:     by_value
      - .offset:         4
        .size:           4
        .value_kind:     by_value
      - .address_space:  global
        .offset:         8
        .size:           8
        .value_kind:     global_buffer
      - .offset:         16
        .size:           4
        .value_kind:     by_value
      - .offset:         20
        .size:           4
        .value_kind:     by_value
      - .offset:         24
        .size:           8
        .value_kind:     by_value
    .group_segment_fixed_size: 736
    .kernarg_segment_align: 8
    .kernarg_segment_size: 32
    .language:       OpenCL C
    .language_version:
      - 2
      - 0
    .max_flat_workgroup_size: 64
    .name:           _ZN9rocsolver6v33100L18trti2_kernel_smallILi46EdPdEEv13rocblas_fill_17rocblas_diagonal_T1_iil
    .private_segment_fixed_size: 384
    .sgpr_count:     63
    .sgpr_spill_count: 0
    .symbol:         _ZN9rocsolver6v33100L18trti2_kernel_smallILi46EdPdEEv13rocblas_fill_17rocblas_diagonal_T1_iil.kd
    .uniform_work_group_size: 1
    .uses_dynamic_stack: false
    .vgpr_count:     125
    .vgpr_spill_count: 0
    .wavefront_size: 64
  - .args:
      - .offset:         0
        .size:           4
        .value_kind:     by_value
      - .offset:         4
        .size:           4
        .value_kind:     by_value
      - .address_space:  global
        .offset:         8
        .size:           8
        .value_kind:     global_buffer
      - .offset:         16
        .size:           4
        .value_kind:     by_value
      - .offset:         20
        .size:           4
        .value_kind:     by_value
      - .offset:         24
        .size:           8
        .value_kind:     by_value
    .group_segment_fixed_size: 760
    .kernarg_segment_align: 8
    .kernarg_segment_size: 32
    .language:       OpenCL C
    .language_version:
      - 2
      - 0
    .max_flat_workgroup_size: 64
    .name:           _ZN9rocsolver6v33100L18trti2_kernel_smallILi47EdPdEEv13rocblas_fill_17rocblas_diagonal_T1_iil
    .private_segment_fixed_size: 384
    .sgpr_count:     64
    .sgpr_spill_count: 0
    .symbol:         _ZN9rocsolver6v33100L18trti2_kernel_smallILi47EdPdEEv13rocblas_fill_17rocblas_diagonal_T1_iil.kd
    .uniform_work_group_size: 1
    .uses_dynamic_stack: false
    .vgpr_count:     125
    .vgpr_spill_count: 0
    .wavefront_size: 64
  - .args:
      - .offset:         0
        .size:           4
        .value_kind:     by_value
      - .offset:         4
        .size:           4
        .value_kind:     by_value
      - .address_space:  global
        .offset:         8
        .size:           8
        .value_kind:     global_buffer
      - .offset:         16
        .size:           4
        .value_kind:     by_value
      - .offset:         20
        .size:           4
        .value_kind:     by_value
      - .offset:         24
        .size:           8
        .value_kind:     by_value
    .group_segment_fixed_size: 768
    .kernarg_segment_align: 8
    .kernarg_segment_size: 32
    .language:       OpenCL C
    .language_version:
      - 2
      - 0
    .max_flat_workgroup_size: 64
    .name:           _ZN9rocsolver6v33100L18trti2_kernel_smallILi48EdPdEEv13rocblas_fill_17rocblas_diagonal_T1_iil
    .private_segment_fixed_size: 400
    .sgpr_count:     65
    .sgpr_spill_count: 0
    .symbol:         _ZN9rocsolver6v33100L18trti2_kernel_smallILi48EdPdEEv13rocblas_fill_17rocblas_diagonal_T1_iil.kd
    .uniform_work_group_size: 1
    .uses_dynamic_stack: false
    .vgpr_count:     125
    .vgpr_spill_count: 0
    .wavefront_size: 64
  - .args:
      - .offset:         0
        .size:           4
        .value_kind:     by_value
      - .offset:         4
        .size:           4
        .value_kind:     by_value
      - .address_space:  global
        .offset:         8
        .size:           8
        .value_kind:     global_buffer
      - .offset:         16
        .size:           4
        .value_kind:     by_value
      - .offset:         20
        .size:           4
        .value_kind:     by_value
      - .offset:         24
        .size:           8
        .value_kind:     by_value
    .group_segment_fixed_size: 792
    .kernarg_segment_align: 8
    .kernarg_segment_size: 32
    .language:       OpenCL C
    .language_version:
      - 2
      - 0
    .max_flat_workgroup_size: 64
    .name:           _ZN9rocsolver6v33100L18trti2_kernel_smallILi49EdPdEEv13rocblas_fill_17rocblas_diagonal_T1_iil
    .private_segment_fixed_size: 400
    .sgpr_count:     66
    .sgpr_spill_count: 0
    .symbol:         _ZN9rocsolver6v33100L18trti2_kernel_smallILi49EdPdEEv13rocblas_fill_17rocblas_diagonal_T1_iil.kd
    .uniform_work_group_size: 1
    .uses_dynamic_stack: false
    .vgpr_count:     126
    .vgpr_spill_count: 0
    .wavefront_size: 64
  - .args:
      - .offset:         0
        .size:           4
        .value_kind:     by_value
      - .offset:         4
        .size:           4
        .value_kind:     by_value
      - .address_space:  global
        .offset:         8
        .size:           8
        .value_kind:     global_buffer
      - .offset:         16
        .size:           4
        .value_kind:     by_value
      - .offset:         20
        .size:           4
        .value_kind:     by_value
      - .offset:         24
        .size:           8
        .value_kind:     by_value
    .group_segment_fixed_size: 800
    .kernarg_segment_align: 8
    .kernarg_segment_size: 32
    .language:       OpenCL C
    .language_version:
      - 2
      - 0
    .max_flat_workgroup_size: 64
    .name:           _ZN9rocsolver6v33100L18trti2_kernel_smallILi50EdPdEEv13rocblas_fill_17rocblas_diagonal_T1_iil
    .private_segment_fixed_size: 416
    .sgpr_count:     67
    .sgpr_spill_count: 0
    .symbol:         _ZN9rocsolver6v33100L18trti2_kernel_smallILi50EdPdEEv13rocblas_fill_17rocblas_diagonal_T1_iil.kd
    .uniform_work_group_size: 1
    .uses_dynamic_stack: false
    .vgpr_count:     125
    .vgpr_spill_count: 0
    .wavefront_size: 64
  - .args:
      - .offset:         0
        .size:           4
        .value_kind:     by_value
      - .offset:         4
        .size:           4
        .value_kind:     by_value
      - .address_space:  global
        .offset:         8
        .size:           8
        .value_kind:     global_buffer
      - .offset:         16
        .size:           4
        .value_kind:     by_value
      - .offset:         20
        .size:           4
        .value_kind:     by_value
      - .offset:         24
        .size:           8
        .value_kind:     by_value
    .group_segment_fixed_size: 824
    .kernarg_segment_align: 8
    .kernarg_segment_size: 32
    .language:       OpenCL C
    .language_version:
      - 2
      - 0
    .max_flat_workgroup_size: 64
    .name:           _ZN9rocsolver6v33100L18trti2_kernel_smallILi51EdPdEEv13rocblas_fill_17rocblas_diagonal_T1_iil
    .private_segment_fixed_size: 416
    .sgpr_count:     68
    .sgpr_spill_count: 0
    .symbol:         _ZN9rocsolver6v33100L18trti2_kernel_smallILi51EdPdEEv13rocblas_fill_17rocblas_diagonal_T1_iil.kd
    .uniform_work_group_size: 1
    .uses_dynamic_stack: false
    .vgpr_count:     125
    .vgpr_spill_count: 0
    .wavefront_size: 64
  - .args:
      - .offset:         0
        .size:           4
        .value_kind:     by_value
      - .offset:         4
        .size:           4
        .value_kind:     by_value
      - .address_space:  global
        .offset:         8
        .size:           8
        .value_kind:     global_buffer
      - .offset:         16
        .size:           4
        .value_kind:     by_value
      - .offset:         20
        .size:           4
        .value_kind:     by_value
      - .offset:         24
        .size:           8
        .value_kind:     by_value
    .group_segment_fixed_size: 832
    .kernarg_segment_align: 8
    .kernarg_segment_size: 32
    .language:       OpenCL C
    .language_version:
      - 2
      - 0
    .max_flat_workgroup_size: 64
    .name:           _ZN9rocsolver6v33100L18trti2_kernel_smallILi52EdPdEEv13rocblas_fill_17rocblas_diagonal_T1_iil
    .private_segment_fixed_size: 432
    .sgpr_count:     69
    .sgpr_spill_count: 0
    .symbol:         _ZN9rocsolver6v33100L18trti2_kernel_smallILi52EdPdEEv13rocblas_fill_17rocblas_diagonal_T1_iil.kd
    .uniform_work_group_size: 1
    .uses_dynamic_stack: false
    .vgpr_count:     125
    .vgpr_spill_count: 0
    .wavefront_size: 64
  - .args:
      - .offset:         0
        .size:           4
        .value_kind:     by_value
      - .offset:         4
        .size:           4
        .value_kind:     by_value
      - .address_space:  global
        .offset:         8
        .size:           8
        .value_kind:     global_buffer
      - .offset:         16
        .size:           4
        .value_kind:     by_value
      - .offset:         20
        .size:           4
        .value_kind:     by_value
      - .offset:         24
        .size:           8
        .value_kind:     by_value
    .group_segment_fixed_size: 856
    .kernarg_segment_align: 8
    .kernarg_segment_size: 32
    .language:       OpenCL C
    .language_version:
      - 2
      - 0
    .max_flat_workgroup_size: 64
    .name:           _ZN9rocsolver6v33100L18trti2_kernel_smallILi53EdPdEEv13rocblas_fill_17rocblas_diagonal_T1_iil
    .private_segment_fixed_size: 432
    .sgpr_count:     70
    .sgpr_spill_count: 0
    .symbol:         _ZN9rocsolver6v33100L18trti2_kernel_smallILi53EdPdEEv13rocblas_fill_17rocblas_diagonal_T1_iil.kd
    .uniform_work_group_size: 1
    .uses_dynamic_stack: false
    .vgpr_count:     125
    .vgpr_spill_count: 0
    .wavefront_size: 64
  - .args:
      - .offset:         0
        .size:           4
        .value_kind:     by_value
      - .offset:         4
        .size:           4
        .value_kind:     by_value
      - .address_space:  global
        .offset:         8
        .size:           8
        .value_kind:     global_buffer
      - .offset:         16
        .size:           4
        .value_kind:     by_value
      - .offset:         20
        .size:           4
        .value_kind:     by_value
      - .offset:         24
        .size:           8
        .value_kind:     by_value
    .group_segment_fixed_size: 864
    .kernarg_segment_align: 8
    .kernarg_segment_size: 32
    .language:       OpenCL C
    .language_version:
      - 2
      - 0
    .max_flat_workgroup_size: 64
    .name:           _ZN9rocsolver6v33100L18trti2_kernel_smallILi54EdPdEEv13rocblas_fill_17rocblas_diagonal_T1_iil
    .private_segment_fixed_size: 448
    .sgpr_count:     71
    .sgpr_spill_count: 0
    .symbol:         _ZN9rocsolver6v33100L18trti2_kernel_smallILi54EdPdEEv13rocblas_fill_17rocblas_diagonal_T1_iil.kd
    .uniform_work_group_size: 1
    .uses_dynamic_stack: false
    .vgpr_count:     125
    .vgpr_spill_count: 0
    .wavefront_size: 64
  - .args:
      - .offset:         0
        .size:           4
        .value_kind:     by_value
      - .offset:         4
        .size:           4
        .value_kind:     by_value
      - .address_space:  global
        .offset:         8
        .size:           8
        .value_kind:     global_buffer
      - .offset:         16
        .size:           4
        .value_kind:     by_value
      - .offset:         20
        .size:           4
        .value_kind:     by_value
      - .offset:         24
        .size:           8
        .value_kind:     by_value
    .group_segment_fixed_size: 888
    .kernarg_segment_align: 8
    .kernarg_segment_size: 32
    .language:       OpenCL C
    .language_version:
      - 2
      - 0
    .max_flat_workgroup_size: 64
    .name:           _ZN9rocsolver6v33100L18trti2_kernel_smallILi55EdPdEEv13rocblas_fill_17rocblas_diagonal_T1_iil
    .private_segment_fixed_size: 448
    .sgpr_count:     72
    .sgpr_spill_count: 0
    .symbol:         _ZN9rocsolver6v33100L18trti2_kernel_smallILi55EdPdEEv13rocblas_fill_17rocblas_diagonal_T1_iil.kd
    .uniform_work_group_size: 1
    .uses_dynamic_stack: false
    .vgpr_count:     125
    .vgpr_spill_count: 0
    .wavefront_size: 64
  - .args:
      - .offset:         0
        .size:           4
        .value_kind:     by_value
      - .offset:         4
        .size:           4
        .value_kind:     by_value
      - .address_space:  global
        .offset:         8
        .size:           8
        .value_kind:     global_buffer
      - .offset:         16
        .size:           4
        .value_kind:     by_value
      - .offset:         20
        .size:           4
        .value_kind:     by_value
      - .offset:         24
        .size:           8
        .value_kind:     by_value
    .group_segment_fixed_size: 896
    .kernarg_segment_align: 8
    .kernarg_segment_size: 32
    .language:       OpenCL C
    .language_version:
      - 2
      - 0
    .max_flat_workgroup_size: 64
    .name:           _ZN9rocsolver6v33100L18trti2_kernel_smallILi56EdPdEEv13rocblas_fill_17rocblas_diagonal_T1_iil
    .private_segment_fixed_size: 464
    .sgpr_count:     73
    .sgpr_spill_count: 0
    .symbol:         _ZN9rocsolver6v33100L18trti2_kernel_smallILi56EdPdEEv13rocblas_fill_17rocblas_diagonal_T1_iil.kd
    .uniform_work_group_size: 1
    .uses_dynamic_stack: false
    .vgpr_count:     126
    .vgpr_spill_count: 0
    .wavefront_size: 64
  - .args:
      - .offset:         0
        .size:           4
        .value_kind:     by_value
      - .offset:         4
        .size:           4
        .value_kind:     by_value
      - .address_space:  global
        .offset:         8
        .size:           8
        .value_kind:     global_buffer
      - .offset:         16
        .size:           4
        .value_kind:     by_value
      - .offset:         20
        .size:           4
        .value_kind:     by_value
      - .offset:         24
        .size:           8
        .value_kind:     by_value
    .group_segment_fixed_size: 920
    .kernarg_segment_align: 8
    .kernarg_segment_size: 32
    .language:       OpenCL C
    .language_version:
      - 2
      - 0
    .max_flat_workgroup_size: 64
    .name:           _ZN9rocsolver6v33100L18trti2_kernel_smallILi57EdPdEEv13rocblas_fill_17rocblas_diagonal_T1_iil
    .private_segment_fixed_size: 464
    .sgpr_count:     74
    .sgpr_spill_count: 0
    .symbol:         _ZN9rocsolver6v33100L18trti2_kernel_smallILi57EdPdEEv13rocblas_fill_17rocblas_diagonal_T1_iil.kd
    .uniform_work_group_size: 1
    .uses_dynamic_stack: false
    .vgpr_count:     229
    .vgpr_spill_count: 0
    .wavefront_size: 64
  - .args:
      - .offset:         0
        .size:           4
        .value_kind:     by_value
      - .offset:         4
        .size:           4
        .value_kind:     by_value
      - .address_space:  global
        .offset:         8
        .size:           8
        .value_kind:     global_buffer
      - .offset:         16
        .size:           4
        .value_kind:     by_value
      - .offset:         20
        .size:           4
        .value_kind:     by_value
      - .offset:         24
        .size:           8
        .value_kind:     by_value
    .group_segment_fixed_size: 928
    .kernarg_segment_align: 8
    .kernarg_segment_size: 32
    .language:       OpenCL C
    .language_version:
      - 2
      - 0
    .max_flat_workgroup_size: 64
    .name:           _ZN9rocsolver6v33100L18trti2_kernel_smallILi58EdPdEEv13rocblas_fill_17rocblas_diagonal_T1_iil
    .private_segment_fixed_size: 480
    .sgpr_count:     75
    .sgpr_spill_count: 0
    .symbol:         _ZN9rocsolver6v33100L18trti2_kernel_smallILi58EdPdEEv13rocblas_fill_17rocblas_diagonal_T1_iil.kd
    .uniform_work_group_size: 1
    .uses_dynamic_stack: false
    .vgpr_count:     233
    .vgpr_spill_count: 0
    .wavefront_size: 64
  - .args:
      - .offset:         0
        .size:           4
        .value_kind:     by_value
      - .offset:         4
        .size:           4
        .value_kind:     by_value
      - .address_space:  global
        .offset:         8
        .size:           8
        .value_kind:     global_buffer
      - .offset:         16
        .size:           4
        .value_kind:     by_value
      - .offset:         20
        .size:           4
        .value_kind:     by_value
      - .offset:         24
        .size:           8
        .value_kind:     by_value
    .group_segment_fixed_size: 952
    .kernarg_segment_align: 8
    .kernarg_segment_size: 32
    .language:       OpenCL C
    .language_version:
      - 2
      - 0
    .max_flat_workgroup_size: 64
    .name:           _ZN9rocsolver6v33100L18trti2_kernel_smallILi59EdPdEEv13rocblas_fill_17rocblas_diagonal_T1_iil
    .private_segment_fixed_size: 480
    .sgpr_count:     76
    .sgpr_spill_count: 0
    .symbol:         _ZN9rocsolver6v33100L18trti2_kernel_smallILi59EdPdEEv13rocblas_fill_17rocblas_diagonal_T1_iil.kd
    .uniform_work_group_size: 1
    .uses_dynamic_stack: false
    .vgpr_count:     237
    .vgpr_spill_count: 0
    .wavefront_size: 64
  - .args:
      - .offset:         0
        .size:           4
        .value_kind:     by_value
      - .offset:         4
        .size:           4
        .value_kind:     by_value
      - .address_space:  global
        .offset:         8
        .size:           8
        .value_kind:     global_buffer
      - .offset:         16
        .size:           4
        .value_kind:     by_value
      - .offset:         20
        .size:           4
        .value_kind:     by_value
      - .offset:         24
        .size:           8
        .value_kind:     by_value
    .group_segment_fixed_size: 960
    .kernarg_segment_align: 8
    .kernarg_segment_size: 32
    .language:       OpenCL C
    .language_version:
      - 2
      - 0
    .max_flat_workgroup_size: 64
    .name:           _ZN9rocsolver6v33100L18trti2_kernel_smallILi60EdPdEEv13rocblas_fill_17rocblas_diagonal_T1_iil
    .private_segment_fixed_size: 496
    .sgpr_count:     77
    .sgpr_spill_count: 0
    .symbol:         _ZN9rocsolver6v33100L18trti2_kernel_smallILi60EdPdEEv13rocblas_fill_17rocblas_diagonal_T1_iil.kd
    .uniform_work_group_size: 1
    .uses_dynamic_stack: false
    .vgpr_count:     241
    .vgpr_spill_count: 0
    .wavefront_size: 64
  - .args:
      - .offset:         0
        .size:           4
        .value_kind:     by_value
      - .offset:         4
        .size:           4
        .value_kind:     by_value
      - .address_space:  global
        .offset:         8
        .size:           8
        .value_kind:     global_buffer
      - .offset:         16
        .size:           4
        .value_kind:     by_value
      - .offset:         20
        .size:           4
        .value_kind:     by_value
      - .offset:         24
        .size:           8
        .value_kind:     by_value
    .group_segment_fixed_size: 984
    .kernarg_segment_align: 8
    .kernarg_segment_size: 32
    .language:       OpenCL C
    .language_version:
      - 2
      - 0
    .max_flat_workgroup_size: 64
    .name:           _ZN9rocsolver6v33100L18trti2_kernel_smallILi61EdPdEEv13rocblas_fill_17rocblas_diagonal_T1_iil
    .private_segment_fixed_size: 496
    .sgpr_count:     78
    .sgpr_spill_count: 0
    .symbol:         _ZN9rocsolver6v33100L18trti2_kernel_smallILi61EdPdEEv13rocblas_fill_17rocblas_diagonal_T1_iil.kd
    .uniform_work_group_size: 1
    .uses_dynamic_stack: false
    .vgpr_count:     245
    .vgpr_spill_count: 0
    .wavefront_size: 64
  - .args:
      - .offset:         0
        .size:           4
        .value_kind:     by_value
      - .offset:         4
        .size:           4
        .value_kind:     by_value
      - .address_space:  global
        .offset:         8
        .size:           8
        .value_kind:     global_buffer
      - .offset:         16
        .size:           4
        .value_kind:     by_value
      - .offset:         20
        .size:           4
        .value_kind:     by_value
      - .offset:         24
        .size:           8
        .value_kind:     by_value
    .group_segment_fixed_size: 992
    .kernarg_segment_align: 8
    .kernarg_segment_size: 32
    .language:       OpenCL C
    .language_version:
      - 2
      - 0
    .max_flat_workgroup_size: 64
    .name:           _ZN9rocsolver6v33100L18trti2_kernel_smallILi62EdPdEEv13rocblas_fill_17rocblas_diagonal_T1_iil
    .private_segment_fixed_size: 512
    .sgpr_count:     79
    .sgpr_spill_count: 0
    .symbol:         _ZN9rocsolver6v33100L18trti2_kernel_smallILi62EdPdEEv13rocblas_fill_17rocblas_diagonal_T1_iil.kd
    .uniform_work_group_size: 1
    .uses_dynamic_stack: false
    .vgpr_count:     249
    .vgpr_spill_count: 0
    .wavefront_size: 64
  - .args:
      - .offset:         0
        .size:           4
        .value_kind:     by_value
      - .offset:         4
        .size:           4
        .value_kind:     by_value
      - .address_space:  global
        .offset:         8
        .size:           8
        .value_kind:     global_buffer
      - .offset:         16
        .size:           4
        .value_kind:     by_value
      - .offset:         20
        .size:           4
        .value_kind:     by_value
      - .offset:         24
        .size:           8
        .value_kind:     by_value
    .group_segment_fixed_size: 1016
    .kernarg_segment_align: 8
    .kernarg_segment_size: 32
    .language:       OpenCL C
    .language_version:
      - 2
      - 0
    .max_flat_workgroup_size: 64
    .name:           _ZN9rocsolver6v33100L18trti2_kernel_smallILi63EdPdEEv13rocblas_fill_17rocblas_diagonal_T1_iil
    .private_segment_fixed_size: 512
    .sgpr_count:     80
    .sgpr_spill_count: 0
    .symbol:         _ZN9rocsolver6v33100L18trti2_kernel_smallILi63EdPdEEv13rocblas_fill_17rocblas_diagonal_T1_iil.kd
    .uniform_work_group_size: 1
    .uses_dynamic_stack: false
    .vgpr_count:     253
    .vgpr_spill_count: 0
    .wavefront_size: 64
  - .args:
      - .offset:         0
        .size:           4
        .value_kind:     by_value
      - .offset:         4
        .size:           4
        .value_kind:     by_value
      - .address_space:  global
        .offset:         8
        .size:           8
        .value_kind:     global_buffer
      - .offset:         16
        .size:           4
        .value_kind:     by_value
      - .offset:         20
        .size:           4
        .value_kind:     by_value
      - .offset:         24
        .size:           8
        .value_kind:     by_value
    .group_segment_fixed_size: 1024
    .kernarg_segment_align: 8
    .kernarg_segment_size: 32
    .language:       OpenCL C
    .language_version:
      - 2
      - 0
    .max_flat_workgroup_size: 64
    .name:           _ZN9rocsolver6v33100L18trti2_kernel_smallILi64EdPdEEv13rocblas_fill_17rocblas_diagonal_T1_iil
    .private_segment_fixed_size: 528
    .sgpr_count:     81
    .sgpr_spill_count: 0
    .symbol:         _ZN9rocsolver6v33100L18trti2_kernel_smallILi64EdPdEEv13rocblas_fill_17rocblas_diagonal_T1_iil.kd
    .uniform_work_group_size: 1
    .uses_dynamic_stack: false
    .vgpr_count:     253
    .vgpr_spill_count: 0
    .wavefront_size: 64
  - .args:
      - .offset:         0
        .size:           4
        .value_kind:     by_value
      - .offset:         4
        .size:           4
        .value_kind:     by_value
      - .address_space:  global
        .offset:         8
        .size:           8
        .value_kind:     global_buffer
      - .offset:         16
        .size:           4
        .value_kind:     by_value
      - .offset:         20
        .size:           4
        .value_kind:     by_value
      - .offset:         24
        .size:           8
        .value_kind:     by_value
    .group_segment_fixed_size: 0
    .kernarg_segment_align: 8
    .kernarg_segment_size: 32
    .language:       OpenCL C
    .language_version:
      - 2
      - 0
    .max_flat_workgroup_size: 64
    .name:           _ZN9rocsolver6v33100L18trti2_kernel_smallILi1EdPKPdEEv13rocblas_fill_17rocblas_diagonal_T1_iil
    .private_segment_fixed_size: 0
    .sgpr_count:     12
    .sgpr_spill_count: 0
    .symbol:         _ZN9rocsolver6v33100L18trti2_kernel_smallILi1EdPKPdEEv13rocblas_fill_17rocblas_diagonal_T1_iil.kd
    .uniform_work_group_size: 1
    .uses_dynamic_stack: false
    .vgpr_count:     12
    .vgpr_spill_count: 0
    .wavefront_size: 64
  - .args:
      - .offset:         0
        .size:           4
        .value_kind:     by_value
      - .offset:         4
        .size:           4
        .value_kind:     by_value
      - .address_space:  global
        .offset:         8
        .size:           8
        .value_kind:     global_buffer
      - .offset:         16
        .size:           4
        .value_kind:     by_value
      - .offset:         20
        .size:           4
        .value_kind:     by_value
      - .offset:         24
        .size:           8
        .value_kind:     by_value
    .group_segment_fixed_size: 32
    .kernarg_segment_align: 8
    .kernarg_segment_size: 32
    .language:       OpenCL C
    .language_version:
      - 2
      - 0
    .max_flat_workgroup_size: 64
    .name:           _ZN9rocsolver6v33100L18trti2_kernel_smallILi2EdPKPdEEv13rocblas_fill_17rocblas_diagonal_T1_iil
    .private_segment_fixed_size: 0
    .sgpr_count:     16
    .sgpr_spill_count: 0
    .symbol:         _ZN9rocsolver6v33100L18trti2_kernel_smallILi2EdPKPdEEv13rocblas_fill_17rocblas_diagonal_T1_iil.kd
    .uniform_work_group_size: 1
    .uses_dynamic_stack: false
    .vgpr_count:     21
    .vgpr_spill_count: 0
    .wavefront_size: 64
  - .args:
      - .offset:         0
        .size:           4
        .value_kind:     by_value
      - .offset:         4
        .size:           4
        .value_kind:     by_value
      - .address_space:  global
        .offset:         8
        .size:           8
        .value_kind:     global_buffer
      - .offset:         16
        .size:           4
        .value_kind:     by_value
      - .offset:         20
        .size:           4
        .value_kind:     by_value
      - .offset:         24
        .size:           8
        .value_kind:     by_value
    .group_segment_fixed_size: 56
    .kernarg_segment_align: 8
    .kernarg_segment_size: 32
    .language:       OpenCL C
    .language_version:
      - 2
      - 0
    .max_flat_workgroup_size: 64
    .name:           _ZN9rocsolver6v33100L18trti2_kernel_smallILi3EdPKPdEEv13rocblas_fill_17rocblas_diagonal_T1_iil
    .private_segment_fixed_size: 0
    .sgpr_count:     16
    .sgpr_spill_count: 0
    .symbol:         _ZN9rocsolver6v33100L18trti2_kernel_smallILi3EdPKPdEEv13rocblas_fill_17rocblas_diagonal_T1_iil.kd
    .uniform_work_group_size: 1
    .uses_dynamic_stack: false
    .vgpr_count:     25
    .vgpr_spill_count: 0
    .wavefront_size: 64
  - .args:
      - .offset:         0
        .size:           4
        .value_kind:     by_value
      - .offset:         4
        .size:           4
        .value_kind:     by_value
      - .address_space:  global
        .offset:         8
        .size:           8
        .value_kind:     global_buffer
      - .offset:         16
        .size:           4
        .value_kind:     by_value
      - .offset:         20
        .size:           4
        .value_kind:     by_value
      - .offset:         24
        .size:           8
        .value_kind:     by_value
    .group_segment_fixed_size: 64
    .kernarg_segment_align: 8
    .kernarg_segment_size: 32
    .language:       OpenCL C
    .language_version:
      - 2
      - 0
    .max_flat_workgroup_size: 64
    .name:           _ZN9rocsolver6v33100L18trti2_kernel_smallILi4EdPKPdEEv13rocblas_fill_17rocblas_diagonal_T1_iil
    .private_segment_fixed_size: 0
    .sgpr_count:     20
    .sgpr_spill_count: 0
    .symbol:         _ZN9rocsolver6v33100L18trti2_kernel_smallILi4EdPKPdEEv13rocblas_fill_17rocblas_diagonal_T1_iil.kd
    .uniform_work_group_size: 1
    .uses_dynamic_stack: false
    .vgpr_count:     49
    .vgpr_spill_count: 0
    .wavefront_size: 64
  - .args:
      - .offset:         0
        .size:           4
        .value_kind:     by_value
      - .offset:         4
        .size:           4
        .value_kind:     by_value
      - .address_space:  global
        .offset:         8
        .size:           8
        .value_kind:     global_buffer
      - .offset:         16
        .size:           4
        .value_kind:     by_value
      - .offset:         20
        .size:           4
        .value_kind:     by_value
      - .offset:         24
        .size:           8
        .value_kind:     by_value
    .group_segment_fixed_size: 88
    .kernarg_segment_align: 8
    .kernarg_segment_size: 32
    .language:       OpenCL C
    .language_version:
      - 2
      - 0
    .max_flat_workgroup_size: 64
    .name:           _ZN9rocsolver6v33100L18trti2_kernel_smallILi5EdPKPdEEv13rocblas_fill_17rocblas_diagonal_T1_iil
    .private_segment_fixed_size: 0
    .sgpr_count:     22
    .sgpr_spill_count: 0
    .symbol:         _ZN9rocsolver6v33100L18trti2_kernel_smallILi5EdPKPdEEv13rocblas_fill_17rocblas_diagonal_T1_iil.kd
    .uniform_work_group_size: 1
    .uses_dynamic_stack: false
    .vgpr_count:     62
    .vgpr_spill_count: 0
    .wavefront_size: 64
  - .args:
      - .offset:         0
        .size:           4
        .value_kind:     by_value
      - .offset:         4
        .size:           4
        .value_kind:     by_value
      - .address_space:  global
        .offset:         8
        .size:           8
        .value_kind:     global_buffer
      - .offset:         16
        .size:           4
        .value_kind:     by_value
      - .offset:         20
        .size:           4
        .value_kind:     by_value
      - .offset:         24
        .size:           8
        .value_kind:     by_value
    .group_segment_fixed_size: 96
    .kernarg_segment_align: 8
    .kernarg_segment_size: 32
    .language:       OpenCL C
    .language_version:
      - 2
      - 0
    .max_flat_workgroup_size: 64
    .name:           _ZN9rocsolver6v33100L18trti2_kernel_smallILi6EdPKPdEEv13rocblas_fill_17rocblas_diagonal_T1_iil
    .private_segment_fixed_size: 0
    .sgpr_count:     24
    .sgpr_spill_count: 0
    .symbol:         _ZN9rocsolver6v33100L18trti2_kernel_smallILi6EdPKPdEEv13rocblas_fill_17rocblas_diagonal_T1_iil.kd
    .uniform_work_group_size: 1
    .uses_dynamic_stack: false
    .vgpr_count:     67
    .vgpr_spill_count: 0
    .wavefront_size: 64
  - .args:
      - .offset:         0
        .size:           4
        .value_kind:     by_value
      - .offset:         4
        .size:           4
        .value_kind:     by_value
      - .address_space:  global
        .offset:         8
        .size:           8
        .value_kind:     global_buffer
      - .offset:         16
        .size:           4
        .value_kind:     by_value
      - .offset:         20
        .size:           4
        .value_kind:     by_value
      - .offset:         24
        .size:           8
        .value_kind:     by_value
    .group_segment_fixed_size: 120
    .kernarg_segment_align: 8
    .kernarg_segment_size: 32
    .language:       OpenCL C
    .language_version:
      - 2
      - 0
    .max_flat_workgroup_size: 64
    .name:           _ZN9rocsolver6v33100L18trti2_kernel_smallILi7EdPKPdEEv13rocblas_fill_17rocblas_diagonal_T1_iil
    .private_segment_fixed_size: 0
    .sgpr_count:     24
    .sgpr_spill_count: 0
    .symbol:         _ZN9rocsolver6v33100L18trti2_kernel_smallILi7EdPKPdEEv13rocblas_fill_17rocblas_diagonal_T1_iil.kd
    .uniform_work_group_size: 1
    .uses_dynamic_stack: false
    .vgpr_count:     69
    .vgpr_spill_count: 0
    .wavefront_size: 64
  - .args:
      - .offset:         0
        .size:           4
        .value_kind:     by_value
      - .offset:         4
        .size:           4
        .value_kind:     by_value
      - .address_space:  global
        .offset:         8
        .size:           8
        .value_kind:     global_buffer
      - .offset:         16
        .size:           4
        .value_kind:     by_value
      - .offset:         20
        .size:           4
        .value_kind:     by_value
      - .offset:         24
        .size:           8
        .value_kind:     by_value
    .group_segment_fixed_size: 128
    .kernarg_segment_align: 8
    .kernarg_segment_size: 32
    .language:       OpenCL C
    .language_version:
      - 2
      - 0
    .max_flat_workgroup_size: 64
    .name:           _ZN9rocsolver6v33100L18trti2_kernel_smallILi8EdPKPdEEv13rocblas_fill_17rocblas_diagonal_T1_iil
    .private_segment_fixed_size: 0
    .sgpr_count:     24
    .sgpr_spill_count: 0
    .symbol:         _ZN9rocsolver6v33100L18trti2_kernel_smallILi8EdPKPdEEv13rocblas_fill_17rocblas_diagonal_T1_iil.kd
    .uniform_work_group_size: 1
    .uses_dynamic_stack: false
    .vgpr_count:     71
    .vgpr_spill_count: 0
    .wavefront_size: 64
  - .args:
      - .offset:         0
        .size:           4
        .value_kind:     by_value
      - .offset:         4
        .size:           4
        .value_kind:     by_value
      - .address_space:  global
        .offset:         8
        .size:           8
        .value_kind:     global_buffer
      - .offset:         16
        .size:           4
        .value_kind:     by_value
      - .offset:         20
        .size:           4
        .value_kind:     by_value
      - .offset:         24
        .size:           8
        .value_kind:     by_value
    .group_segment_fixed_size: 152
    .kernarg_segment_align: 8
    .kernarg_segment_size: 32
    .language:       OpenCL C
    .language_version:
      - 2
      - 0
    .max_flat_workgroup_size: 64
    .name:           _ZN9rocsolver6v33100L18trti2_kernel_smallILi9EdPKPdEEv13rocblas_fill_17rocblas_diagonal_T1_iil
    .private_segment_fixed_size: 0
    .sgpr_count:     26
    .sgpr_spill_count: 0
    .symbol:         _ZN9rocsolver6v33100L18trti2_kernel_smallILi9EdPKPdEEv13rocblas_fill_17rocblas_diagonal_T1_iil.kd
    .uniform_work_group_size: 1
    .uses_dynamic_stack: false
    .vgpr_count:     106
    .vgpr_spill_count: 0
    .wavefront_size: 64
  - .args:
      - .offset:         0
        .size:           4
        .value_kind:     by_value
      - .offset:         4
        .size:           4
        .value_kind:     by_value
      - .address_space:  global
        .offset:         8
        .size:           8
        .value_kind:     global_buffer
      - .offset:         16
        .size:           4
        .value_kind:     by_value
      - .offset:         20
        .size:           4
        .value_kind:     by_value
      - .offset:         24
        .size:           8
        .value_kind:     by_value
    .group_segment_fixed_size: 160
    .kernarg_segment_align: 8
    .kernarg_segment_size: 32
    .language:       OpenCL C
    .language_version:
      - 2
      - 0
    .max_flat_workgroup_size: 64
    .name:           _ZN9rocsolver6v33100L18trti2_kernel_smallILi10EdPKPdEEv13rocblas_fill_17rocblas_diagonal_T1_iil
    .private_segment_fixed_size: 0
    .sgpr_count:     40
    .sgpr_spill_count: 0
    .symbol:         _ZN9rocsolver6v33100L18trti2_kernel_smallILi10EdPKPdEEv13rocblas_fill_17rocblas_diagonal_T1_iil.kd
    .uniform_work_group_size: 1
    .uses_dynamic_stack: false
    .vgpr_count:     108
    .vgpr_spill_count: 0
    .wavefront_size: 64
  - .args:
      - .offset:         0
        .size:           4
        .value_kind:     by_value
      - .offset:         4
        .size:           4
        .value_kind:     by_value
      - .address_space:  global
        .offset:         8
        .size:           8
        .value_kind:     global_buffer
      - .offset:         16
        .size:           4
        .value_kind:     by_value
      - .offset:         20
        .size:           4
        .value_kind:     by_value
      - .offset:         24
        .size:           8
        .value_kind:     by_value
    .group_segment_fixed_size: 184
    .kernarg_segment_align: 8
    .kernarg_segment_size: 32
    .language:       OpenCL C
    .language_version:
      - 2
      - 0
    .max_flat_workgroup_size: 64
    .name:           _ZN9rocsolver6v33100L18trti2_kernel_smallILi11EdPKPdEEv13rocblas_fill_17rocblas_diagonal_T1_iil
    .private_segment_fixed_size: 0
    .sgpr_count:     46
    .sgpr_spill_count: 0
    .symbol:         _ZN9rocsolver6v33100L18trti2_kernel_smallILi11EdPKPdEEv13rocblas_fill_17rocblas_diagonal_T1_iil.kd
    .uniform_work_group_size: 1
    .uses_dynamic_stack: false
    .vgpr_count:     110
    .vgpr_spill_count: 0
    .wavefront_size: 64
  - .args:
      - .offset:         0
        .size:           4
        .value_kind:     by_value
      - .offset:         4
        .size:           4
        .value_kind:     by_value
      - .address_space:  global
        .offset:         8
        .size:           8
        .value_kind:     global_buffer
      - .offset:         16
        .size:           4
        .value_kind:     by_value
      - .offset:         20
        .size:           4
        .value_kind:     by_value
      - .offset:         24
        .size:           8
        .value_kind:     by_value
    .group_segment_fixed_size: 192
    .kernarg_segment_align: 8
    .kernarg_segment_size: 32
    .language:       OpenCL C
    .language_version:
      - 2
      - 0
    .max_flat_workgroup_size: 64
    .name:           _ZN9rocsolver6v33100L18trti2_kernel_smallILi12EdPKPdEEv13rocblas_fill_17rocblas_diagonal_T1_iil
    .private_segment_fixed_size: 0
    .sgpr_count:     46
    .sgpr_spill_count: 0
    .symbol:         _ZN9rocsolver6v33100L18trti2_kernel_smallILi12EdPKPdEEv13rocblas_fill_17rocblas_diagonal_T1_iil.kd
    .uniform_work_group_size: 1
    .uses_dynamic_stack: false
    .vgpr_count:     112
    .vgpr_spill_count: 0
    .wavefront_size: 64
  - .args:
      - .offset:         0
        .size:           4
        .value_kind:     by_value
      - .offset:         4
        .size:           4
        .value_kind:     by_value
      - .address_space:  global
        .offset:         8
        .size:           8
        .value_kind:     global_buffer
      - .offset:         16
        .size:           4
        .value_kind:     by_value
      - .offset:         20
        .size:           4
        .value_kind:     by_value
      - .offset:         24
        .size:           8
        .value_kind:     by_value
    .group_segment_fixed_size: 216
    .kernarg_segment_align: 8
    .kernarg_segment_size: 32
    .language:       OpenCL C
    .language_version:
      - 2
      - 0
    .max_flat_workgroup_size: 64
    .name:           _ZN9rocsolver6v33100L18trti2_kernel_smallILi13EdPKPdEEv13rocblas_fill_17rocblas_diagonal_T1_iil
    .private_segment_fixed_size: 0
    .sgpr_count:     48
    .sgpr_spill_count: 0
    .symbol:         _ZN9rocsolver6v33100L18trti2_kernel_smallILi13EdPKPdEEv13rocblas_fill_17rocblas_diagonal_T1_iil.kd
    .uniform_work_group_size: 1
    .uses_dynamic_stack: false
    .vgpr_count:     114
    .vgpr_spill_count: 0
    .wavefront_size: 64
  - .args:
      - .offset:         0
        .size:           4
        .value_kind:     by_value
      - .offset:         4
        .size:           4
        .value_kind:     by_value
      - .address_space:  global
        .offset:         8
        .size:           8
        .value_kind:     global_buffer
      - .offset:         16
        .size:           4
        .value_kind:     by_value
      - .offset:         20
        .size:           4
        .value_kind:     by_value
      - .offset:         24
        .size:           8
        .value_kind:     by_value
    .group_segment_fixed_size: 224
    .kernarg_segment_align: 8
    .kernarg_segment_size: 32
    .language:       OpenCL C
    .language_version:
      - 2
      - 0
    .max_flat_workgroup_size: 64
    .name:           _ZN9rocsolver6v33100L18trti2_kernel_smallILi14EdPKPdEEv13rocblas_fill_17rocblas_diagonal_T1_iil
    .private_segment_fixed_size: 0
    .sgpr_count:     50
    .sgpr_spill_count: 0
    .symbol:         _ZN9rocsolver6v33100L18trti2_kernel_smallILi14EdPKPdEEv13rocblas_fill_17rocblas_diagonal_T1_iil.kd
    .uniform_work_group_size: 1
    .uses_dynamic_stack: false
    .vgpr_count:     116
    .vgpr_spill_count: 0
    .wavefront_size: 64
  - .args:
      - .offset:         0
        .size:           4
        .value_kind:     by_value
      - .offset:         4
        .size:           4
        .value_kind:     by_value
      - .address_space:  global
        .offset:         8
        .size:           8
        .value_kind:     global_buffer
      - .offset:         16
        .size:           4
        .value_kind:     by_value
      - .offset:         20
        .size:           4
        .value_kind:     by_value
      - .offset:         24
        .size:           8
        .value_kind:     by_value
    .group_segment_fixed_size: 248
    .kernarg_segment_align: 8
    .kernarg_segment_size: 32
    .language:       OpenCL C
    .language_version:
      - 2
      - 0
    .max_flat_workgroup_size: 64
    .name:           _ZN9rocsolver6v33100L18trti2_kernel_smallILi15EdPKPdEEv13rocblas_fill_17rocblas_diagonal_T1_iil
    .private_segment_fixed_size: 0
    .sgpr_count:     52
    .sgpr_spill_count: 0
    .symbol:         _ZN9rocsolver6v33100L18trti2_kernel_smallILi15EdPKPdEEv13rocblas_fill_17rocblas_diagonal_T1_iil.kd
    .uniform_work_group_size: 1
    .uses_dynamic_stack: false
    .vgpr_count:     118
    .vgpr_spill_count: 0
    .wavefront_size: 64
  - .args:
      - .offset:         0
        .size:           4
        .value_kind:     by_value
      - .offset:         4
        .size:           4
        .value_kind:     by_value
      - .address_space:  global
        .offset:         8
        .size:           8
        .value_kind:     global_buffer
      - .offset:         16
        .size:           4
        .value_kind:     by_value
      - .offset:         20
        .size:           4
        .value_kind:     by_value
      - .offset:         24
        .size:           8
        .value_kind:     by_value
    .group_segment_fixed_size: 256
    .kernarg_segment_align: 8
    .kernarg_segment_size: 32
    .language:       OpenCL C
    .language_version:
      - 2
      - 0
    .max_flat_workgroup_size: 64
    .name:           _ZN9rocsolver6v33100L18trti2_kernel_smallILi16EdPKPdEEv13rocblas_fill_17rocblas_diagonal_T1_iil
    .private_segment_fixed_size: 0
    .sgpr_count:     54
    .sgpr_spill_count: 0
    .symbol:         _ZN9rocsolver6v33100L18trti2_kernel_smallILi16EdPKPdEEv13rocblas_fill_17rocblas_diagonal_T1_iil.kd
    .uniform_work_group_size: 1
    .uses_dynamic_stack: false
    .vgpr_count:     120
    .vgpr_spill_count: 0
    .wavefront_size: 64
  - .args:
      - .offset:         0
        .size:           4
        .value_kind:     by_value
      - .offset:         4
        .size:           4
        .value_kind:     by_value
      - .address_space:  global
        .offset:         8
        .size:           8
        .value_kind:     global_buffer
      - .offset:         16
        .size:           4
        .value_kind:     by_value
      - .offset:         20
        .size:           4
        .value_kind:     by_value
      - .offset:         24
        .size:           8
        .value_kind:     by_value
    .group_segment_fixed_size: 280
    .kernarg_segment_align: 8
    .kernarg_segment_size: 32
    .language:       OpenCL C
    .language_version:
      - 2
      - 0
    .max_flat_workgroup_size: 64
    .name:           _ZN9rocsolver6v33100L18trti2_kernel_smallILi17EdPKPdEEv13rocblas_fill_17rocblas_diagonal_T1_iil
    .private_segment_fixed_size: 144
    .sgpr_count:     33
    .sgpr_spill_count: 0
    .symbol:         _ZN9rocsolver6v33100L18trti2_kernel_smallILi17EdPKPdEEv13rocblas_fill_17rocblas_diagonal_T1_iil.kd
    .uniform_work_group_size: 1
    .uses_dynamic_stack: false
    .vgpr_count:     48
    .vgpr_spill_count: 0
    .wavefront_size: 64
  - .args:
      - .offset:         0
        .size:           4
        .value_kind:     by_value
      - .offset:         4
        .size:           4
        .value_kind:     by_value
      - .address_space:  global
        .offset:         8
        .size:           8
        .value_kind:     global_buffer
      - .offset:         16
        .size:           4
        .value_kind:     by_value
      - .offset:         20
        .size:           4
        .value_kind:     by_value
      - .offset:         24
        .size:           8
        .value_kind:     by_value
    .group_segment_fixed_size: 288
    .kernarg_segment_align: 8
    .kernarg_segment_size: 32
    .language:       OpenCL C
    .language_version:
      - 2
      - 0
    .max_flat_workgroup_size: 64
    .name:           _ZN9rocsolver6v33100L18trti2_kernel_smallILi18EdPKPdEEv13rocblas_fill_17rocblas_diagonal_T1_iil
    .private_segment_fixed_size: 160
    .sgpr_count:     34
    .sgpr_spill_count: 0
    .symbol:         _ZN9rocsolver6v33100L18trti2_kernel_smallILi18EdPKPdEEv13rocblas_fill_17rocblas_diagonal_T1_iil.kd
    .uniform_work_group_size: 1
    .uses_dynamic_stack: false
    .vgpr_count:     50
    .vgpr_spill_count: 0
    .wavefront_size: 64
  - .args:
      - .offset:         0
        .size:           4
        .value_kind:     by_value
      - .offset:         4
        .size:           4
        .value_kind:     by_value
      - .address_space:  global
        .offset:         8
        .size:           8
        .value_kind:     global_buffer
      - .offset:         16
        .size:           4
        .value_kind:     by_value
      - .offset:         20
        .size:           4
        .value_kind:     by_value
      - .offset:         24
        .size:           8
        .value_kind:     by_value
    .group_segment_fixed_size: 312
    .kernarg_segment_align: 8
    .kernarg_segment_size: 32
    .language:       OpenCL C
    .language_version:
      - 2
      - 0
    .max_flat_workgroup_size: 64
    .name:           _ZN9rocsolver6v33100L18trti2_kernel_smallILi19EdPKPdEEv13rocblas_fill_17rocblas_diagonal_T1_iil
    .private_segment_fixed_size: 160
    .sgpr_count:     35
    .sgpr_spill_count: 0
    .symbol:         _ZN9rocsolver6v33100L18trti2_kernel_smallILi19EdPKPdEEv13rocblas_fill_17rocblas_diagonal_T1_iil.kd
    .uniform_work_group_size: 1
    .uses_dynamic_stack: false
    .vgpr_count:     52
    .vgpr_spill_count: 0
    .wavefront_size: 64
  - .args:
      - .offset:         0
        .size:           4
        .value_kind:     by_value
      - .offset:         4
        .size:           4
        .value_kind:     by_value
      - .address_space:  global
        .offset:         8
        .size:           8
        .value_kind:     global_buffer
      - .offset:         16
        .size:           4
        .value_kind:     by_value
      - .offset:         20
        .size:           4
        .value_kind:     by_value
      - .offset:         24
        .size:           8
        .value_kind:     by_value
    .group_segment_fixed_size: 320
    .kernarg_segment_align: 8
    .kernarg_segment_size: 32
    .language:       OpenCL C
    .language_version:
      - 2
      - 0
    .max_flat_workgroup_size: 64
    .name:           _ZN9rocsolver6v33100L18trti2_kernel_smallILi20EdPKPdEEv13rocblas_fill_17rocblas_diagonal_T1_iil
    .private_segment_fixed_size: 176
    .sgpr_count:     36
    .sgpr_spill_count: 0
    .symbol:         _ZN9rocsolver6v33100L18trti2_kernel_smallILi20EdPKPdEEv13rocblas_fill_17rocblas_diagonal_T1_iil.kd
    .uniform_work_group_size: 1
    .uses_dynamic_stack: false
    .vgpr_count:     54
    .vgpr_spill_count: 0
    .wavefront_size: 64
  - .args:
      - .offset:         0
        .size:           4
        .value_kind:     by_value
      - .offset:         4
        .size:           4
        .value_kind:     by_value
      - .address_space:  global
        .offset:         8
        .size:           8
        .value_kind:     global_buffer
      - .offset:         16
        .size:           4
        .value_kind:     by_value
      - .offset:         20
        .size:           4
        .value_kind:     by_value
      - .offset:         24
        .size:           8
        .value_kind:     by_value
    .group_segment_fixed_size: 344
    .kernarg_segment_align: 8
    .kernarg_segment_size: 32
    .language:       OpenCL C
    .language_version:
      - 2
      - 0
    .max_flat_workgroup_size: 64
    .name:           _ZN9rocsolver6v33100L18trti2_kernel_smallILi21EdPKPdEEv13rocblas_fill_17rocblas_diagonal_T1_iil
    .private_segment_fixed_size: 176
    .sgpr_count:     38
    .sgpr_spill_count: 0
    .symbol:         _ZN9rocsolver6v33100L18trti2_kernel_smallILi21EdPKPdEEv13rocblas_fill_17rocblas_diagonal_T1_iil.kd
    .uniform_work_group_size: 1
    .uses_dynamic_stack: false
    .vgpr_count:     56
    .vgpr_spill_count: 0
    .wavefront_size: 64
  - .args:
      - .offset:         0
        .size:           4
        .value_kind:     by_value
      - .offset:         4
        .size:           4
        .value_kind:     by_value
      - .address_space:  global
        .offset:         8
        .size:           8
        .value_kind:     global_buffer
      - .offset:         16
        .size:           4
        .value_kind:     by_value
      - .offset:         20
        .size:           4
        .value_kind:     by_value
      - .offset:         24
        .size:           8
        .value_kind:     by_value
    .group_segment_fixed_size: 352
    .kernarg_segment_align: 8
    .kernarg_segment_size: 32
    .language:       OpenCL C
    .language_version:
      - 2
      - 0
    .max_flat_workgroup_size: 64
    .name:           _ZN9rocsolver6v33100L18trti2_kernel_smallILi22EdPKPdEEv13rocblas_fill_17rocblas_diagonal_T1_iil
    .private_segment_fixed_size: 192
    .sgpr_count:     39
    .sgpr_spill_count: 0
    .symbol:         _ZN9rocsolver6v33100L18trti2_kernel_smallILi22EdPKPdEEv13rocblas_fill_17rocblas_diagonal_T1_iil.kd
    .uniform_work_group_size: 1
    .uses_dynamic_stack: false
    .vgpr_count:     58
    .vgpr_spill_count: 0
    .wavefront_size: 64
  - .args:
      - .offset:         0
        .size:           4
        .value_kind:     by_value
      - .offset:         4
        .size:           4
        .value_kind:     by_value
      - .address_space:  global
        .offset:         8
        .size:           8
        .value_kind:     global_buffer
      - .offset:         16
        .size:           4
        .value_kind:     by_value
      - .offset:         20
        .size:           4
        .value_kind:     by_value
      - .offset:         24
        .size:           8
        .value_kind:     by_value
    .group_segment_fixed_size: 376
    .kernarg_segment_align: 8
    .kernarg_segment_size: 32
    .language:       OpenCL C
    .language_version:
      - 2
      - 0
    .max_flat_workgroup_size: 64
    .name:           _ZN9rocsolver6v33100L18trti2_kernel_smallILi23EdPKPdEEv13rocblas_fill_17rocblas_diagonal_T1_iil
    .private_segment_fixed_size: 192
    .sgpr_count:     40
    .sgpr_spill_count: 0
    .symbol:         _ZN9rocsolver6v33100L18trti2_kernel_smallILi23EdPKPdEEv13rocblas_fill_17rocblas_diagonal_T1_iil.kd
    .uniform_work_group_size: 1
    .uses_dynamic_stack: false
    .vgpr_count:     60
    .vgpr_spill_count: 0
    .wavefront_size: 64
  - .args:
      - .offset:         0
        .size:           4
        .value_kind:     by_value
      - .offset:         4
        .size:           4
        .value_kind:     by_value
      - .address_space:  global
        .offset:         8
        .size:           8
        .value_kind:     global_buffer
      - .offset:         16
        .size:           4
        .value_kind:     by_value
      - .offset:         20
        .size:           4
        .value_kind:     by_value
      - .offset:         24
        .size:           8
        .value_kind:     by_value
    .group_segment_fixed_size: 384
    .kernarg_segment_align: 8
    .kernarg_segment_size: 32
    .language:       OpenCL C
    .language_version:
      - 2
      - 0
    .max_flat_workgroup_size: 64
    .name:           _ZN9rocsolver6v33100L18trti2_kernel_smallILi24EdPKPdEEv13rocblas_fill_17rocblas_diagonal_T1_iil
    .private_segment_fixed_size: 208
    .sgpr_count:     41
    .sgpr_spill_count: 0
    .symbol:         _ZN9rocsolver6v33100L18trti2_kernel_smallILi24EdPKPdEEv13rocblas_fill_17rocblas_diagonal_T1_iil.kd
    .uniform_work_group_size: 1
    .uses_dynamic_stack: false
    .vgpr_count:     62
    .vgpr_spill_count: 0
    .wavefront_size: 64
  - .args:
      - .offset:         0
        .size:           4
        .value_kind:     by_value
      - .offset:         4
        .size:           4
        .value_kind:     by_value
      - .address_space:  global
        .offset:         8
        .size:           8
        .value_kind:     global_buffer
      - .offset:         16
        .size:           4
        .value_kind:     by_value
      - .offset:         20
        .size:           4
        .value_kind:     by_value
      - .offset:         24
        .size:           8
        .value_kind:     by_value
    .group_segment_fixed_size: 408
    .kernarg_segment_align: 8
    .kernarg_segment_size: 32
    .language:       OpenCL C
    .language_version:
      - 2
      - 0
    .max_flat_workgroup_size: 64
    .name:           _ZN9rocsolver6v33100L18trti2_kernel_smallILi25EdPKPdEEv13rocblas_fill_17rocblas_diagonal_T1_iil
    .private_segment_fixed_size: 208
    .sgpr_count:     42
    .sgpr_spill_count: 0
    .symbol:         _ZN9rocsolver6v33100L18trti2_kernel_smallILi25EdPKPdEEv13rocblas_fill_17rocblas_diagonal_T1_iil.kd
    .uniform_work_group_size: 1
    .uses_dynamic_stack: false
    .vgpr_count:     64
    .vgpr_spill_count: 0
    .wavefront_size: 64
  - .args:
      - .offset:         0
        .size:           4
        .value_kind:     by_value
      - .offset:         4
        .size:           4
        .value_kind:     by_value
      - .address_space:  global
        .offset:         8
        .size:           8
        .value_kind:     global_buffer
      - .offset:         16
        .size:           4
        .value_kind:     by_value
      - .offset:         20
        .size:           4
        .value_kind:     by_value
      - .offset:         24
        .size:           8
        .value_kind:     by_value
    .group_segment_fixed_size: 416
    .kernarg_segment_align: 8
    .kernarg_segment_size: 32
    .language:       OpenCL C
    .language_version:
      - 2
      - 0
    .max_flat_workgroup_size: 64
    .name:           _ZN9rocsolver6v33100L18trti2_kernel_smallILi26EdPKPdEEv13rocblas_fill_17rocblas_diagonal_T1_iil
    .private_segment_fixed_size: 224
    .sgpr_count:     43
    .sgpr_spill_count: 0
    .symbol:         _ZN9rocsolver6v33100L18trti2_kernel_smallILi26EdPKPdEEv13rocblas_fill_17rocblas_diagonal_T1_iil.kd
    .uniform_work_group_size: 1
    .uses_dynamic_stack: false
    .vgpr_count:     66
    .vgpr_spill_count: 0
    .wavefront_size: 64
  - .args:
      - .offset:         0
        .size:           4
        .value_kind:     by_value
      - .offset:         4
        .size:           4
        .value_kind:     by_value
      - .address_space:  global
        .offset:         8
        .size:           8
        .value_kind:     global_buffer
      - .offset:         16
        .size:           4
        .value_kind:     by_value
      - .offset:         20
        .size:           4
        .value_kind:     by_value
      - .offset:         24
        .size:           8
        .value_kind:     by_value
    .group_segment_fixed_size: 440
    .kernarg_segment_align: 8
    .kernarg_segment_size: 32
    .language:       OpenCL C
    .language_version:
      - 2
      - 0
    .max_flat_workgroup_size: 64
    .name:           _ZN9rocsolver6v33100L18trti2_kernel_smallILi27EdPKPdEEv13rocblas_fill_17rocblas_diagonal_T1_iil
    .private_segment_fixed_size: 224
    .sgpr_count:     44
    .sgpr_spill_count: 0
    .symbol:         _ZN9rocsolver6v33100L18trti2_kernel_smallILi27EdPKPdEEv13rocblas_fill_17rocblas_diagonal_T1_iil.kd
    .uniform_work_group_size: 1
    .uses_dynamic_stack: false
    .vgpr_count:     68
    .vgpr_spill_count: 0
    .wavefront_size: 64
  - .args:
      - .offset:         0
        .size:           4
        .value_kind:     by_value
      - .offset:         4
        .size:           4
        .value_kind:     by_value
      - .address_space:  global
        .offset:         8
        .size:           8
        .value_kind:     global_buffer
      - .offset:         16
        .size:           4
        .value_kind:     by_value
      - .offset:         20
        .size:           4
        .value_kind:     by_value
      - .offset:         24
        .size:           8
        .value_kind:     by_value
    .group_segment_fixed_size: 448
    .kernarg_segment_align: 8
    .kernarg_segment_size: 32
    .language:       OpenCL C
    .language_version:
      - 2
      - 0
    .max_flat_workgroup_size: 64
    .name:           _ZN9rocsolver6v33100L18trti2_kernel_smallILi28EdPKPdEEv13rocblas_fill_17rocblas_diagonal_T1_iil
    .private_segment_fixed_size: 240
    .sgpr_count:     45
    .sgpr_spill_count: 0
    .symbol:         _ZN9rocsolver6v33100L18trti2_kernel_smallILi28EdPKPdEEv13rocblas_fill_17rocblas_diagonal_T1_iil.kd
    .uniform_work_group_size: 1
    .uses_dynamic_stack: false
    .vgpr_count:     70
    .vgpr_spill_count: 0
    .wavefront_size: 64
  - .args:
      - .offset:         0
        .size:           4
        .value_kind:     by_value
      - .offset:         4
        .size:           4
        .value_kind:     by_value
      - .address_space:  global
        .offset:         8
        .size:           8
        .value_kind:     global_buffer
      - .offset:         16
        .size:           4
        .value_kind:     by_value
      - .offset:         20
        .size:           4
        .value_kind:     by_value
      - .offset:         24
        .size:           8
        .value_kind:     by_value
    .group_segment_fixed_size: 472
    .kernarg_segment_align: 8
    .kernarg_segment_size: 32
    .language:       OpenCL C
    .language_version:
      - 2
      - 0
    .max_flat_workgroup_size: 64
    .name:           _ZN9rocsolver6v33100L18trti2_kernel_smallILi29EdPKPdEEv13rocblas_fill_17rocblas_diagonal_T1_iil
    .private_segment_fixed_size: 240
    .sgpr_count:     46
    .sgpr_spill_count: 0
    .symbol:         _ZN9rocsolver6v33100L18trti2_kernel_smallILi29EdPKPdEEv13rocblas_fill_17rocblas_diagonal_T1_iil.kd
    .uniform_work_group_size: 1
    .uses_dynamic_stack: false
    .vgpr_count:     72
    .vgpr_spill_count: 0
    .wavefront_size: 64
  - .args:
      - .offset:         0
        .size:           4
        .value_kind:     by_value
      - .offset:         4
        .size:           4
        .value_kind:     by_value
      - .address_space:  global
        .offset:         8
        .size:           8
        .value_kind:     global_buffer
      - .offset:         16
        .size:           4
        .value_kind:     by_value
      - .offset:         20
        .size:           4
        .value_kind:     by_value
      - .offset:         24
        .size:           8
        .value_kind:     by_value
    .group_segment_fixed_size: 480
    .kernarg_segment_align: 8
    .kernarg_segment_size: 32
    .language:       OpenCL C
    .language_version:
      - 2
      - 0
    .max_flat_workgroup_size: 64
    .name:           _ZN9rocsolver6v33100L18trti2_kernel_smallILi30EdPKPdEEv13rocblas_fill_17rocblas_diagonal_T1_iil
    .private_segment_fixed_size: 256
    .sgpr_count:     47
    .sgpr_spill_count: 0
    .symbol:         _ZN9rocsolver6v33100L18trti2_kernel_smallILi30EdPKPdEEv13rocblas_fill_17rocblas_diagonal_T1_iil.kd
    .uniform_work_group_size: 1
    .uses_dynamic_stack: false
    .vgpr_count:     74
    .vgpr_spill_count: 0
    .wavefront_size: 64
  - .args:
      - .offset:         0
        .size:           4
        .value_kind:     by_value
      - .offset:         4
        .size:           4
        .value_kind:     by_value
      - .address_space:  global
        .offset:         8
        .size:           8
        .value_kind:     global_buffer
      - .offset:         16
        .size:           4
        .value_kind:     by_value
      - .offset:         20
        .size:           4
        .value_kind:     by_value
      - .offset:         24
        .size:           8
        .value_kind:     by_value
    .group_segment_fixed_size: 504
    .kernarg_segment_align: 8
    .kernarg_segment_size: 32
    .language:       OpenCL C
    .language_version:
      - 2
      - 0
    .max_flat_workgroup_size: 64
    .name:           _ZN9rocsolver6v33100L18trti2_kernel_smallILi31EdPKPdEEv13rocblas_fill_17rocblas_diagonal_T1_iil
    .private_segment_fixed_size: 256
    .sgpr_count:     48
    .sgpr_spill_count: 0
    .symbol:         _ZN9rocsolver6v33100L18trti2_kernel_smallILi31EdPKPdEEv13rocblas_fill_17rocblas_diagonal_T1_iil.kd
    .uniform_work_group_size: 1
    .uses_dynamic_stack: false
    .vgpr_count:     76
    .vgpr_spill_count: 0
    .wavefront_size: 64
  - .args:
      - .offset:         0
        .size:           4
        .value_kind:     by_value
      - .offset:         4
        .size:           4
        .value_kind:     by_value
      - .address_space:  global
        .offset:         8
        .size:           8
        .value_kind:     global_buffer
      - .offset:         16
        .size:           4
        .value_kind:     by_value
      - .offset:         20
        .size:           4
        .value_kind:     by_value
      - .offset:         24
        .size:           8
        .value_kind:     by_value
    .group_segment_fixed_size: 512
    .kernarg_segment_align: 8
    .kernarg_segment_size: 32
    .language:       OpenCL C
    .language_version:
      - 2
      - 0
    .max_flat_workgroup_size: 64
    .name:           _ZN9rocsolver6v33100L18trti2_kernel_smallILi32EdPKPdEEv13rocblas_fill_17rocblas_diagonal_T1_iil
    .private_segment_fixed_size: 272
    .sgpr_count:     49
    .sgpr_spill_count: 0
    .symbol:         _ZN9rocsolver6v33100L18trti2_kernel_smallILi32EdPKPdEEv13rocblas_fill_17rocblas_diagonal_T1_iil.kd
    .uniform_work_group_size: 1
    .uses_dynamic_stack: false
    .vgpr_count:     78
    .vgpr_spill_count: 0
    .wavefront_size: 64
  - .args:
      - .offset:         0
        .size:           4
        .value_kind:     by_value
      - .offset:         4
        .size:           4
        .value_kind:     by_value
      - .address_space:  global
        .offset:         8
        .size:           8
        .value_kind:     global_buffer
      - .offset:         16
        .size:           4
        .value_kind:     by_value
      - .offset:         20
        .size:           4
        .value_kind:     by_value
      - .offset:         24
        .size:           8
        .value_kind:     by_value
    .group_segment_fixed_size: 536
    .kernarg_segment_align: 8
    .kernarg_segment_size: 32
    .language:       OpenCL C
    .language_version:
      - 2
      - 0
    .max_flat_workgroup_size: 64
    .name:           _ZN9rocsolver6v33100L18trti2_kernel_smallILi33EdPKPdEEv13rocblas_fill_17rocblas_diagonal_T1_iil
    .private_segment_fixed_size: 272
    .sgpr_count:     50
    .sgpr_spill_count: 0
    .symbol:         _ZN9rocsolver6v33100L18trti2_kernel_smallILi33EdPKPdEEv13rocblas_fill_17rocblas_diagonal_T1_iil.kd
    .uniform_work_group_size: 1
    .uses_dynamic_stack: false
    .vgpr_count:     80
    .vgpr_spill_count: 0
    .wavefront_size: 64
  - .args:
      - .offset:         0
        .size:           4
        .value_kind:     by_value
      - .offset:         4
        .size:           4
        .value_kind:     by_value
      - .address_space:  global
        .offset:         8
        .size:           8
        .value_kind:     global_buffer
      - .offset:         16
        .size:           4
        .value_kind:     by_value
      - .offset:         20
        .size:           4
        .value_kind:     by_value
      - .offset:         24
        .size:           8
        .value_kind:     by_value
    .group_segment_fixed_size: 544
    .kernarg_segment_align: 8
    .kernarg_segment_size: 32
    .language:       OpenCL C
    .language_version:
      - 2
      - 0
    .max_flat_workgroup_size: 64
    .name:           _ZN9rocsolver6v33100L18trti2_kernel_smallILi34EdPKPdEEv13rocblas_fill_17rocblas_diagonal_T1_iil
    .private_segment_fixed_size: 288
    .sgpr_count:     51
    .sgpr_spill_count: 0
    .symbol:         _ZN9rocsolver6v33100L18trti2_kernel_smallILi34EdPKPdEEv13rocblas_fill_17rocblas_diagonal_T1_iil.kd
    .uniform_work_group_size: 1
    .uses_dynamic_stack: false
    .vgpr_count:     82
    .vgpr_spill_count: 0
    .wavefront_size: 64
  - .args:
      - .offset:         0
        .size:           4
        .value_kind:     by_value
      - .offset:         4
        .size:           4
        .value_kind:     by_value
      - .address_space:  global
        .offset:         8
        .size:           8
        .value_kind:     global_buffer
      - .offset:         16
        .size:           4
        .value_kind:     by_value
      - .offset:         20
        .size:           4
        .value_kind:     by_value
      - .offset:         24
        .size:           8
        .value_kind:     by_value
    .group_segment_fixed_size: 568
    .kernarg_segment_align: 8
    .kernarg_segment_size: 32
    .language:       OpenCL C
    .language_version:
      - 2
      - 0
    .max_flat_workgroup_size: 64
    .name:           _ZN9rocsolver6v33100L18trti2_kernel_smallILi35EdPKPdEEv13rocblas_fill_17rocblas_diagonal_T1_iil
    .private_segment_fixed_size: 288
    .sgpr_count:     52
    .sgpr_spill_count: 0
    .symbol:         _ZN9rocsolver6v33100L18trti2_kernel_smallILi35EdPKPdEEv13rocblas_fill_17rocblas_diagonal_T1_iil.kd
    .uniform_work_group_size: 1
    .uses_dynamic_stack: false
    .vgpr_count:     84
    .vgpr_spill_count: 0
    .wavefront_size: 64
  - .args:
      - .offset:         0
        .size:           4
        .value_kind:     by_value
      - .offset:         4
        .size:           4
        .value_kind:     by_value
      - .address_space:  global
        .offset:         8
        .size:           8
        .value_kind:     global_buffer
      - .offset:         16
        .size:           4
        .value_kind:     by_value
      - .offset:         20
        .size:           4
        .value_kind:     by_value
      - .offset:         24
        .size:           8
        .value_kind:     by_value
    .group_segment_fixed_size: 576
    .kernarg_segment_align: 8
    .kernarg_segment_size: 32
    .language:       OpenCL C
    .language_version:
      - 2
      - 0
    .max_flat_workgroup_size: 64
    .name:           _ZN9rocsolver6v33100L18trti2_kernel_smallILi36EdPKPdEEv13rocblas_fill_17rocblas_diagonal_T1_iil
    .private_segment_fixed_size: 304
    .sgpr_count:     53
    .sgpr_spill_count: 0
    .symbol:         _ZN9rocsolver6v33100L18trti2_kernel_smallILi36EdPKPdEEv13rocblas_fill_17rocblas_diagonal_T1_iil.kd
    .uniform_work_group_size: 1
    .uses_dynamic_stack: false
    .vgpr_count:     86
    .vgpr_spill_count: 0
    .wavefront_size: 64
  - .args:
      - .offset:         0
        .size:           4
        .value_kind:     by_value
      - .offset:         4
        .size:           4
        .value_kind:     by_value
      - .address_space:  global
        .offset:         8
        .size:           8
        .value_kind:     global_buffer
      - .offset:         16
        .size:           4
        .value_kind:     by_value
      - .offset:         20
        .size:           4
        .value_kind:     by_value
      - .offset:         24
        .size:           8
        .value_kind:     by_value
    .group_segment_fixed_size: 600
    .kernarg_segment_align: 8
    .kernarg_segment_size: 32
    .language:       OpenCL C
    .language_version:
      - 2
      - 0
    .max_flat_workgroup_size: 64
    .name:           _ZN9rocsolver6v33100L18trti2_kernel_smallILi37EdPKPdEEv13rocblas_fill_17rocblas_diagonal_T1_iil
    .private_segment_fixed_size: 304
    .sgpr_count:     54
    .sgpr_spill_count: 0
    .symbol:         _ZN9rocsolver6v33100L18trti2_kernel_smallILi37EdPKPdEEv13rocblas_fill_17rocblas_diagonal_T1_iil.kd
    .uniform_work_group_size: 1
    .uses_dynamic_stack: false
    .vgpr_count:     88
    .vgpr_spill_count: 0
    .wavefront_size: 64
  - .args:
      - .offset:         0
        .size:           4
        .value_kind:     by_value
      - .offset:         4
        .size:           4
        .value_kind:     by_value
      - .address_space:  global
        .offset:         8
        .size:           8
        .value_kind:     global_buffer
      - .offset:         16
        .size:           4
        .value_kind:     by_value
      - .offset:         20
        .size:           4
        .value_kind:     by_value
      - .offset:         24
        .size:           8
        .value_kind:     by_value
    .group_segment_fixed_size: 608
    .kernarg_segment_align: 8
    .kernarg_segment_size: 32
    .language:       OpenCL C
    .language_version:
      - 2
      - 0
    .max_flat_workgroup_size: 64
    .name:           _ZN9rocsolver6v33100L18trti2_kernel_smallILi38EdPKPdEEv13rocblas_fill_17rocblas_diagonal_T1_iil
    .private_segment_fixed_size: 320
    .sgpr_count:     55
    .sgpr_spill_count: 0
    .symbol:         _ZN9rocsolver6v33100L18trti2_kernel_smallILi38EdPKPdEEv13rocblas_fill_17rocblas_diagonal_T1_iil.kd
    .uniform_work_group_size: 1
    .uses_dynamic_stack: false
    .vgpr_count:     90
    .vgpr_spill_count: 0
    .wavefront_size: 64
  - .args:
      - .offset:         0
        .size:           4
        .value_kind:     by_value
      - .offset:         4
        .size:           4
        .value_kind:     by_value
      - .address_space:  global
        .offset:         8
        .size:           8
        .value_kind:     global_buffer
      - .offset:         16
        .size:           4
        .value_kind:     by_value
      - .offset:         20
        .size:           4
        .value_kind:     by_value
      - .offset:         24
        .size:           8
        .value_kind:     by_value
    .group_segment_fixed_size: 632
    .kernarg_segment_align: 8
    .kernarg_segment_size: 32
    .language:       OpenCL C
    .language_version:
      - 2
      - 0
    .max_flat_workgroup_size: 64
    .name:           _ZN9rocsolver6v33100L18trti2_kernel_smallILi39EdPKPdEEv13rocblas_fill_17rocblas_diagonal_T1_iil
    .private_segment_fixed_size: 320
    .sgpr_count:     56
    .sgpr_spill_count: 0
    .symbol:         _ZN9rocsolver6v33100L18trti2_kernel_smallILi39EdPKPdEEv13rocblas_fill_17rocblas_diagonal_T1_iil.kd
    .uniform_work_group_size: 1
    .uses_dynamic_stack: false
    .vgpr_count:     92
    .vgpr_spill_count: 0
    .wavefront_size: 64
  - .args:
      - .offset:         0
        .size:           4
        .value_kind:     by_value
      - .offset:         4
        .size:           4
        .value_kind:     by_value
      - .address_space:  global
        .offset:         8
        .size:           8
        .value_kind:     global_buffer
      - .offset:         16
        .size:           4
        .value_kind:     by_value
      - .offset:         20
        .size:           4
        .value_kind:     by_value
      - .offset:         24
        .size:           8
        .value_kind:     by_value
    .group_segment_fixed_size: 640
    .kernarg_segment_align: 8
    .kernarg_segment_size: 32
    .language:       OpenCL C
    .language_version:
      - 2
      - 0
    .max_flat_workgroup_size: 64
    .name:           _ZN9rocsolver6v33100L18trti2_kernel_smallILi40EdPKPdEEv13rocblas_fill_17rocblas_diagonal_T1_iil
    .private_segment_fixed_size: 336
    .sgpr_count:     57
    .sgpr_spill_count: 0
    .symbol:         _ZN9rocsolver6v33100L18trti2_kernel_smallILi40EdPKPdEEv13rocblas_fill_17rocblas_diagonal_T1_iil.kd
    .uniform_work_group_size: 1
    .uses_dynamic_stack: false
    .vgpr_count:     94
    .vgpr_spill_count: 0
    .wavefront_size: 64
  - .args:
      - .offset:         0
        .size:           4
        .value_kind:     by_value
      - .offset:         4
        .size:           4
        .value_kind:     by_value
      - .address_space:  global
        .offset:         8
        .size:           8
        .value_kind:     global_buffer
      - .offset:         16
        .size:           4
        .value_kind:     by_value
      - .offset:         20
        .size:           4
        .value_kind:     by_value
      - .offset:         24
        .size:           8
        .value_kind:     by_value
    .group_segment_fixed_size: 664
    .kernarg_segment_align: 8
    .kernarg_segment_size: 32
    .language:       OpenCL C
    .language_version:
      - 2
      - 0
    .max_flat_workgroup_size: 64
    .name:           _ZN9rocsolver6v33100L18trti2_kernel_smallILi41EdPKPdEEv13rocblas_fill_17rocblas_diagonal_T1_iil
    .private_segment_fixed_size: 336
    .sgpr_count:     58
    .sgpr_spill_count: 0
    .symbol:         _ZN9rocsolver6v33100L18trti2_kernel_smallILi41EdPKPdEEv13rocblas_fill_17rocblas_diagonal_T1_iil.kd
    .uniform_work_group_size: 1
    .uses_dynamic_stack: false
    .vgpr_count:     96
    .vgpr_spill_count: 0
    .wavefront_size: 64
  - .args:
      - .offset:         0
        .size:           4
        .value_kind:     by_value
      - .offset:         4
        .size:           4
        .value_kind:     by_value
      - .address_space:  global
        .offset:         8
        .size:           8
        .value_kind:     global_buffer
      - .offset:         16
        .size:           4
        .value_kind:     by_value
      - .offset:         20
        .size:           4
        .value_kind:     by_value
      - .offset:         24
        .size:           8
        .value_kind:     by_value
    .group_segment_fixed_size: 672
    .kernarg_segment_align: 8
    .kernarg_segment_size: 32
    .language:       OpenCL C
    .language_version:
      - 2
      - 0
    .max_flat_workgroup_size: 64
    .name:           _ZN9rocsolver6v33100L18trti2_kernel_smallILi42EdPKPdEEv13rocblas_fill_17rocblas_diagonal_T1_iil
    .private_segment_fixed_size: 352
    .sgpr_count:     59
    .sgpr_spill_count: 0
    .symbol:         _ZN9rocsolver6v33100L18trti2_kernel_smallILi42EdPKPdEEv13rocblas_fill_17rocblas_diagonal_T1_iil.kd
    .uniform_work_group_size: 1
    .uses_dynamic_stack: false
    .vgpr_count:     98
    .vgpr_spill_count: 0
    .wavefront_size: 64
  - .args:
      - .offset:         0
        .size:           4
        .value_kind:     by_value
      - .offset:         4
        .size:           4
        .value_kind:     by_value
      - .address_space:  global
        .offset:         8
        .size:           8
        .value_kind:     global_buffer
      - .offset:         16
        .size:           4
        .value_kind:     by_value
      - .offset:         20
        .size:           4
        .value_kind:     by_value
      - .offset:         24
        .size:           8
        .value_kind:     by_value
    .group_segment_fixed_size: 696
    .kernarg_segment_align: 8
    .kernarg_segment_size: 32
    .language:       OpenCL C
    .language_version:
      - 2
      - 0
    .max_flat_workgroup_size: 64
    .name:           _ZN9rocsolver6v33100L18trti2_kernel_smallILi43EdPKPdEEv13rocblas_fill_17rocblas_diagonal_T1_iil
    .private_segment_fixed_size: 352
    .sgpr_count:     60
    .sgpr_spill_count: 0
    .symbol:         _ZN9rocsolver6v33100L18trti2_kernel_smallILi43EdPKPdEEv13rocblas_fill_17rocblas_diagonal_T1_iil.kd
    .uniform_work_group_size: 1
    .uses_dynamic_stack: false
    .vgpr_count:     100
    .vgpr_spill_count: 0
    .wavefront_size: 64
  - .args:
      - .offset:         0
        .size:           4
        .value_kind:     by_value
      - .offset:         4
        .size:           4
        .value_kind:     by_value
      - .address_space:  global
        .offset:         8
        .size:           8
        .value_kind:     global_buffer
      - .offset:         16
        .size:           4
        .value_kind:     by_value
      - .offset:         20
        .size:           4
        .value_kind:     by_value
      - .offset:         24
        .size:           8
        .value_kind:     by_value
    .group_segment_fixed_size: 704
    .kernarg_segment_align: 8
    .kernarg_segment_size: 32
    .language:       OpenCL C
    .language_version:
      - 2
      - 0
    .max_flat_workgroup_size: 64
    .name:           _ZN9rocsolver6v33100L18trti2_kernel_smallILi44EdPKPdEEv13rocblas_fill_17rocblas_diagonal_T1_iil
    .private_segment_fixed_size: 368
    .sgpr_count:     61
    .sgpr_spill_count: 0
    .symbol:         _ZN9rocsolver6v33100L18trti2_kernel_smallILi44EdPKPdEEv13rocblas_fill_17rocblas_diagonal_T1_iil.kd
    .uniform_work_group_size: 1
    .uses_dynamic_stack: false
    .vgpr_count:     102
    .vgpr_spill_count: 0
    .wavefront_size: 64
  - .args:
      - .offset:         0
        .size:           4
        .value_kind:     by_value
      - .offset:         4
        .size:           4
        .value_kind:     by_value
      - .address_space:  global
        .offset:         8
        .size:           8
        .value_kind:     global_buffer
      - .offset:         16
        .size:           4
        .value_kind:     by_value
      - .offset:         20
        .size:           4
        .value_kind:     by_value
      - .offset:         24
        .size:           8
        .value_kind:     by_value
    .group_segment_fixed_size: 728
    .kernarg_segment_align: 8
    .kernarg_segment_size: 32
    .language:       OpenCL C
    .language_version:
      - 2
      - 0
    .max_flat_workgroup_size: 64
    .name:           _ZN9rocsolver6v33100L18trti2_kernel_smallILi45EdPKPdEEv13rocblas_fill_17rocblas_diagonal_T1_iil
    .private_segment_fixed_size: 368
    .sgpr_count:     62
    .sgpr_spill_count: 0
    .symbol:         _ZN9rocsolver6v33100L18trti2_kernel_smallILi45EdPKPdEEv13rocblas_fill_17rocblas_diagonal_T1_iil.kd
    .uniform_work_group_size: 1
    .uses_dynamic_stack: false
    .vgpr_count:     104
    .vgpr_spill_count: 0
    .wavefront_size: 64
  - .args:
      - .offset:         0
        .size:           4
        .value_kind:     by_value
      - .offset:         4
        .size:           4
        .value_kind:     by_value
      - .address_space:  global
        .offset:         8
        .size:           8
        .value_kind:     global_buffer
      - .offset:         16
        .size:           4
        .value_kind:     by_value
      - .offset:         20
        .size:           4
        .value_kind:     by_value
      - .offset:         24
        .size:           8
        .value_kind:     by_value
    .group_segment_fixed_size: 736
    .kernarg_segment_align: 8
    .kernarg_segment_size: 32
    .language:       OpenCL C
    .language_version:
      - 2
      - 0
    .max_flat_workgroup_size: 64
    .name:           _ZN9rocsolver6v33100L18trti2_kernel_smallILi46EdPKPdEEv13rocblas_fill_17rocblas_diagonal_T1_iil
    .private_segment_fixed_size: 384
    .sgpr_count:     63
    .sgpr_spill_count: 0
    .symbol:         _ZN9rocsolver6v33100L18trti2_kernel_smallILi46EdPKPdEEv13rocblas_fill_17rocblas_diagonal_T1_iil.kd
    .uniform_work_group_size: 1
    .uses_dynamic_stack: false
    .vgpr_count:     106
    .vgpr_spill_count: 0
    .wavefront_size: 64
  - .args:
      - .offset:         0
        .size:           4
        .value_kind:     by_value
      - .offset:         4
        .size:           4
        .value_kind:     by_value
      - .address_space:  global
        .offset:         8
        .size:           8
        .value_kind:     global_buffer
      - .offset:         16
        .size:           4
        .value_kind:     by_value
      - .offset:         20
        .size:           4
        .value_kind:     by_value
      - .offset:         24
        .size:           8
        .value_kind:     by_value
    .group_segment_fixed_size: 760
    .kernarg_segment_align: 8
    .kernarg_segment_size: 32
    .language:       OpenCL C
    .language_version:
      - 2
      - 0
    .max_flat_workgroup_size: 64
    .name:           _ZN9rocsolver6v33100L18trti2_kernel_smallILi47EdPKPdEEv13rocblas_fill_17rocblas_diagonal_T1_iil
    .private_segment_fixed_size: 384
    .sgpr_count:     64
    .sgpr_spill_count: 0
    .symbol:         _ZN9rocsolver6v33100L18trti2_kernel_smallILi47EdPKPdEEv13rocblas_fill_17rocblas_diagonal_T1_iil.kd
    .uniform_work_group_size: 1
    .uses_dynamic_stack: false
    .vgpr_count:     108
    .vgpr_spill_count: 0
    .wavefront_size: 64
  - .args:
      - .offset:         0
        .size:           4
        .value_kind:     by_value
      - .offset:         4
        .size:           4
        .value_kind:     by_value
      - .address_space:  global
        .offset:         8
        .size:           8
        .value_kind:     global_buffer
      - .offset:         16
        .size:           4
        .value_kind:     by_value
      - .offset:         20
        .size:           4
        .value_kind:     by_value
      - .offset:         24
        .size:           8
        .value_kind:     by_value
    .group_segment_fixed_size: 768
    .kernarg_segment_align: 8
    .kernarg_segment_size: 32
    .language:       OpenCL C
    .language_version:
      - 2
      - 0
    .max_flat_workgroup_size: 64
    .name:           _ZN9rocsolver6v33100L18trti2_kernel_smallILi48EdPKPdEEv13rocblas_fill_17rocblas_diagonal_T1_iil
    .private_segment_fixed_size: 400
    .sgpr_count:     65
    .sgpr_spill_count: 0
    .symbol:         _ZN9rocsolver6v33100L18trti2_kernel_smallILi48EdPKPdEEv13rocblas_fill_17rocblas_diagonal_T1_iil.kd
    .uniform_work_group_size: 1
    .uses_dynamic_stack: false
    .vgpr_count:     110
    .vgpr_spill_count: 0
    .wavefront_size: 64
  - .args:
      - .offset:         0
        .size:           4
        .value_kind:     by_value
      - .offset:         4
        .size:           4
        .value_kind:     by_value
      - .address_space:  global
        .offset:         8
        .size:           8
        .value_kind:     global_buffer
      - .offset:         16
        .size:           4
        .value_kind:     by_value
      - .offset:         20
        .size:           4
        .value_kind:     by_value
      - .offset:         24
        .size:           8
        .value_kind:     by_value
    .group_segment_fixed_size: 792
    .kernarg_segment_align: 8
    .kernarg_segment_size: 32
    .language:       OpenCL C
    .language_version:
      - 2
      - 0
    .max_flat_workgroup_size: 64
    .name:           _ZN9rocsolver6v33100L18trti2_kernel_smallILi49EdPKPdEEv13rocblas_fill_17rocblas_diagonal_T1_iil
    .private_segment_fixed_size: 400
    .sgpr_count:     66
    .sgpr_spill_count: 0
    .symbol:         _ZN9rocsolver6v33100L18trti2_kernel_smallILi49EdPKPdEEv13rocblas_fill_17rocblas_diagonal_T1_iil.kd
    .uniform_work_group_size: 1
    .uses_dynamic_stack: false
    .vgpr_count:     112
    .vgpr_spill_count: 0
    .wavefront_size: 64
  - .args:
      - .offset:         0
        .size:           4
        .value_kind:     by_value
      - .offset:         4
        .size:           4
        .value_kind:     by_value
      - .address_space:  global
        .offset:         8
        .size:           8
        .value_kind:     global_buffer
      - .offset:         16
        .size:           4
        .value_kind:     by_value
      - .offset:         20
        .size:           4
        .value_kind:     by_value
      - .offset:         24
        .size:           8
        .value_kind:     by_value
    .group_segment_fixed_size: 800
    .kernarg_segment_align: 8
    .kernarg_segment_size: 32
    .language:       OpenCL C
    .language_version:
      - 2
      - 0
    .max_flat_workgroup_size: 64
    .name:           _ZN9rocsolver6v33100L18trti2_kernel_smallILi50EdPKPdEEv13rocblas_fill_17rocblas_diagonal_T1_iil
    .private_segment_fixed_size: 416
    .sgpr_count:     67
    .sgpr_spill_count: 0
    .symbol:         _ZN9rocsolver6v33100L18trti2_kernel_smallILi50EdPKPdEEv13rocblas_fill_17rocblas_diagonal_T1_iil.kd
    .uniform_work_group_size: 1
    .uses_dynamic_stack: false
    .vgpr_count:     114
    .vgpr_spill_count: 0
    .wavefront_size: 64
  - .args:
      - .offset:         0
        .size:           4
        .value_kind:     by_value
      - .offset:         4
        .size:           4
        .value_kind:     by_value
      - .address_space:  global
        .offset:         8
        .size:           8
        .value_kind:     global_buffer
      - .offset:         16
        .size:           4
        .value_kind:     by_value
      - .offset:         20
        .size:           4
        .value_kind:     by_value
      - .offset:         24
        .size:           8
        .value_kind:     by_value
    .group_segment_fixed_size: 824
    .kernarg_segment_align: 8
    .kernarg_segment_size: 32
    .language:       OpenCL C
    .language_version:
      - 2
      - 0
    .max_flat_workgroup_size: 64
    .name:           _ZN9rocsolver6v33100L18trti2_kernel_smallILi51EdPKPdEEv13rocblas_fill_17rocblas_diagonal_T1_iil
    .private_segment_fixed_size: 416
    .sgpr_count:     68
    .sgpr_spill_count: 0
    .symbol:         _ZN9rocsolver6v33100L18trti2_kernel_smallILi51EdPKPdEEv13rocblas_fill_17rocblas_diagonal_T1_iil.kd
    .uniform_work_group_size: 1
    .uses_dynamic_stack: false
    .vgpr_count:     116
    .vgpr_spill_count: 0
    .wavefront_size: 64
  - .args:
      - .offset:         0
        .size:           4
        .value_kind:     by_value
      - .offset:         4
        .size:           4
        .value_kind:     by_value
      - .address_space:  global
        .offset:         8
        .size:           8
        .value_kind:     global_buffer
      - .offset:         16
        .size:           4
        .value_kind:     by_value
      - .offset:         20
        .size:           4
        .value_kind:     by_value
      - .offset:         24
        .size:           8
        .value_kind:     by_value
    .group_segment_fixed_size: 832
    .kernarg_segment_align: 8
    .kernarg_segment_size: 32
    .language:       OpenCL C
    .language_version:
      - 2
      - 0
    .max_flat_workgroup_size: 64
    .name:           _ZN9rocsolver6v33100L18trti2_kernel_smallILi52EdPKPdEEv13rocblas_fill_17rocblas_diagonal_T1_iil
    .private_segment_fixed_size: 432
    .sgpr_count:     69
    .sgpr_spill_count: 0
    .symbol:         _ZN9rocsolver6v33100L18trti2_kernel_smallILi52EdPKPdEEv13rocblas_fill_17rocblas_diagonal_T1_iil.kd
    .uniform_work_group_size: 1
    .uses_dynamic_stack: false
    .vgpr_count:     118
    .vgpr_spill_count: 0
    .wavefront_size: 64
  - .args:
      - .offset:         0
        .size:           4
        .value_kind:     by_value
      - .offset:         4
        .size:           4
        .value_kind:     by_value
      - .address_space:  global
        .offset:         8
        .size:           8
        .value_kind:     global_buffer
      - .offset:         16
        .size:           4
        .value_kind:     by_value
      - .offset:         20
        .size:           4
        .value_kind:     by_value
      - .offset:         24
        .size:           8
        .value_kind:     by_value
    .group_segment_fixed_size: 856
    .kernarg_segment_align: 8
    .kernarg_segment_size: 32
    .language:       OpenCL C
    .language_version:
      - 2
      - 0
    .max_flat_workgroup_size: 64
    .name:           _ZN9rocsolver6v33100L18trti2_kernel_smallILi53EdPKPdEEv13rocblas_fill_17rocblas_diagonal_T1_iil
    .private_segment_fixed_size: 432
    .sgpr_count:     70
    .sgpr_spill_count: 0
    .symbol:         _ZN9rocsolver6v33100L18trti2_kernel_smallILi53EdPKPdEEv13rocblas_fill_17rocblas_diagonal_T1_iil.kd
    .uniform_work_group_size: 1
    .uses_dynamic_stack: false
    .vgpr_count:     120
    .vgpr_spill_count: 0
    .wavefront_size: 64
  - .args:
      - .offset:         0
        .size:           4
        .value_kind:     by_value
      - .offset:         4
        .size:           4
        .value_kind:     by_value
      - .address_space:  global
        .offset:         8
        .size:           8
        .value_kind:     global_buffer
      - .offset:         16
        .size:           4
        .value_kind:     by_value
      - .offset:         20
        .size:           4
        .value_kind:     by_value
      - .offset:         24
        .size:           8
        .value_kind:     by_value
    .group_segment_fixed_size: 864
    .kernarg_segment_align: 8
    .kernarg_segment_size: 32
    .language:       OpenCL C
    .language_version:
      - 2
      - 0
    .max_flat_workgroup_size: 64
    .name:           _ZN9rocsolver6v33100L18trti2_kernel_smallILi54EdPKPdEEv13rocblas_fill_17rocblas_diagonal_T1_iil
    .private_segment_fixed_size: 448
    .sgpr_count:     71
    .sgpr_spill_count: 0
    .symbol:         _ZN9rocsolver6v33100L18trti2_kernel_smallILi54EdPKPdEEv13rocblas_fill_17rocblas_diagonal_T1_iil.kd
    .uniform_work_group_size: 1
    .uses_dynamic_stack: false
    .vgpr_count:     122
    .vgpr_spill_count: 0
    .wavefront_size: 64
  - .args:
      - .offset:         0
        .size:           4
        .value_kind:     by_value
      - .offset:         4
        .size:           4
        .value_kind:     by_value
      - .address_space:  global
        .offset:         8
        .size:           8
        .value_kind:     global_buffer
      - .offset:         16
        .size:           4
        .value_kind:     by_value
      - .offset:         20
        .size:           4
        .value_kind:     by_value
      - .offset:         24
        .size:           8
        .value_kind:     by_value
    .group_segment_fixed_size: 888
    .kernarg_segment_align: 8
    .kernarg_segment_size: 32
    .language:       OpenCL C
    .language_version:
      - 2
      - 0
    .max_flat_workgroup_size: 64
    .name:           _ZN9rocsolver6v33100L18trti2_kernel_smallILi55EdPKPdEEv13rocblas_fill_17rocblas_diagonal_T1_iil
    .private_segment_fixed_size: 448
    .sgpr_count:     72
    .sgpr_spill_count: 0
    .symbol:         _ZN9rocsolver6v33100L18trti2_kernel_smallILi55EdPKPdEEv13rocblas_fill_17rocblas_diagonal_T1_iil.kd
    .uniform_work_group_size: 1
    .uses_dynamic_stack: false
    .vgpr_count:     124
    .vgpr_spill_count: 0
    .wavefront_size: 64
  - .args:
      - .offset:         0
        .size:           4
        .value_kind:     by_value
      - .offset:         4
        .size:           4
        .value_kind:     by_value
      - .address_space:  global
        .offset:         8
        .size:           8
        .value_kind:     global_buffer
      - .offset:         16
        .size:           4
        .value_kind:     by_value
      - .offset:         20
        .size:           4
        .value_kind:     by_value
      - .offset:         24
        .size:           8
        .value_kind:     by_value
    .group_segment_fixed_size: 896
    .kernarg_segment_align: 8
    .kernarg_segment_size: 32
    .language:       OpenCL C
    .language_version:
      - 2
      - 0
    .max_flat_workgroup_size: 64
    .name:           _ZN9rocsolver6v33100L18trti2_kernel_smallILi56EdPKPdEEv13rocblas_fill_17rocblas_diagonal_T1_iil
    .private_segment_fixed_size: 464
    .sgpr_count:     73
    .sgpr_spill_count: 0
    .symbol:         _ZN9rocsolver6v33100L18trti2_kernel_smallILi56EdPKPdEEv13rocblas_fill_17rocblas_diagonal_T1_iil.kd
    .uniform_work_group_size: 1
    .uses_dynamic_stack: false
    .vgpr_count:     126
    .vgpr_spill_count: 0
    .wavefront_size: 64
  - .args:
      - .offset:         0
        .size:           4
        .value_kind:     by_value
      - .offset:         4
        .size:           4
        .value_kind:     by_value
      - .address_space:  global
        .offset:         8
        .size:           8
        .value_kind:     global_buffer
      - .offset:         16
        .size:           4
        .value_kind:     by_value
      - .offset:         20
        .size:           4
        .value_kind:     by_value
      - .offset:         24
        .size:           8
        .value_kind:     by_value
    .group_segment_fixed_size: 920
    .kernarg_segment_align: 8
    .kernarg_segment_size: 32
    .language:       OpenCL C
    .language_version:
      - 2
      - 0
    .max_flat_workgroup_size: 64
    .name:           _ZN9rocsolver6v33100L18trti2_kernel_smallILi57EdPKPdEEv13rocblas_fill_17rocblas_diagonal_T1_iil
    .private_segment_fixed_size: 464
    .sgpr_count:     74
    .sgpr_spill_count: 0
    .symbol:         _ZN9rocsolver6v33100L18trti2_kernel_smallILi57EdPKPdEEv13rocblas_fill_17rocblas_diagonal_T1_iil.kd
    .uniform_work_group_size: 1
    .uses_dynamic_stack: false
    .vgpr_count:     128
    .vgpr_spill_count: 0
    .wavefront_size: 64
  - .args:
      - .offset:         0
        .size:           4
        .value_kind:     by_value
      - .offset:         4
        .size:           4
        .value_kind:     by_value
      - .address_space:  global
        .offset:         8
        .size:           8
        .value_kind:     global_buffer
      - .offset:         16
        .size:           4
        .value_kind:     by_value
      - .offset:         20
        .size:           4
        .value_kind:     by_value
      - .offset:         24
        .size:           8
        .value_kind:     by_value
    .group_segment_fixed_size: 928
    .kernarg_segment_align: 8
    .kernarg_segment_size: 32
    .language:       OpenCL C
    .language_version:
      - 2
      - 0
    .max_flat_workgroup_size: 64
    .name:           _ZN9rocsolver6v33100L18trti2_kernel_smallILi58EdPKPdEEv13rocblas_fill_17rocblas_diagonal_T1_iil
    .private_segment_fixed_size: 480
    .sgpr_count:     75
    .sgpr_spill_count: 0
    .symbol:         _ZN9rocsolver6v33100L18trti2_kernel_smallILi58EdPKPdEEv13rocblas_fill_17rocblas_diagonal_T1_iil.kd
    .uniform_work_group_size: 1
    .uses_dynamic_stack: false
    .vgpr_count:     130
    .vgpr_spill_count: 0
    .wavefront_size: 64
  - .args:
      - .offset:         0
        .size:           4
        .value_kind:     by_value
      - .offset:         4
        .size:           4
        .value_kind:     by_value
      - .address_space:  global
        .offset:         8
        .size:           8
        .value_kind:     global_buffer
      - .offset:         16
        .size:           4
        .value_kind:     by_value
      - .offset:         20
        .size:           4
        .value_kind:     by_value
      - .offset:         24
        .size:           8
        .value_kind:     by_value
    .group_segment_fixed_size: 952
    .kernarg_segment_align: 8
    .kernarg_segment_size: 32
    .language:       OpenCL C
    .language_version:
      - 2
      - 0
    .max_flat_workgroup_size: 64
    .name:           _ZN9rocsolver6v33100L18trti2_kernel_smallILi59EdPKPdEEv13rocblas_fill_17rocblas_diagonal_T1_iil
    .private_segment_fixed_size: 480
    .sgpr_count:     76
    .sgpr_spill_count: 0
    .symbol:         _ZN9rocsolver6v33100L18trti2_kernel_smallILi59EdPKPdEEv13rocblas_fill_17rocblas_diagonal_T1_iil.kd
    .uniform_work_group_size: 1
    .uses_dynamic_stack: false
    .vgpr_count:     132
    .vgpr_spill_count: 0
    .wavefront_size: 64
  - .args:
      - .offset:         0
        .size:           4
        .value_kind:     by_value
      - .offset:         4
        .size:           4
        .value_kind:     by_value
      - .address_space:  global
        .offset:         8
        .size:           8
        .value_kind:     global_buffer
      - .offset:         16
        .size:           4
        .value_kind:     by_value
      - .offset:         20
        .size:           4
        .value_kind:     by_value
      - .offset:         24
        .size:           8
        .value_kind:     by_value
    .group_segment_fixed_size: 960
    .kernarg_segment_align: 8
    .kernarg_segment_size: 32
    .language:       OpenCL C
    .language_version:
      - 2
      - 0
    .max_flat_workgroup_size: 64
    .name:           _ZN9rocsolver6v33100L18trti2_kernel_smallILi60EdPKPdEEv13rocblas_fill_17rocblas_diagonal_T1_iil
    .private_segment_fixed_size: 496
    .sgpr_count:     77
    .sgpr_spill_count: 0
    .symbol:         _ZN9rocsolver6v33100L18trti2_kernel_smallILi60EdPKPdEEv13rocblas_fill_17rocblas_diagonal_T1_iil.kd
    .uniform_work_group_size: 1
    .uses_dynamic_stack: false
    .vgpr_count:     134
    .vgpr_spill_count: 0
    .wavefront_size: 64
  - .args:
      - .offset:         0
        .size:           4
        .value_kind:     by_value
      - .offset:         4
        .size:           4
        .value_kind:     by_value
      - .address_space:  global
        .offset:         8
        .size:           8
        .value_kind:     global_buffer
      - .offset:         16
        .size:           4
        .value_kind:     by_value
      - .offset:         20
        .size:           4
        .value_kind:     by_value
      - .offset:         24
        .size:           8
        .value_kind:     by_value
    .group_segment_fixed_size: 984
    .kernarg_segment_align: 8
    .kernarg_segment_size: 32
    .language:       OpenCL C
    .language_version:
      - 2
      - 0
    .max_flat_workgroup_size: 64
    .name:           _ZN9rocsolver6v33100L18trti2_kernel_smallILi61EdPKPdEEv13rocblas_fill_17rocblas_diagonal_T1_iil
    .private_segment_fixed_size: 496
    .sgpr_count:     78
    .sgpr_spill_count: 0
    .symbol:         _ZN9rocsolver6v33100L18trti2_kernel_smallILi61EdPKPdEEv13rocblas_fill_17rocblas_diagonal_T1_iil.kd
    .uniform_work_group_size: 1
    .uses_dynamic_stack: false
    .vgpr_count:     136
    .vgpr_spill_count: 0
    .wavefront_size: 64
  - .args:
      - .offset:         0
        .size:           4
        .value_kind:     by_value
      - .offset:         4
        .size:           4
        .value_kind:     by_value
      - .address_space:  global
        .offset:         8
        .size:           8
        .value_kind:     global_buffer
      - .offset:         16
        .size:           4
        .value_kind:     by_value
      - .offset:         20
        .size:           4
        .value_kind:     by_value
      - .offset:         24
        .size:           8
        .value_kind:     by_value
    .group_segment_fixed_size: 992
    .kernarg_segment_align: 8
    .kernarg_segment_size: 32
    .language:       OpenCL C
    .language_version:
      - 2
      - 0
    .max_flat_workgroup_size: 64
    .name:           _ZN9rocsolver6v33100L18trti2_kernel_smallILi62EdPKPdEEv13rocblas_fill_17rocblas_diagonal_T1_iil
    .private_segment_fixed_size: 512
    .sgpr_count:     79
    .sgpr_spill_count: 0
    .symbol:         _ZN9rocsolver6v33100L18trti2_kernel_smallILi62EdPKPdEEv13rocblas_fill_17rocblas_diagonal_T1_iil.kd
    .uniform_work_group_size: 1
    .uses_dynamic_stack: false
    .vgpr_count:     138
    .vgpr_spill_count: 0
    .wavefront_size: 64
  - .args:
      - .offset:         0
        .size:           4
        .value_kind:     by_value
      - .offset:         4
        .size:           4
        .value_kind:     by_value
      - .address_space:  global
        .offset:         8
        .size:           8
        .value_kind:     global_buffer
      - .offset:         16
        .size:           4
        .value_kind:     by_value
      - .offset:         20
        .size:           4
        .value_kind:     by_value
      - .offset:         24
        .size:           8
        .value_kind:     by_value
    .group_segment_fixed_size: 1016
    .kernarg_segment_align: 8
    .kernarg_segment_size: 32
    .language:       OpenCL C
    .language_version:
      - 2
      - 0
    .max_flat_workgroup_size: 64
    .name:           _ZN9rocsolver6v33100L18trti2_kernel_smallILi63EdPKPdEEv13rocblas_fill_17rocblas_diagonal_T1_iil
    .private_segment_fixed_size: 512
    .sgpr_count:     80
    .sgpr_spill_count: 0
    .symbol:         _ZN9rocsolver6v33100L18trti2_kernel_smallILi63EdPKPdEEv13rocblas_fill_17rocblas_diagonal_T1_iil.kd
    .uniform_work_group_size: 1
    .uses_dynamic_stack: false
    .vgpr_count:     140
    .vgpr_spill_count: 0
    .wavefront_size: 64
  - .args:
      - .offset:         0
        .size:           4
        .value_kind:     by_value
      - .offset:         4
        .size:           4
        .value_kind:     by_value
      - .address_space:  global
        .offset:         8
        .size:           8
        .value_kind:     global_buffer
      - .offset:         16
        .size:           4
        .value_kind:     by_value
      - .offset:         20
        .size:           4
        .value_kind:     by_value
      - .offset:         24
        .size:           8
        .value_kind:     by_value
    .group_segment_fixed_size: 1024
    .kernarg_segment_align: 8
    .kernarg_segment_size: 32
    .language:       OpenCL C
    .language_version:
      - 2
      - 0
    .max_flat_workgroup_size: 64
    .name:           _ZN9rocsolver6v33100L18trti2_kernel_smallILi64EdPKPdEEv13rocblas_fill_17rocblas_diagonal_T1_iil
    .private_segment_fixed_size: 528
    .sgpr_count:     81
    .sgpr_spill_count: 0
    .symbol:         _ZN9rocsolver6v33100L18trti2_kernel_smallILi64EdPKPdEEv13rocblas_fill_17rocblas_diagonal_T1_iil.kd
    .uniform_work_group_size: 1
    .uses_dynamic_stack: false
    .vgpr_count:     142
    .vgpr_spill_count: 0
    .wavefront_size: 64
amdhsa.target:   amdgcn-amd-amdhsa--gfx906
amdhsa.version:
  - 1
  - 2
...

	.end_amdgpu_metadata
